;; amdgpu-corpus repo=ROCm/rocBLAS kind=compiled arch=gfx1100 opt=O3
	.text
	.amdgcn_target "amdgcn-amd-amdhsa--gfx1100"
	.amdhsa_code_object_version 6
	.section	.text._ZL26rocblas_hemvn_kernel_upperILb1ELi64ELi4ELi33ELi32ELi16ElPK19rocblas_complex_numIfES3_PS1_EviT6_lT7_lT5_lS6_lS7_lS5_lT8_i,"axG",@progbits,_ZL26rocblas_hemvn_kernel_upperILb1ELi64ELi4ELi33ELi32ELi16ElPK19rocblas_complex_numIfES3_PS1_EviT6_lT7_lT5_lS6_lS7_lS5_lT8_i,comdat
	.globl	_ZL26rocblas_hemvn_kernel_upperILb1ELi64ELi4ELi33ELi32ELi16ElPK19rocblas_complex_numIfES3_PS1_EviT6_lT7_lT5_lS6_lS7_lS5_lT8_i ; -- Begin function _ZL26rocblas_hemvn_kernel_upperILb1ELi64ELi4ELi33ELi32ELi16ElPK19rocblas_complex_numIfES3_PS1_EviT6_lT7_lT5_lS6_lS7_lS5_lT8_i
	.p2align	8
	.type	_ZL26rocblas_hemvn_kernel_upperILb1ELi64ELi4ELi33ELi32ELi16ElPK19rocblas_complex_numIfES3_PS1_EviT6_lT7_lT5_lS6_lS7_lS5_lT8_i,@function
_ZL26rocblas_hemvn_kernel_upperILb1ELi64ELi4ELi33ELi32ELi16ElPK19rocblas_complex_numIfES3_PS1_EviT6_lT7_lT5_lS6_lS7_lS5_lT8_i: ; @_ZL26rocblas_hemvn_kernel_upperILb1ELi64ELi4ELi33ELi32ELi16ElPK19rocblas_complex_numIfES3_PS1_EviT6_lT7_lT5_lS6_lS7_lS5_lT8_i
; %bb.0:
	s_load_b64 s[4:5], s[0:1], 0x84
	s_add_u32 s2, s0, 0x78
	s_addc_u32 s3, s1, 0
	s_waitcnt lgkmcnt(0)
	s_lshr_b32 s6, s4, 16
	s_and_b32 s4, s4, 0xffff
	s_and_b32 s5, s5, 0xffff
	s_mul_i32 s4, s6, s4
	s_delay_alu instid0(SALU_CYCLE_1) | instskip(NEXT) | instid1(SALU_CYCLE_1)
	s_mul_i32 s4, s4, s5
	s_cmpk_lg_i32 s4, 0x100
	s_cbranch_scc1 .LBB0_186
; %bb.1:
	s_load_b512 s[16:31], s[0:1], 0x8
	s_waitcnt lgkmcnt(0)
	s_mul_i32 s4, s15, s19
	s_mul_hi_u32 s5, s15, s18
	s_delay_alu instid0(SALU_CYCLE_1) | instskip(SKIP_1) | instid1(SALU_CYCLE_1)
	s_add_i32 s5, s5, s4
	s_mul_i32 s4, s15, s18
	s_lshl_b64 s[4:5], s[4:5], 3
	s_delay_alu instid0(SALU_CYCLE_1)
	s_add_u32 s4, s16, s4
	s_addc_u32 s5, s17, s5
	s_load_b64 s[4:5], s[4:5], 0x0
	s_clause 0x1
	s_load_b64 s[12:13], s[0:1], 0x68
	s_load_b256 s[36:43], s[0:1], 0x48
	s_waitcnt lgkmcnt(0)
	s_or_b32 s4, s4, s5
	s_mov_b32 s5, -1
	s_bitset0_b32 s4, 31
	s_delay_alu instid0(SALU_CYCLE_1) | instskip(SKIP_1) | instid1(SALU_CYCLE_1)
	s_cmp_lg_u32 s4, 0
	s_cselect_b32 s4, -1, 0
	s_and_b32 vcc_lo, exec_lo, s4
	s_cbranch_vccnz .LBB0_3
; %bb.2:
	s_mul_i32 s5, s15, s43
	s_mul_hi_u32 s7, s15, s42
	s_mul_i32 s6, s15, s42
	s_add_i32 s7, s7, s5
	s_delay_alu instid0(SALU_CYCLE_1) | instskip(NEXT) | instid1(SALU_CYCLE_1)
	s_lshl_b64 s[6:7], s[6:7], 3
	s_add_u32 s6, s40, s6
	s_addc_u32 s7, s41, s7
	s_load_b64 s[6:7], s[6:7], 0x0
	s_waitcnt lgkmcnt(0)
	v_cmp_neq_f32_e64 s5, s6, 1.0
	v_cmp_neq_f32_e64 s6, s7, 0
	s_delay_alu instid0(VALU_DEP_1)
	s_or_b32 s5, s5, s6
.LBB0_3:
	s_delay_alu instid0(SALU_CYCLE_1)
	s_and_not1_b32 vcc_lo, exec_lo, s5
	s_cbranch_vccnz .LBB0_186
; %bb.4:
	s_and_not1_b32 vcc_lo, exec_lo, s4
	s_cbranch_vccnz .LBB0_186
; %bb.5:
	s_mul_i32 s5, s15, s39
	s_mul_hi_u32 s6, s15, s38
	s_mul_i32 s4, s15, s38
	s_add_i32 s5, s6, s5
	s_load_b32 s33, s[0:1], 0x0
	s_lshl_b64 s[4:5], s[4:5], 3
	v_and_b32_e32 v93, 0x3ff, v0
	s_add_u32 s4, s28, s4
	s_addc_u32 s5, s29, s5
	s_lshl_b64 s[0:1], s[30:31], 3
	s_load_b32 s7, s[2:3], 0x0
	s_add_u32 s0, s4, s0
	s_addc_u32 s1, s5, s1
	s_lshl_b32 s10, s14, 6
	v_bfe_u32 v94, v0, 10, 10
	v_add_nc_u32_e32 v24, s10, v93
	s_delay_alu instid0(VALU_DEP_1)
	v_ashrrev_i32_e32 v25, 31, v24
	v_mul_lo_u32 v3, v24, s37
	v_mad_u64_u32 v[1:2], null, v24, s36, 0
	s_waitcnt lgkmcnt(0)
	s_ashr_i32 s28, s33, 31
	v_mul_lo_u32 v4, v25, s36
	s_lshr_b32 s2, s28, 26
	s_delay_alu instid0(SALU_CYCLE_1) | instskip(NEXT) | instid1(SALU_CYCLE_1)
	s_add_i32 s2, s33, s2
	s_and_not1_b32 s2, s2, 63
	s_add_i32 s3, s7, -1
	s_sub_i32 s18, s33, s2
	s_delay_alu instid0(VALU_DEP_1) | instskip(SKIP_3) | instid1(VALU_DEP_1)
	v_add3_u32 v2, v2, v3, v4
	s_cmp_eq_u32 s14, s3
	s_mov_b32 s2, -1
	s_cselect_b32 s8, s18, 0
	v_lshlrev_b64 v[1:2], 3, v[1:2]
	s_delay_alu instid0(VALU_DEP_1) | instskip(NEXT) | instid1(VALU_DEP_2)
	v_add_co_u32 v14, vcc_lo, s0, v1
	v_add_co_ci_u32_e32 v15, vcc_lo, s1, v2, vcc_lo
	v_cmp_eq_u32_e64 s0, 0, v94
	s_delay_alu instid0(VALU_DEP_1)
	s_and_saveexec_b32 s1, s0
	s_cbranch_execz .LBB0_10
; %bb.6:
	v_cmp_le_i32_e32 vcc_lo, s8, v93
	s_cmp_lg_u32 s8, 0
	v_lshl_add_u32 v0, v93, 3, 0x2380
	s_cselect_b32 s3, -1, 0
	s_delay_alu instid0(SALU_CYCLE_1) | instskip(NEXT) | instid1(SALU_CYCLE_1)
	s_and_b32 s3, s3, vcc_lo
	s_and_saveexec_b32 s4, s3
	s_delay_alu instid0(SALU_CYCLE_1)
	s_xor_b32 s3, exec_lo, s4
	s_cbranch_execz .LBB0_8
; %bb.7:
	v_mov_b32_e32 v1, 0
	s_delay_alu instid0(VALU_DEP_1)
	v_mov_b32_e32 v2, v1
	ds_store_b64 v0, v[1:2]
                                        ; implicit-def: $vgpr0
.LBB0_8:
	s_and_not1_saveexec_b32 s3, s3
	s_cbranch_execz .LBB0_10
; %bb.9:
	global_load_b64 v[1:2], v[14:15], off
	s_waitcnt vmcnt(0)
	ds_store_b64 v0, v[1:2]
.LBB0_10:
	s_or_b32 exec_lo, exec_lo, s1
	v_lshl_add_u32 v22, v94, 6, v93
	v_dual_mov_b32 v1, 0 :: v_dual_and_b32 v0, 31, v93
	s_mul_i32 s1, s15, s27
	s_mul_hi_u32 s3, s15, s26
	s_delay_alu instid0(VALU_DEP_2)
	v_lshrrev_b32_e32 v7, 5, v22
	s_add_i32 s5, s3, s1
	s_mul_i32 s4, s15, s26
	v_lshlrev_b32_e32 v9, 3, v0
	s_lshl_b64 s[4:5], s[4:5], 3
	v_mad_u64_u32 v[2:3], null, v7, s24, v[0:1]
	s_add_u32 s1, s20, s4
	s_addc_u32 s3, s21, s5
	s_lshl_b64 s[4:5], s[22:23], 3
	v_mul_u32_u24_e32 v8, 33, v7
	s_add_u32 s1, s1, s4
	s_addc_u32 s3, s3, s5
	s_delay_alu instid0(VALU_DEP_2) | instskip(SKIP_1) | instid1(SALU_CYCLE_1)
	v_mov_b32_e32 v1, v3
	s_ashr_i32 s11, s10, 31
	s_lshl_b64 s[4:5], s[10:11], 3
	s_delay_alu instid0(SALU_CYCLE_1) | instskip(NEXT) | instid1(VALU_DEP_1)
	s_add_u32 s1, s1, s4
	v_mad_u64_u32 v[3:4], null, v7, s25, v[1:2]
	s_addc_u32 s3, s3, s5
	s_mul_i32 s4, s10, s25
	s_mul_hi_u32 s5, s10, s24
	s_delay_alu instid0(SALU_CYCLE_1) | instskip(SKIP_1) | instid1(VALU_DEP_1)
	s_add_i32 s4, s5, s4
	s_mul_i32 s5, s11, s24
	v_lshlrev_b64 v[12:13], 3, v[2:3]
	s_add_i32 s5, s4, s5
	s_mul_i32 s4, s10, s24
	s_delay_alu instid0(SALU_CYCLE_1) | instskip(NEXT) | instid1(SALU_CYCLE_1)
	s_lshl_b64 s[4:5], s[4:5], 3
	s_add_u32 s1, s4, s1
	s_addc_u32 s3, s5, s3
	s_cmp_eq_u32 s8, 0
	v_add_co_u32 v3, s1, s1, v12
	s_cselect_b32 s19, -1, 0
	s_cmp_lg_u32 s8, 0
	v_add_co_ci_u32_e64 v4, s1, s3, v13, s1
	v_cmp_gt_i32_e64 s1, s8, v0
	s_cselect_b32 s20, -1, 0
	s_delay_alu instid0(SALU_CYCLE_1)
	s_and_b32 vcc_lo, exec_lo, s20
	s_cbranch_vccz .LBB0_28
; %bb.11:
	v_sub_co_u32 v1, vcc_lo, v3, v9
	s_ashr_i32 s9, s8, 31
	v_subrev_co_ci_u32_e32 v2, vcc_lo, 0, v4, vcc_lo
	s_lshl_b64 s[2:3], s[8:9], 3
	v_add_lshl_u32 v5, v8, v0, 3
	v_add_co_u32 v1, vcc_lo, v1, s2
	s_delay_alu instid0(VALU_DEP_3) | instskip(SKIP_1) | instid1(VALU_DEP_2)
	v_add_co_ci_u32_e32 v2, vcc_lo, s3, v2, vcc_lo
	s_mov_b32 s4, exec_lo
	v_add_co_u32 v1, vcc_lo, v1, -8
	s_delay_alu instid0(VALU_DEP_2) | instskip(NEXT) | instid1(VALU_DEP_2)
	v_add_co_ci_u32_e32 v2, vcc_lo, -1, v2, vcc_lo
	v_cndmask_b32_e64 v1, v1, v3, s1
	s_delay_alu instid0(VALU_DEP_2)
	v_cndmask_b32_e64 v2, v2, v4, s1
	v_cmpx_le_i32_e64 s8, v7
	s_xor_b32 s4, exec_lo, s4
	s_cbranch_execz .LBB0_13
; %bb.12:
	v_mov_b32_e32 v10, 0
	s_delay_alu instid0(VALU_DEP_1)
	v_mov_b32_e32 v11, v10
	ds_store_b64 v5, v[10:11]
.LBB0_13:
	s_and_not1_saveexec_b32 s4, s4
	s_cbranch_execz .LBB0_15
; %bb.14:
	global_load_b64 v[10:11], v[1:2], off
	s_waitcnt vmcnt(0)
	ds_store_b64 v5, v[10:11]
.LBB0_15:
	s_or_b32 exec_lo, exec_lo, s4
	v_add_nc_u32_e32 v6, 8, v7
	s_mov_b32 s4, exec_lo
	s_delay_alu instid0(VALU_DEP_1)
	v_cmpx_le_i32_e64 s8, v6
	s_xor_b32 s4, exec_lo, s4
	s_cbranch_execz .LBB0_17
; %bb.16:
	v_mul_u32_u24_e32 v6, 33, v6
	v_mov_b32_e32 v10, 0
	s_delay_alu instid0(VALU_DEP_2) | instskip(NEXT) | instid1(VALU_DEP_2)
	v_add_lshl_u32 v6, v6, v0, 3
	v_mov_b32_e32 v11, v10
	ds_store_b64 v6, v[10:11]
.LBB0_17:
	s_and_not1_saveexec_b32 s4, s4
	s_cbranch_execz .LBB0_19
; %bb.18:
	s_lshl_b64 s[16:17], s[24:25], 6
	s_delay_alu instid0(SALU_CYCLE_1)
	v_add_co_u32 v10, vcc_lo, v1, s16
	v_add_co_ci_u32_e32 v11, vcc_lo, s17, v2, vcc_lo
	global_load_b64 v[10:11], v[10:11], off
	s_waitcnt vmcnt(0)
	ds_store_b64 v5, v[10:11] offset:2112
.LBB0_19:
	s_or_b32 exec_lo, exec_lo, s4
	v_add_nc_u32_e32 v6, 16, v7
	s_mov_b32 s4, exec_lo
	s_delay_alu instid0(VALU_DEP_1)
	v_cmpx_le_i32_e64 s8, v6
	s_xor_b32 s4, exec_lo, s4
	s_cbranch_execz .LBB0_21
; %bb.20:
	v_mov_b32_e32 v10, 0
	s_delay_alu instid0(VALU_DEP_1)
	v_mov_b32_e32 v11, v10
	ds_store_b64 v5, v[10:11] offset:4224
.LBB0_21:
	s_and_not1_saveexec_b32 s4, s4
	s_cbranch_execz .LBB0_23
; %bb.22:
	s_lshl_b64 s[16:17], s[24:25], 7
	s_delay_alu instid0(SALU_CYCLE_1)
	v_add_co_u32 v10, vcc_lo, v1, s16
	v_add_co_ci_u32_e32 v11, vcc_lo, s17, v2, vcc_lo
	global_load_b64 v[10:11], v[10:11], off
	s_waitcnt vmcnt(0)
	ds_store_b64 v5, v[10:11] offset:4224
.LBB0_23:
	s_or_b32 exec_lo, exec_lo, s4
	v_add_nc_u32_e32 v6, 24, v7
	s_mov_b32 s4, exec_lo
	s_delay_alu instid0(VALU_DEP_1)
	v_cmpx_le_i32_e64 s8, v6
	s_xor_b32 s4, exec_lo, s4
	s_cbranch_execz .LBB0_25
; %bb.24:
	v_mov_b32_e32 v10, 0
	s_delay_alu instid0(VALU_DEP_1)
	v_mov_b32_e32 v11, v10
	ds_store_b64 v5, v[10:11] offset:6336
                                        ; implicit-def: $vgpr5
.LBB0_25:
	s_and_not1_saveexec_b32 s4, s4
	s_cbranch_execz .LBB0_27
; %bb.26:
	v_mad_u64_u32 v[10:11], null, 0xc0, s24, v[1:2]
	s_delay_alu instid0(VALU_DEP_1) | instskip(NEXT) | instid1(VALU_DEP_1)
	v_mov_b32_e32 v6, v11
	v_mad_u64_u32 v[16:17], null, 0xc0, s25, v[6:7]
	s_delay_alu instid0(VALU_DEP_1)
	v_mov_b32_e32 v11, v16
	global_load_b64 v[10:11], v[10:11], off
	s_waitcnt vmcnt(0)
	ds_store_b64 v5, v[10:11] offset:6336
.LBB0_27:
	s_or_b32 exec_lo, exec_lo, s4
	v_add_co_u32 v1, vcc_lo, v1, v9
	v_add_co_ci_u32_e32 v2, vcc_lo, 0, v2, vcc_lo
	s_delay_alu instid0(VALU_DEP_2) | instskip(NEXT) | instid1(VALU_DEP_2)
	v_sub_co_u32 v1, vcc_lo, v1, s2
	v_subrev_co_ci_u32_e32 v2, vcc_lo, s3, v2, vcc_lo
	s_delay_alu instid0(VALU_DEP_2) | instskip(NEXT) | instid1(VALU_DEP_2)
	v_add_co_u32 v1, vcc_lo, v1, 8
	v_add_co_ci_u32_e32 v2, vcc_lo, 0, v2, vcc_lo
	s_delay_alu instid0(VALU_DEP_2) | instskip(NEXT) | instid1(VALU_DEP_2)
	v_cndmask_b32_e64 v1, v1, v3, s1
	v_cndmask_b32_e64 v2, v2, v4, s1
	s_branch .LBB0_30
.LBB0_28:
                                        ; implicit-def: $vgpr1_vgpr2
	s_and_b32 vcc_lo, exec_lo, s2
	s_cbranch_vccz .LBB0_30
; %bb.29:
	v_mad_u64_u32 v[1:2], null, 0xc0, s24, v[3:4]
	s_lshl_b64 s[2:3], s[24:25], 6
	v_add_lshl_u32 v20, v8, v0, 3
	v_add_co_u32 v10, vcc_lo, v3, s2
	v_add_co_ci_u32_e32 v11, vcc_lo, s3, v4, vcc_lo
	s_delay_alu instid0(VALU_DEP_4) | instskip(NEXT) | instid1(VALU_DEP_3)
	v_mad_u64_u32 v[5:6], null, 0xc0, s25, v[2:3]
	v_add_co_u32 v16, vcc_lo, v10, s2
	s_delay_alu instid0(VALU_DEP_3) | instskip(NEXT) | instid1(VALU_DEP_3)
	v_add_co_ci_u32_e32 v17, vcc_lo, s3, v11, vcc_lo
	v_mov_b32_e32 v2, v5
	s_clause 0x1
	global_load_b64 v[5:6], v[3:4], off
	global_load_b64 v[10:11], v[10:11], off
	;; [unrolled: 1-line block ×4, first 2 shown]
	v_dual_mov_b32 v1, v3 :: v_dual_mov_b32 v2, v4
	s_waitcnt vmcnt(3)
	ds_store_b64 v20, v[5:6]
	s_waitcnt vmcnt(2)
	ds_store_b64 v20, v[10:11] offset:2112
	s_waitcnt vmcnt(1)
	ds_store_b64 v20, v[16:17] offset:4224
	;; [unrolled: 2-line block ×3, first 2 shown]
.LBB0_30:
	v_lshlrev_b32_e32 v19, 2, v7
	s_waitcnt lgkmcnt(0)
	s_barrier
	buffer_gl0_inv
	v_cmp_le_u32_e64 s2, v19, v0
	s_delay_alu instid0(VALU_DEP_1) | instskip(NEXT) | instid1(SALU_CYCLE_1)
	s_and_saveexec_b32 s1, s2
	s_xor_b32 s1, exec_lo, s1
	s_cbranch_execz .LBB0_34
; %bb.31:
	s_mov_b32 s3, exec_lo
	v_cmpx_eq_u32_e64 v19, v0
	s_cbranch_execz .LBB0_33
; %bb.32:
	v_mul_u32_u24_e32 v3, 34, v0
	s_delay_alu instid0(VALU_DEP_1)
	v_dual_mov_b32 v4, 0 :: v_dual_lshlrev_b32 v3, 3, v3
	ds_store_b32 v3, v4 offset:4
.LBB0_33:
	s_or_b32 exec_lo, exec_lo, s3
.LBB0_34:
	s_or_saveexec_b32 s1, s1
	v_mul_u32_u24_e32 v10, 33, v0
	v_mul_u32_u24_e32 v3, 0x84, v7
	s_delay_alu instid0(VALU_DEP_2)
	v_add_lshl_u32 v16, v19, v10, 3
	s_xor_b32 exec_lo, exec_lo, s1
	s_cbranch_execz .LBB0_36
; %bb.35:
	s_delay_alu instid0(VALU_DEP_2)
	v_add_lshl_u32 v4, v3, v0, 3
	ds_load_b64 v[4:5], v4
	s_waitcnt lgkmcnt(0)
	v_xor_b32_e32 v5, 0x80000000, v5
	ds_store_b64 v16, v[4:5]
.LBB0_36:
	s_or_b32 exec_lo, exec_lo, s1
	v_or_b32_e32 v17, 1, v19
	v_cmp_ge_u32_e64 s3, v19, v0
	s_delay_alu instid0(VALU_DEP_2) | instskip(NEXT) | instid1(VALU_DEP_2)
	v_mul_u32_u24_e32 v4, 33, v17
	s_and_saveexec_b32 s1, s3
	s_delay_alu instid0(SALU_CYCLE_1)
	s_xor_b32 s1, exec_lo, s1
	s_cbranch_execz .LBB0_38
; %bb.37:
	s_delay_alu instid0(VALU_DEP_1)
	v_add_lshl_u32 v5, v4, v0, 3
	ds_load_b64 v[5:6], v5
	s_waitcnt lgkmcnt(0)
	v_xor_b32_e32 v6, 0x80000000, v6
	ds_store_b64 v16, v[5:6] offset:8
.LBB0_38:
	s_and_not1_saveexec_b32 s1, s1
	s_cbranch_execz .LBB0_42
; %bb.39:
	s_mov_b32 s4, exec_lo
	v_cmpx_eq_u32_e64 v17, v0
	s_cbranch_execz .LBB0_41
; %bb.40:
	v_mul_u32_u24_e32 v5, 34, v0
	s_delay_alu instid0(VALU_DEP_1)
	v_dual_mov_b32 v6, 0 :: v_dual_lshlrev_b32 v5, 3, v5
	ds_store_b32 v5, v6 offset:4
.LBB0_41:
	s_or_b32 exec_lo, exec_lo, s4
.LBB0_42:
	s_delay_alu instid0(SALU_CYCLE_1) | instskip(SKIP_1) | instid1(VALU_DEP_1)
	s_or_b32 exec_lo, exec_lo, s1
	v_or_b32_e32 v20, 2, v19
	v_cmp_le_u32_e64 s4, v20, v0
	s_delay_alu instid0(VALU_DEP_1) | instskip(NEXT) | instid1(SALU_CYCLE_1)
	s_and_saveexec_b32 s1, s4
	s_xor_b32 s1, exec_lo, s1
	s_cbranch_execz .LBB0_46
; %bb.43:
	s_mov_b32 s5, exec_lo
	v_cmpx_eq_u32_e64 v20, v0
	s_cbranch_execz .LBB0_45
; %bb.44:
	v_mul_u32_u24_e32 v5, 34, v0
	s_delay_alu instid0(VALU_DEP_1)
	v_dual_mov_b32 v6, 0 :: v_dual_lshlrev_b32 v5, 3, v5
	ds_store_b32 v5, v6 offset:4
.LBB0_45:
	s_or_b32 exec_lo, exec_lo, s5
.LBB0_46:
	s_and_not1_saveexec_b32 s1, s1
	s_cbranch_execz .LBB0_48
; %bb.47:
	v_mul_u32_u24_e32 v5, 33, v20
	s_delay_alu instid0(VALU_DEP_1)
	v_add_lshl_u32 v5, v5, v0, 3
	ds_load_b64 v[5:6], v5
	s_waitcnt lgkmcnt(0)
	v_xor_b32_e32 v6, 0x80000000, v6
	ds_store_b64 v16, v[5:6] offset:16
.LBB0_48:
	s_or_b32 exec_lo, exec_lo, s1
	v_or_b32_e32 v21, 3, v19
	s_delay_alu instid0(VALU_DEP_1) | instskip(NEXT) | instid1(VALU_DEP_1)
	v_cmp_le_u32_e64 s5, v21, v0
	s_and_saveexec_b32 s1, s5
	s_delay_alu instid0(SALU_CYCLE_1)
	s_xor_b32 s1, exec_lo, s1
	s_cbranch_execz .LBB0_52
; %bb.49:
	s_mov_b32 s6, exec_lo
	v_cmpx_eq_u32_e64 v21, v0
	s_cbranch_execz .LBB0_51
; %bb.50:
	v_mul_u32_u24_e32 v5, 34, v0
	s_delay_alu instid0(VALU_DEP_1)
	v_dual_mov_b32 v6, 0 :: v_dual_lshlrev_b32 v5, 3, v5
	ds_store_b32 v5, v6 offset:4
.LBB0_51:
	s_or_b32 exec_lo, exec_lo, s6
.LBB0_52:
	s_and_not1_saveexec_b32 s1, s1
	s_cbranch_execz .LBB0_54
; %bb.53:
	v_mul_u32_u24_e32 v5, 33, v21
	s_delay_alu instid0(VALU_DEP_1)
	v_add_lshl_u32 v5, v5, v0, 3
	ds_load_b64 v[5:6], v5
	s_waitcnt lgkmcnt(0)
	v_xor_b32_e32 v6, 0x80000000, v6
	ds_store_b64 v16, v[5:6] offset:24
.LBB0_54:
	s_or_b32 exec_lo, exec_lo, s1
	v_add_lshl_u32 v11, v3, v0, 3
	v_lshlrev_b32_e32 v29, 3, v19
	v_add_lshl_u32 v18, v4, v0, 3
	s_waitcnt lgkmcnt(0)
	s_barrier
	buffer_gl0_inv
	ds_load_b64 v[26:27], v11
	ds_load_b128 v[3:6], v29 offset:9088
	ds_load_2addr_b64 v[30:33], v18 offset1:33
	ds_load_b128 v[34:37], v29 offset:9104
	ds_load_b64 v[38:39], v18 offset:528
	v_cmp_gt_u32_e64 s1, 32, v22
	s_waitcnt lgkmcnt(0)
	s_barrier
	buffer_gl0_inv
	v_mul_f32_e32 v23, v4, v27
	v_mul_f32_e32 v27, v3, v27
	;; [unrolled: 1-line block ×3, first 2 shown]
	v_dual_mul_f32 v31, v5, v31 :: v_dual_mul_f32 v40, v35, v33
	s_delay_alu instid0(VALU_DEP_4) | instskip(NEXT) | instid1(VALU_DEP_4)
	v_fma_f32 v3, v3, v26, -v23
	v_fmac_f32_e32 v27, v4, v26
	v_dual_mul_f32 v33, v34, v33 :: v_dual_mul_f32 v4, v37, v39
	v_fma_f32 v5, v5, v30, -v28
	s_delay_alu instid0(VALU_DEP_3)
	v_dual_fmac_f32 v31, v6, v30 :: v_dual_add_f32 v6, 0, v27
	v_add_f32_e32 v3, 0, v3
	v_mul_f32_e32 v27, v36, v39
	v_fma_f32 v23, v34, v32, -v40
	v_fma_f32 v4, v36, v38, -v4
	v_add_lshl_u32 v28, v7, v10, 3
	v_add_f32_e32 v3, v3, v5
	v_add_f32_e32 v5, v6, v31
	v_fmac_f32_e32 v27, v37, v38
	v_dual_fmac_f32 v33, v35, v32 :: v_dual_mov_b32 v26, 0
	s_delay_alu instid0(VALU_DEP_4) | instskip(SKIP_1) | instid1(VALU_DEP_3)
	v_add_f32_e32 v3, v3, v23
	v_lshlrev_b32_e32 v23, 3, v10
	v_add_f32_e32 v5, v5, v33
	s_delay_alu instid0(VALU_DEP_1)
	v_dual_add_f32 v3, v3, v4 :: v_dual_add_f32 v4, v5, v27
	v_mov_b32_e32 v27, 0
	ds_store_b64 v28, v[3:4]
	s_waitcnt lgkmcnt(0)
	s_barrier
	buffer_gl0_inv
	s_and_saveexec_b32 s6, s1
	s_cbranch_execz .LBB0_56
; %bb.55:
	ds_load_2addr_b64 v[3:6], v23 offset1:7
	ds_load_2addr_b64 v[30:33], v23 offset0:1 offset1:2
	ds_load_2addr_b64 v[34:37], v23 offset0:3 offset1:4
	;; [unrolled: 1-line block ×3, first 2 shown]
	s_waitcnt lgkmcnt(2)
	v_dual_add_f32 v3, v30, v3 :: v_dual_add_f32 v4, v31, v4
	s_delay_alu instid0(VALU_DEP_1) | instskip(SKIP_1) | instid1(VALU_DEP_1)
	v_dual_add_f32 v3, v3, v32 :: v_dual_add_f32 v4, v4, v33
	s_waitcnt lgkmcnt(1)
	v_dual_add_f32 v3, v3, v34 :: v_dual_add_f32 v4, v4, v35
	s_delay_alu instid0(VALU_DEP_1) | instskip(SKIP_1) | instid1(VALU_DEP_1)
	v_dual_add_f32 v3, v3, v36 :: v_dual_add_f32 v4, v4, v37
	s_waitcnt lgkmcnt(0)
	v_dual_add_f32 v3, v3, v38 :: v_dual_add_f32 v4, v4, v39
	s_delay_alu instid0(VALU_DEP_1) | instskip(NEXT) | instid1(VALU_DEP_1)
	v_dual_add_f32 v3, v3, v40 :: v_dual_add_f32 v4, v4, v41
	v_dual_add_f32 v26, v3, v5 :: v_dual_add_f32 v27, v4, v6
.LBB0_56:
	s_or_b32 exec_lo, exec_lo, s6
	s_lshl_b64 s[16:17], s[24:25], 8
	s_delay_alu instid0(SALU_CYCLE_1) | instskip(SKIP_2) | instid1(VALU_DEP_2)
	v_add_co_u32 v5, vcc_lo, v1, s16
	v_add_co_ci_u32_e32 v6, vcc_lo, s17, v2, vcc_lo
	s_barrier
	v_add_co_u32 v3, vcc_lo, 0x100, v5
	s_delay_alu instid0(VALU_DEP_2)
	v_add_co_ci_u32_e32 v4, vcc_lo, 0, v6, vcc_lo
	s_and_b32 vcc_lo, exec_lo, s20
	buffer_gl0_inv
	s_cbranch_vccz .LBB0_74
; %bb.57:
	v_sub_co_u32 v1, vcc_lo, v3, v9
	s_ashr_i32 s9, s8, 31
	v_subrev_co_ci_u32_e32 v2, vcc_lo, 0, v4, vcc_lo
	s_lshl_b64 s[16:17], s[8:9], 3
	v_or_b32_e32 v30, 32, v0
	v_add_co_u32 v1, vcc_lo, v1, s16
	s_delay_alu instid0(VALU_DEP_3) | instskip(SKIP_1) | instid1(VALU_DEP_2)
	v_add_co_ci_u32_e32 v2, vcc_lo, s17, v2, vcc_lo
	s_sub_i32 s9, s8, 32
	v_add_co_u32 v1, vcc_lo, 0xfffffef8, v1
	s_delay_alu instid0(VALU_DEP_2) | instskip(SKIP_3) | instid1(VALU_DEP_4)
	v_add_co_ci_u32_e32 v2, vcc_lo, -1, v2, vcc_lo
	v_cmp_gt_i32_e32 vcc_lo, s8, v30
	v_cmp_le_i32_e64 s6, s9, v7
	v_add_lshl_u32 v30, v8, v0, 3
	v_dual_cndmask_b32 v2, v2, v4 :: v_dual_cndmask_b32 v1, v1, v3
	s_delay_alu instid0(VALU_DEP_3) | instskip(NEXT) | instid1(SALU_CYCLE_1)
	s_and_saveexec_b32 s21, s6
	s_xor_b32 s6, exec_lo, s21
	s_cbranch_execz .LBB0_59
; %bb.58:
	v_mov_b32_e32 v31, 0
	s_delay_alu instid0(VALU_DEP_1)
	v_mov_b32_e32 v32, v31
	ds_store_b64 v30, v[31:32]
.LBB0_59:
	s_and_not1_saveexec_b32 s6, s6
	s_cbranch_execz .LBB0_61
; %bb.60:
	global_load_b64 v[31:32], v[1:2], off
	s_waitcnt vmcnt(0)
	ds_store_b64 v30, v[31:32]
.LBB0_61:
	s_or_b32 exec_lo, exec_lo, s6
	v_add_nc_u32_e32 v31, 8, v7
	s_delay_alu instid0(VALU_DEP_1) | instskip(NEXT) | instid1(VALU_DEP_1)
	v_cmp_le_i32_e64 s6, s9, v31
	s_and_saveexec_b32 s21, s6
	s_delay_alu instid0(SALU_CYCLE_1)
	s_xor_b32 s6, exec_lo, s21
	s_cbranch_execz .LBB0_63
; %bb.62:
	v_mul_u32_u24_e32 v32, 33, v31
	v_mov_b32_e32 v31, 0
	s_delay_alu instid0(VALU_DEP_2) | instskip(NEXT) | instid1(VALU_DEP_2)
	v_add_lshl_u32 v33, v32, v0, 3
	v_mov_b32_e32 v32, v31
	ds_store_b64 v33, v[31:32]
.LBB0_63:
	s_and_not1_saveexec_b32 s21, s6
	s_cbranch_execz .LBB0_65
; %bb.64:
	s_lshl_b64 s[22:23], s[24:25], 6
	s_delay_alu instid0(SALU_CYCLE_1) | instskip(NEXT) | instid1(VALU_DEP_1)
	v_add_co_u32 v31, s6, v1, s22
	v_add_co_ci_u32_e64 v32, s6, s23, v2, s6
	global_load_b64 v[31:32], v[31:32], off
	s_waitcnt vmcnt(0)
	ds_store_b64 v30, v[31:32] offset:2112
.LBB0_65:
	s_or_b32 exec_lo, exec_lo, s21
	v_add_nc_u32_e32 v31, 16, v7
	s_delay_alu instid0(VALU_DEP_1) | instskip(NEXT) | instid1(VALU_DEP_1)
	v_cmp_le_i32_e64 s6, s9, v31
	s_and_saveexec_b32 s21, s6
	s_delay_alu instid0(SALU_CYCLE_1)
	s_xor_b32 s6, exec_lo, s21
	s_cbranch_execz .LBB0_67
; %bb.66:
	v_mov_b32_e32 v31, 0
	s_delay_alu instid0(VALU_DEP_1)
	v_mov_b32_e32 v32, v31
	ds_store_b64 v30, v[31:32] offset:4224
.LBB0_67:
	s_and_not1_saveexec_b32 s21, s6
	s_cbranch_execz .LBB0_69
; %bb.68:
	s_lshl_b64 s[22:23], s[24:25], 7
	s_delay_alu instid0(SALU_CYCLE_1) | instskip(NEXT) | instid1(VALU_DEP_1)
	v_add_co_u32 v31, s6, v1, s22
	v_add_co_ci_u32_e64 v32, s6, s23, v2, s6
	global_load_b64 v[31:32], v[31:32], off
	s_waitcnt vmcnt(0)
	ds_store_b64 v30, v[31:32] offset:4224
.LBB0_69:
	s_or_b32 exec_lo, exec_lo, s21
	v_add_nc_u32_e32 v31, 24, v7
	s_delay_alu instid0(VALU_DEP_1) | instskip(NEXT) | instid1(VALU_DEP_1)
	v_cmp_le_i32_e64 s6, s9, v31
	s_and_saveexec_b32 s9, s6
	s_delay_alu instid0(SALU_CYCLE_1)
	s_xor_b32 s6, exec_lo, s9
	s_cbranch_execz .LBB0_71
; %bb.70:
	v_mov_b32_e32 v31, 0
	s_delay_alu instid0(VALU_DEP_1)
	v_mov_b32_e32 v32, v31
	ds_store_b64 v30, v[31:32] offset:6336
                                        ; implicit-def: $vgpr30
.LBB0_71:
	s_and_not1_saveexec_b32 s6, s6
	s_cbranch_execz .LBB0_73
; %bb.72:
	v_mad_u64_u32 v[31:32], null, 0xc0, s24, v[1:2]
	s_delay_alu instid0(VALU_DEP_1) | instskip(NEXT) | instid1(VALU_DEP_1)
	v_mad_u64_u32 v[33:34], null, 0xc0, s25, v[32:33]
	v_mov_b32_e32 v32, v33
	global_load_b64 v[31:32], v[31:32], off
	s_waitcnt vmcnt(0)
	ds_store_b64 v30, v[31:32] offset:6336
.LBB0_73:
	s_or_b32 exec_lo, exec_lo, s6
	v_add_co_u32 v1, s6, v1, v9
	s_delay_alu instid0(VALU_DEP_1) | instskip(NEXT) | instid1(VALU_DEP_2)
	v_add_co_ci_u32_e64 v2, s6, 0, v2, s6
	v_sub_co_u32 v1, s6, v1, s16
	s_delay_alu instid0(VALU_DEP_1) | instskip(NEXT) | instid1(VALU_DEP_2)
	v_subrev_co_ci_u32_e64 v2, s6, s17, v2, s6
	v_add_co_u32 v1, s6, 0x108, v1
	s_delay_alu instid0(VALU_DEP_1) | instskip(NEXT) | instid1(VALU_DEP_1)
	v_add_co_ci_u32_e64 v2, s6, 0, v2, s6
	v_dual_cndmask_b32 v1, v1, v3 :: v_dual_cndmask_b32 v2, v2, v4
	s_branch .LBB0_76
.LBB0_74:
                                        ; implicit-def: $vgpr1_vgpr2
	s_cbranch_execz .LBB0_76
; %bb.75:
	v_mad_u64_u32 v[1:2], null, 0xc0, s24, v[5:6]
	s_lshl_b64 s[16:17], s[24:25], 6
	v_add_lshl_u32 v36, v8, v0, 3
	s_delay_alu instid0(VALU_DEP_2) | instskip(SKIP_2) | instid1(VALU_DEP_2)
	v_mad_u64_u32 v[30:31], null, 0xc0, s25, v[2:3]
	v_add_co_u32 v31, vcc_lo, v5, s16
	v_add_co_ci_u32_e32 v32, vcc_lo, s17, v6, vcc_lo
	v_add_co_u32 v33, vcc_lo, v31, s16
	s_delay_alu instid0(VALU_DEP_2)
	v_add_co_ci_u32_e32 v34, vcc_lo, s17, v32, vcc_lo
	v_mov_b32_e32 v2, v30
	s_clause 0x3
	global_load_b64 v[5:6], v[5:6], off offset:256
	global_load_b64 v[30:31], v[31:32], off offset:256
	;; [unrolled: 1-line block ×4, first 2 shown]
	v_dual_mov_b32 v1, v3 :: v_dual_mov_b32 v2, v4
	s_waitcnt vmcnt(3)
	ds_store_b64 v36, v[5:6]
	s_waitcnt vmcnt(2)
	ds_store_b64 v36, v[30:31] offset:2112
	s_waitcnt vmcnt(1)
	ds_store_b64 v36, v[32:33] offset:4224
	;; [unrolled: 2-line block ×3, first 2 shown]
.LBB0_76:
	s_waitcnt lgkmcnt(0)
	s_barrier
	buffer_gl0_inv
	s_and_saveexec_b32 s6, s2
	s_delay_alu instid0(SALU_CYCLE_1)
	s_xor_b32 s2, exec_lo, s6
	s_cbranch_execnz .LBB0_105
; %bb.77:
	s_and_not1_saveexec_b32 s2, s2
	s_cbranch_execnz .LBB0_108
.LBB0_78:
	s_or_b32 exec_lo, exec_lo, s2
	s_and_saveexec_b32 s2, s3
	s_delay_alu instid0(SALU_CYCLE_1)
	s_xor_b32 s2, exec_lo, s2
	s_cbranch_execnz .LBB0_109
.LBB0_79:
	s_and_not1_saveexec_b32 s2, s2
	s_cbranch_execnz .LBB0_110
.LBB0_80:
	s_or_b32 exec_lo, exec_lo, s2
	s_and_saveexec_b32 s2, s4
	s_delay_alu instid0(SALU_CYCLE_1)
	s_xor_b32 s2, exec_lo, s2
	s_cbranch_execnz .LBB0_113
.LBB0_81:
	s_and_not1_saveexec_b32 s2, s2
	s_cbranch_execnz .LBB0_116
.LBB0_82:
	s_or_b32 exec_lo, exec_lo, s2
	s_and_saveexec_b32 s2, s5
	s_delay_alu instid0(SALU_CYCLE_1)
	s_xor_b32 s2, exec_lo, s2
	s_cbranch_execnz .LBB0_117
.LBB0_83:
	s_or_saveexec_b32 s2, s2
	v_add_nc_u32_e32 v19, 0x2380, v29
	s_xor_b32 exec_lo, exec_lo, s2
	s_cbranch_execz .LBB0_85
.LBB0_84:
	ds_load_b64 v[3:4], v18 offset:528
	s_waitcnt lgkmcnt(0)
	v_xor_b32_e32 v4, 0x80000000, v4
	ds_store_b64 v16, v[3:4] offset:24
.LBB0_85:
	s_or_b32 exec_lo, exec_lo, s2
	s_waitcnt lgkmcnt(0)
	s_barrier
	buffer_gl0_inv
	ds_load_b64 v[16:17], v11
	ds_load_b128 v[3:6], v19 offset:256
	ds_load_2addr_b64 v[29:32], v18 offset1:33
	ds_load_b128 v[33:36], v19 offset:272
	ds_load_b64 v[20:21], v18 offset:528
	v_cmp_eq_u32_e64 s2, 1, v7
	s_waitcnt lgkmcnt(0)
	s_barrier
	buffer_gl0_inv
	v_dual_mul_f32 v37, v4, v17 :: v_dual_mul_f32 v38, v6, v30
	v_dual_mul_f32 v17, v3, v17 :: v_dual_mul_f32 v30, v5, v30
	v_mul_f32_e32 v39, v34, v32
	s_delay_alu instid0(VALU_DEP_3) | instskip(SKIP_1) | instid1(VALU_DEP_4)
	v_fma_f32 v3, v3, v16, -v37
	v_mul_f32_e32 v32, v33, v32
	v_dual_fmac_f32 v17, v4, v16 :: v_dual_fmac_f32 v30, v6, v29
	v_fma_f32 v5, v5, v29, -v38
	s_delay_alu instid0(VALU_DEP_4) | instskip(NEXT) | instid1(VALU_DEP_4)
	v_add_f32_e32 v3, 0, v3
	v_fmac_f32_e32 v32, v34, v31
	v_mul_f32_e32 v4, v36, v21
	s_delay_alu instid0(VALU_DEP_3) | instskip(SKIP_4) | instid1(VALU_DEP_3)
	v_add_f32_e32 v3, v3, v5
	v_add_f32_e32 v6, 0, v17
	v_mul_f32_e32 v16, v35, v21
	v_fma_f32 v17, v33, v31, -v39
	v_fma_f32 v4, v35, v20, -v4
	v_dual_add_f32 v5, v6, v30 :: v_dual_fmac_f32 v16, v36, v20
	s_delay_alu instid0(VALU_DEP_3) | instskip(NEXT) | instid1(VALU_DEP_2)
	v_add_f32_e32 v3, v3, v17
	v_add_f32_e32 v5, v5, v32
	s_delay_alu instid0(VALU_DEP_2) | instskip(NEXT) | instid1(VALU_DEP_2)
	v_add_f32_e32 v3, v3, v4
	v_add_f32_e32 v4, v5, v16
	ds_store_b64 v28, v[3:4]
	s_waitcnt lgkmcnt(0)
	s_barrier
	buffer_gl0_inv
	s_and_saveexec_b32 s3, s2
	s_cbranch_execz .LBB0_87
; %bb.86:
	ds_load_2addr_b64 v[3:6], v23 offset1:7
	ds_load_2addr_b64 v[29:32], v23 offset0:1 offset1:2
	ds_load_2addr_b64 v[33:36], v23 offset0:3 offset1:4
	;; [unrolled: 1-line block ×3, first 2 shown]
	s_waitcnt lgkmcnt(2)
	v_dual_add_f32 v3, v29, v3 :: v_dual_add_f32 v4, v30, v4
	s_delay_alu instid0(VALU_DEP_1) | instskip(SKIP_1) | instid1(VALU_DEP_1)
	v_dual_add_f32 v3, v3, v31 :: v_dual_add_f32 v4, v4, v32
	s_waitcnt lgkmcnt(1)
	v_dual_add_f32 v3, v3, v33 :: v_dual_add_f32 v4, v4, v34
	s_delay_alu instid0(VALU_DEP_1) | instskip(SKIP_1) | instid1(VALU_DEP_1)
	v_dual_add_f32 v3, v3, v35 :: v_dual_add_f32 v4, v4, v36
	s_waitcnt lgkmcnt(0)
	v_dual_add_f32 v3, v3, v37 :: v_dual_add_f32 v4, v4, v38
	s_delay_alu instid0(VALU_DEP_1) | instskip(NEXT) | instid1(VALU_DEP_1)
	v_dual_add_f32 v3, v3, v39 :: v_dual_add_f32 v4, v4, v40
	v_dual_add_f32 v26, v3, v5 :: v_dual_add_f32 v27, v4, v6
.LBB0_87:
	s_or_b32 exec_lo, exec_lo, s3
	v_add_co_u32 v3, vcc_lo, 0xffffff00, v1
	v_add_co_ci_u32_e32 v4, vcc_lo, -1, v2, vcc_lo
	s_and_b32 vcc_lo, exec_lo, s20
	s_barrier
	buffer_gl0_inv
	s_cbranch_vccz .LBB0_120
; %bb.88:
	v_sub_co_u32 v5, vcc_lo, v1, v9
	s_ashr_i32 s9, s8, 31
	v_subrev_co_ci_u32_e32 v6, vcc_lo, 0, v2, vcc_lo
	s_lshl_b64 s[4:5], s[8:9], 3
	s_sub_i32 s6, s8, 32
	v_add_co_u32 v5, vcc_lo, v5, s4
	s_delay_alu instid0(VALU_DEP_2) | instskip(SKIP_1) | instid1(VALU_DEP_3)
	v_add_co_ci_u32_e32 v6, vcc_lo, s5, v6, vcc_lo
	v_cmp_le_i32_e64 s3, s6, v7
	v_add_co_u32 v5, vcc_lo, 0xfffffef8, v5
	s_delay_alu instid0(VALU_DEP_3) | instskip(SKIP_2) | instid1(VALU_DEP_3)
	v_add_co_ci_u32_e32 v6, vcc_lo, -1, v6, vcc_lo
	v_cmp_gt_i32_e32 vcc_lo, s8, v0
	v_add_lshl_u32 v16, v8, v0, 3
	v_dual_cndmask_b32 v6, v6, v4 :: v_dual_cndmask_b32 v5, v5, v3
	s_and_saveexec_b32 s9, s3
	s_delay_alu instid0(SALU_CYCLE_1)
	s_xor_b32 s3, exec_lo, s9
	s_cbranch_execz .LBB0_90
; %bb.89:
	v_mov_b32_e32 v20, 0
	s_delay_alu instid0(VALU_DEP_1)
	v_mov_b32_e32 v21, v20
	ds_store_b64 v16, v[20:21]
.LBB0_90:
	s_and_not1_saveexec_b32 s3, s3
	s_cbranch_execz .LBB0_92
; %bb.91:
	global_load_b64 v[20:21], v[5:6], off
	s_waitcnt vmcnt(0)
	ds_store_b64 v16, v[20:21]
.LBB0_92:
	s_or_b32 exec_lo, exec_lo, s3
	v_add_nc_u32_e32 v20, 8, v7
	s_delay_alu instid0(VALU_DEP_1) | instskip(NEXT) | instid1(VALU_DEP_1)
	v_cmp_le_i32_e64 s3, s6, v20
	s_and_saveexec_b32 s9, s3
	s_delay_alu instid0(SALU_CYCLE_1)
	s_xor_b32 s3, exec_lo, s9
	s_cbranch_execz .LBB0_94
; %bb.93:
	v_mul_u32_u24_e32 v17, 33, v20
	v_mov_b32_e32 v29, 0
	s_delay_alu instid0(VALU_DEP_2) | instskip(NEXT) | instid1(VALU_DEP_2)
	v_add_lshl_u32 v17, v17, v0, 3
	v_mov_b32_e32 v30, v29
	ds_store_b64 v17, v[29:30]
.LBB0_94:
	s_and_not1_saveexec_b32 s9, s3
	s_cbranch_execz .LBB0_96
; %bb.95:
	s_lshl_b64 s[16:17], s[24:25], 6
	s_delay_alu instid0(SALU_CYCLE_1) | instskip(NEXT) | instid1(VALU_DEP_1)
	v_add_co_u32 v29, s3, v5, s16
	v_add_co_ci_u32_e64 v30, s3, s17, v6, s3
	global_load_b64 v[29:30], v[29:30], off
	s_waitcnt vmcnt(0)
	ds_store_b64 v16, v[29:30] offset:2112
.LBB0_96:
	s_or_b32 exec_lo, exec_lo, s9
	v_add_nc_u32_e32 v21, 16, v7
	s_delay_alu instid0(VALU_DEP_1) | instskip(NEXT) | instid1(VALU_DEP_1)
	v_cmp_le_i32_e64 s3, s6, v21
	s_and_saveexec_b32 s9, s3
	s_delay_alu instid0(SALU_CYCLE_1)
	s_xor_b32 s3, exec_lo, s9
	s_cbranch_execz .LBB0_98
; %bb.97:
	v_mov_b32_e32 v29, 0
	s_delay_alu instid0(VALU_DEP_1)
	v_mov_b32_e32 v30, v29
	ds_store_b64 v16, v[29:30] offset:4224
.LBB0_98:
	s_and_not1_saveexec_b32 s9, s3
	s_cbranch_execz .LBB0_100
; %bb.99:
	s_lshl_b64 s[16:17], s[24:25], 7
	s_delay_alu instid0(SALU_CYCLE_1) | instskip(NEXT) | instid1(VALU_DEP_1)
	v_add_co_u32 v29, s3, v5, s16
	v_add_co_ci_u32_e64 v30, s3, s17, v6, s3
	global_load_b64 v[29:30], v[29:30], off
	s_waitcnt vmcnt(0)
	ds_store_b64 v16, v[29:30] offset:4224
.LBB0_100:
	s_or_b32 exec_lo, exec_lo, s9
	v_add_nc_u32_e32 v29, 24, v7
	s_delay_alu instid0(VALU_DEP_1) | instskip(NEXT) | instid1(VALU_DEP_1)
	v_cmp_le_i32_e64 s3, s6, v29
	s_and_saveexec_b32 s6, s3
	s_delay_alu instid0(SALU_CYCLE_1)
	s_xor_b32 s3, exec_lo, s6
	s_cbranch_execz .LBB0_102
; %bb.101:
	v_mov_b32_e32 v30, 0
	s_delay_alu instid0(VALU_DEP_1)
	v_mov_b32_e32 v31, v30
	ds_store_b64 v16, v[30:31] offset:6336
                                        ; implicit-def: $vgpr16
.LBB0_102:
	s_and_not1_saveexec_b32 s3, s3
	s_cbranch_execz .LBB0_104
; %bb.103:
	v_mad_u64_u32 v[30:31], null, 0xc0, s24, v[5:6]
	s_delay_alu instid0(VALU_DEP_1) | instskip(NEXT) | instid1(VALU_DEP_1)
	v_mov_b32_e32 v17, v31
	v_mad_u64_u32 v[31:32], null, 0xc0, s25, v[17:18]
	global_load_b64 v[30:31], v[30:31], off
	s_waitcnt vmcnt(0)
	ds_store_b64 v16, v[30:31] offset:6336
.LBB0_104:
	s_or_b32 exec_lo, exec_lo, s3
	v_add_co_u32 v5, s3, v5, v9
	s_delay_alu instid0(VALU_DEP_1) | instskip(NEXT) | instid1(VALU_DEP_2)
	v_add_co_ci_u32_e64 v6, s3, 0, v6, s3
	v_sub_co_u32 v5, s3, v5, s4
	s_delay_alu instid0(VALU_DEP_1) | instskip(NEXT) | instid1(VALU_DEP_2)
	v_subrev_co_ci_u32_e64 v6, s3, s5, v6, s3
	v_add_co_u32 v5, s3, v5, 8
	s_delay_alu instid0(VALU_DEP_1) | instskip(NEXT) | instid1(VALU_DEP_1)
	v_add_co_ci_u32_e64 v6, s3, 0, v6, s3
	v_dual_cndmask_b32 v16, v5, v3 :: v_dual_cndmask_b32 v17, v6, v4
	s_branch .LBB0_122
.LBB0_105:
	s_mov_b32 s6, exec_lo
	v_cmpx_eq_u32_e64 v19, v0
	s_cbranch_execz .LBB0_107
; %bb.106:
	v_mul_u32_u24_e32 v3, 34, v0
	s_delay_alu instid0(VALU_DEP_1)
	v_dual_mov_b32 v4, 0 :: v_dual_lshlrev_b32 v3, 3, v3
	ds_store_b32 v3, v4 offset:4
.LBB0_107:
	s_or_b32 exec_lo, exec_lo, s6
	s_and_not1_saveexec_b32 s2, s2
	s_cbranch_execz .LBB0_78
.LBB0_108:
	ds_load_b64 v[3:4], v11
	s_waitcnt lgkmcnt(0)
	v_xor_b32_e32 v4, 0x80000000, v4
	ds_store_b64 v16, v[3:4]
	s_or_b32 exec_lo, exec_lo, s2
	s_and_saveexec_b32 s2, s3
	s_delay_alu instid0(SALU_CYCLE_1)
	s_xor_b32 s2, exec_lo, s2
	s_cbranch_execz .LBB0_79
.LBB0_109:
	ds_load_b64 v[3:4], v18
                                        ; implicit-def: $vgpr17
	s_waitcnt lgkmcnt(0)
	v_xor_b32_e32 v4, 0x80000000, v4
	ds_store_b64 v16, v[3:4] offset:8
	s_and_not1_saveexec_b32 s2, s2
	s_cbranch_execz .LBB0_80
.LBB0_110:
	s_mov_b32 s3, exec_lo
	v_cmpx_eq_u32_e64 v17, v0
	s_cbranch_execz .LBB0_112
; %bb.111:
	v_mul_u32_u24_e32 v3, 34, v0
	s_delay_alu instid0(VALU_DEP_1)
	v_dual_mov_b32 v4, 0 :: v_dual_lshlrev_b32 v3, 3, v3
	ds_store_b32 v3, v4 offset:4
.LBB0_112:
	s_or_b32 exec_lo, exec_lo, s3
	s_delay_alu instid0(SALU_CYCLE_1) | instskip(SKIP_1) | instid1(SALU_CYCLE_1)
	s_or_b32 exec_lo, exec_lo, s2
	s_and_saveexec_b32 s2, s4
	s_xor_b32 s2, exec_lo, s2
	s_cbranch_execz .LBB0_81
.LBB0_113:
	s_mov_b32 s3, exec_lo
	v_cmpx_eq_u32_e64 v20, v0
	s_cbranch_execz .LBB0_115
; %bb.114:
	v_mul_u32_u24_e32 v3, 34, v0
	s_delay_alu instid0(VALU_DEP_1)
	v_dual_mov_b32 v4, 0 :: v_dual_lshlrev_b32 v3, 3, v3
	ds_store_b32 v3, v4 offset:4
.LBB0_115:
	s_or_b32 exec_lo, exec_lo, s3
	s_and_not1_saveexec_b32 s2, s2
	s_cbranch_execz .LBB0_82
.LBB0_116:
	ds_load_b64 v[3:4], v18 offset:264
	s_waitcnt lgkmcnt(0)
	v_xor_b32_e32 v4, 0x80000000, v4
	ds_store_b64 v16, v[3:4] offset:16
	s_or_b32 exec_lo, exec_lo, s2
	s_and_saveexec_b32 s2, s5
	s_delay_alu instid0(SALU_CYCLE_1)
	s_xor_b32 s2, exec_lo, s2
	s_cbranch_execz .LBB0_83
.LBB0_117:
	s_mov_b32 s3, exec_lo
	v_cmpx_eq_u32_e64 v21, v0
	s_cbranch_execz .LBB0_119
; %bb.118:
	v_mul_u32_u24_e32 v3, 34, v0
	s_delay_alu instid0(VALU_DEP_1)
	v_dual_mov_b32 v4, 0 :: v_dual_lshlrev_b32 v3, 3, v3
	ds_store_b32 v3, v4 offset:4
.LBB0_119:
	s_or_b32 exec_lo, exec_lo, s3
                                        ; implicit-def: $vgpr16
	s_or_saveexec_b32 s2, s2
	v_add_nc_u32_e32 v19, 0x2380, v29
	s_xor_b32 exec_lo, exec_lo, s2
	s_cbranch_execnz .LBB0_84
	s_branch .LBB0_85
.LBB0_120:
                                        ; implicit-def: $vgpr16_vgpr17
                                        ; implicit-def: $vgpr20
                                        ; implicit-def: $vgpr21
                                        ; implicit-def: $vgpr29
	s_cbranch_execz .LBB0_122
; %bb.121:
	v_mad_u64_u32 v[5:6], null, 0xc0, s24, v[1:2]
	s_lshl_b64 s[4:5], s[24:25], 6
	v_add_lshl_u32 v0, v8, v0, 3
	v_add_co_u32 v20, vcc_lo, v1, s4
	v_add_co_ci_u32_e32 v21, vcc_lo, s5, v2, vcc_lo
	s_delay_alu instid0(VALU_DEP_4) | instskip(NEXT) | instid1(VALU_DEP_3)
	v_mad_u64_u32 v[16:17], null, 0xc0, s25, v[6:7]
	v_add_co_u32 v29, vcc_lo, v20, s4
	s_delay_alu instid0(VALU_DEP_3) | instskip(NEXT) | instid1(VALU_DEP_3)
	v_add_co_ci_u32_e32 v30, vcc_lo, s5, v21, vcc_lo
	v_mov_b32_e32 v6, v16
	s_clause 0x3
	global_load_b64 v[1:2], v[1:2], off offset:-256
	global_load_b64 v[31:32], v[20:21], off offset:-256
	;; [unrolled: 1-line block ×4, first 2 shown]
	v_add_nc_u32_e32 v21, 16, v7
	v_dual_mov_b32 v17, v4 :: v_dual_add_nc_u32 v20, 8, v7
	v_dual_mov_b32 v16, v3 :: v_dual_add_nc_u32 v29, 24, v7
	s_waitcnt vmcnt(3)
	ds_store_b64 v0, v[1:2]
	s_waitcnt vmcnt(2)
	ds_store_b64 v0, v[31:32] offset:2112
	s_waitcnt vmcnt(1)
	ds_store_b64 v0, v[33:34] offset:4224
	;; [unrolled: 2-line block ×3, first 2 shown]
.LBB0_122:
	v_lshlrev_b32_e32 v0, 3, v7
	v_add_lshl_u32 v1, v20, v10, 3
	v_lshlrev_b32_e32 v2, 3, v20
	s_waitcnt lgkmcnt(0)
	s_barrier
	buffer_gl0_inv
	ds_load_b64 v[30:31], v28
	ds_load_b64 v[32:33], v0 offset:9088
	ds_load_b64 v[34:35], v1
	ds_load_b64 v[36:37], v2 offset:9088
	v_add_lshl_u32 v3, v21, v10, 3
	v_add_lshl_u32 v0, v29, v10, 3
	v_lshlrev_b32_e32 v4, 3, v21
	s_waitcnt lgkmcnt(0)
	v_mul_f32_e32 v46, v35, v37
	v_lshlrev_b32_e32 v1, 3, v29
	v_mul_f32_e32 v29, v31, v33
	v_mul_f32_e32 v31, v31, v32
	s_delay_alu instid0(VALU_DEP_2)
	v_fmac_f32_e32 v29, v30, v32
	v_fmac_f32_e32 v46, v34, v36
	ds_load_b64 v[38:39], v3
	ds_load_b64 v[40:41], v4 offset:9088
	ds_load_b64 v[42:43], v0
	ds_load_b64 v[44:45], v1 offset:9088
	ds_load_b64 v[20:21], v11
	ds_load_b128 v[8:11], v19 offset:256
	ds_load_2addr_b64 v[4:7], v18 offset1:33
	ds_load_b128 v[0:3], v19 offset:272
	ds_load_b64 v[18:19], v18 offset:528
	v_fma_f32 v30, v30, v33, -v31
	v_mul_f32_e32 v35, v35, v36
	s_waitcnt lgkmcnt(0)
	s_barrier
	buffer_gl0_inv
	v_add_f32_e32 v30, 0, v30
	v_fma_f32 v32, v34, v37, -v35
	s_delay_alu instid0(VALU_DEP_1) | instskip(SKIP_3) | instid1(VALU_DEP_4)
	v_dual_add_f32 v30, v30, v32 :: v_dual_mul_f32 v47, v39, v41
	v_mul_f32_e32 v39, v39, v40
	v_mul_f32_e32 v31, v43, v45
	v_mul_f32_e32 v33, v43, v44
	v_fmac_f32_e32 v47, v38, v40
	s_delay_alu instid0(VALU_DEP_4) | instskip(NEXT) | instid1(VALU_DEP_4)
	v_fma_f32 v34, v38, v41, -v39
	v_fmac_f32_e32 v31, v42, v44
	s_delay_alu instid0(VALU_DEP_4) | instskip(NEXT) | instid1(VALU_DEP_3)
	v_fma_f32 v32, v42, v45, -v33
	v_dual_add_f32 v30, v30, v34 :: v_dual_add_f32 v29, 0, v29
	s_delay_alu instid0(VALU_DEP_1) | instskip(NEXT) | instid1(VALU_DEP_1)
	v_dual_add_f32 v30, v30, v32 :: v_dual_add_f32 v29, v29, v46
	v_add_f32_e32 v29, v29, v47
	s_delay_alu instid0(VALU_DEP_1)
	v_add_f32_e32 v29, v29, v31
	ds_store_b64 v28, v[29:30]
	s_waitcnt lgkmcnt(0)
	s_barrier
	buffer_gl0_inv
	s_and_saveexec_b32 s3, s2
	s_cbranch_execz .LBB0_124
; %bb.123:
	ds_load_2addr_b64 v[29:32], v23 offset1:1
	ds_load_2addr_b64 v[33:36], v23 offset0:2 offset1:3
	ds_load_2addr_b64 v[37:40], v23 offset0:4 offset1:5
	s_waitcnt lgkmcnt(2)
	v_dual_add_f32 v26, v26, v29 :: v_dual_add_f32 v27, v27, v30
	s_delay_alu instid0(VALU_DEP_1) | instskip(SKIP_3) | instid1(VALU_DEP_1)
	v_dual_add_f32 v26, v26, v31 :: v_dual_add_f32 v27, v27, v32
	ds_load_2addr_b64 v[29:32], v23 offset0:6 offset1:7
	s_waitcnt lgkmcnt(2)
	v_dual_add_f32 v26, v26, v33 :: v_dual_add_f32 v27, v27, v34
	v_dual_add_f32 v26, v26, v35 :: v_dual_add_f32 v27, v27, v36
	s_waitcnt lgkmcnt(1)
	s_delay_alu instid0(VALU_DEP_1) | instskip(NEXT) | instid1(VALU_DEP_1)
	v_dual_add_f32 v26, v26, v37 :: v_dual_add_f32 v27, v27, v38
	v_dual_add_f32 v26, v26, v39 :: v_dual_add_f32 v27, v27, v40
	s_waitcnt lgkmcnt(0)
	s_delay_alu instid0(VALU_DEP_1) | instskip(NEXT) | instid1(VALU_DEP_1)
	v_dual_add_f32 v26, v26, v29 :: v_dual_add_f32 v27, v27, v30
	v_dual_add_f32 v26, v26, v31 :: v_dual_add_f32 v27, v27, v32
.LBB0_124:
	s_or_b32 exec_lo, exec_lo, s3
	v_mul_f32_e32 v29, v9, v21
	v_mul_f32_e32 v21, v8, v21
	v_dual_mul_f32 v30, v11, v5 :: v_dual_mul_f32 v31, v1, v7
	s_delay_alu instid0(VALU_DEP_3) | instskip(NEXT) | instid1(VALU_DEP_3)
	v_fma_f32 v8, v8, v20, -v29
	v_fmac_f32_e32 v21, v9, v20
	v_mul_f32_e32 v7, v0, v7
	s_delay_alu instid0(VALU_DEP_4)
	v_fma_f32 v0, v0, v6, -v31
	s_barrier
	v_dual_add_f32 v8, 0, v8 :: v_dual_mul_f32 v5, v10, v5
	v_fma_f32 v10, v10, v4, -v30
	buffer_gl0_inv
	v_dual_add_f32 v8, v8, v10 :: v_dual_mul_f32 v9, v3, v19
	v_fmac_f32_e32 v5, v11, v4
	s_delay_alu instid0(VALU_DEP_2) | instskip(NEXT) | instid1(VALU_DEP_3)
	v_dual_mul_f32 v11, v2, v19 :: v_dual_add_f32 v0, v8, v0
	v_fma_f32 v2, v2, v18, -v9
	s_delay_alu instid0(VALU_DEP_2) | instskip(NEXT) | instid1(VALU_DEP_2)
	v_fmac_f32_e32 v11, v3, v18
	v_add_f32_e32 v0, v0, v2
	v_dual_add_f32 v4, 0, v21 :: v_dual_fmac_f32 v7, v1, v6
	s_delay_alu instid0(VALU_DEP_1) | instskip(NEXT) | instid1(VALU_DEP_1)
	v_add_f32_e32 v1, v4, v5
	v_add_f32_e32 v1, v1, v7
	s_delay_alu instid0(VALU_DEP_1)
	v_add_f32_e32 v1, v1, v11
	ds_store_b64 v28, v[0:1]
	s_waitcnt lgkmcnt(0)
	s_barrier
	buffer_gl0_inv
	s_and_saveexec_b32 s2, s1
	s_cbranch_execz .LBB0_126
; %bb.125:
	ds_load_2addr_b64 v[0:3], v23 offset1:1
	ds_load_2addr_b64 v[4:7], v23 offset0:2 offset1:3
	ds_load_2addr_b64 v[8:11], v23 offset0:4 offset1:5
	s_waitcnt lgkmcnt(2)
	v_dual_add_f32 v0, v26, v0 :: v_dual_add_f32 v1, v27, v1
	s_delay_alu instid0(VALU_DEP_1) | instskip(SKIP_3) | instid1(VALU_DEP_1)
	v_dual_add_f32 v18, v0, v2 :: v_dual_add_f32 v19, v1, v3
	ds_load_2addr_b64 v[0:3], v23 offset0:6 offset1:7
	s_waitcnt lgkmcnt(2)
	v_dual_add_f32 v4, v18, v4 :: v_dual_add_f32 v5, v19, v5
	v_dual_add_f32 v4, v4, v6 :: v_dual_add_f32 v5, v5, v7
	s_waitcnt lgkmcnt(1)
	s_delay_alu instid0(VALU_DEP_1) | instskip(NEXT) | instid1(VALU_DEP_1)
	v_dual_add_f32 v4, v4, v8 :: v_dual_add_f32 v5, v5, v9
	v_dual_add_f32 v4, v4, v10 :: v_dual_add_f32 v5, v5, v11
	s_waitcnt lgkmcnt(0)
	s_delay_alu instid0(VALU_DEP_1) | instskip(NEXT) | instid1(VALU_DEP_1)
	v_dual_add_f32 v0, v4, v0 :: v_dual_add_f32 v1, v5, v1
	v_dual_add_f32 v26, v0, v2 :: v_dual_add_f32 v27, v1, v3
.LBB0_126:
	s_or_b32 exec_lo, exec_lo, s2
	s_mul_hi_u32 s1, s33, s15
	s_mul_i32 s28, s28, s15
	s_mul_i32 s2, s33, s15
	s_add_i32 s1, s1, s28
	s_mul_hi_u32 s3, s2, s7
	s_mul_i32 s1, s1, s7
	s_mul_i32 s2, s2, s7
	s_add_i32 s3, s3, s1
	s_mul_hi_i32 s5, s33, s14
	s_lshl_b64 s[2:3], s[2:3], 3
	s_mul_i32 s4, s33, s14
	s_add_u32 s1, s12, s2
	s_addc_u32 s2, s13, s3
	s_lshl_b64 s[4:5], s[4:5], 3
	v_lshlrev_b32_e32 v95, 3, v93
	s_add_u32 s3, s1, s4
	s_addc_u32 s6, s2, s5
	s_add_i32 s1, s14, 1
	s_delay_alu instid0(SALU_CYCLE_1)
	s_cmp_ge_u32 s1, s7
	s_barrier
	buffer_gl0_inv
	s_cbranch_scc1 .LBB0_184
; %bb.127:
	v_dual_mov_b32 v28, 0 :: v_dual_and_b32 v5, 48, v93
	v_lshlrev_b32_e32 v9, 5, v94
	v_and_b32_e32 v6, 15, v93
	v_or_b32_e32 v1, 0x78, v95
	s_delay_alu instid0(VALU_DEP_4)
	v_lshlrev_b32_e32 v0, 3, v5
	v_lshrrev_b32_e32 v7, 4, v22
	v_add_nc_u32_e32 v4, 0x100, v9
	s_mul_i32 s1, s10, s37
	v_mad_u32_u24 v102, 0x218, v6, v1
	v_mad_u32_u24 v101, 0x218, v6, v0
	v_lshlrev_b32_e32 v2, 5, v7
	v_mad_u64_u32 v[0:1], null, s24, v4, 0
	s_mul_hi_u32 s2, s10, s36
	v_add_nc_u32_e32 v8, 0x298, v9
	s_mul_i32 s4, s11, s36
	s_add_i32 s1, s2, s1
	v_mad_u32_u24 v103, 0x218, v6, v2
	s_add_i32 s5, s1, s4
	s_mul_i32 s4, s10, s36
	v_mad_u64_u32 v[2:3], null, s25, v4, v[1:2]
	v_mad_u64_u32 v[3:4], null, s24, v8, 0
	s_lshl_b64 s[4:5], s[4:5], 3
	v_mul_i32_i24_e32 v10, 0xffffffe8, v7
	v_sub_co_u32 v97, vcc_lo, v14, s4
	v_subrev_co_ci_u32_e32 v98, vcc_lo, s5, v15, vcc_lo
	v_sub_co_u32 v7, vcc_lo, v0, v12
	v_dual_mov_b32 v1, v4 :: v_dual_lshlrev_b32 v96, 2, v94
	v_sub_co_ci_u32_e32 v2, vcc_lo, v2, v13, vcc_lo
	v_or_b32_e32 v121, v5, v6
	v_add_nc_u32_e32 v6, 0x110, v9
	v_add_nc_u32_e32 v11, 0x290, v9
	s_delay_alu instid0(VALU_DEP_4) | instskip(SKIP_3) | instid1(VALU_DEP_3)
	v_mad_u64_u32 v[4:5], null, s25, v8, v[1:2]
	v_add_co_u32 v5, vcc_lo, v16, v7
	v_add_co_ci_u32_e32 v2, vcc_lo, v17, v2, vcc_lo
	v_add_nc_u32_e32 v99, 0x2180, v95
	v_add_co_u32 v122, vcc_lo, v5, 4
	v_mad_u64_u32 v[0:1], null, s24, v6, 0
	s_delay_alu instid0(VALU_DEP_4) | instskip(SKIP_4) | instid1(VALU_DEP_4)
	v_add_co_ci_u32_e32 v123, vcc_lo, 0, v2, vcc_lo
	v_mov_b32_e32 v2, v4
	v_mad_u64_u32 v[4:5], null, s24, v11, 0
	v_add_nc_u32_e32 v14, 0x108, v9
	v_sub_co_u32 v7, vcc_lo, v3, v12
	v_sub_co_ci_u32_e32 v8, vcc_lo, v2, v13, vcc_lo
	v_mad_u64_u32 v[2:3], null, s25, v6, v[1:2]
	v_mov_b32_e32 v1, v5
	v_mad_u64_u32 v[5:6], null, s24, v14, 0
	v_add_co_u32 v124, vcc_lo, v16, v7
	v_add_co_ci_u32_e32 v125, vcc_lo, v17, v8, vcc_lo
	s_delay_alu instid0(VALU_DEP_4) | instskip(NEXT) | instid1(VALU_DEP_4)
	v_mad_u64_u32 v[7:8], null, s25, v11, v[1:2]
	v_mov_b32_e32 v1, v6
	v_sub_co_u32 v6, vcc_lo, v0, v12
	v_add_nc_u32_e32 v11, 0x288, v9
	v_sub_co_ci_u32_e32 v8, vcc_lo, v2, v13, vcc_lo
	s_delay_alu instid0(VALU_DEP_4) | instskip(NEXT) | instid1(VALU_DEP_3)
	v_mad_u64_u32 v[2:3], null, s25, v14, v[1:2]
	v_mad_u64_u32 v[0:1], null, s24, v11, 0
	v_add_co_u32 v126, vcc_lo, v16, v6
	s_delay_alu instid0(VALU_DEP_4)
	v_add_co_ci_u32_e32 v127, vcc_lo, v17, v8, vcc_lo
	v_sub_co_u32 v6, vcc_lo, v4, v12
	v_add_nc_u32_e32 v8, 0x118, v9
	v_sub_co_ci_u32_e32 v7, vcc_lo, v7, v13, vcc_lo
	v_sub_co_u32 v5, vcc_lo, v5, v12
	v_sub_co_ci_u32_e32 v14, vcc_lo, v2, v13, vcc_lo
	v_mad_u64_u32 v[2:3], null, s25, v11, v[1:2]
	v_mad_u64_u32 v[3:4], null, s24, v8, 0
	v_add_co_u32 v128, vcc_lo, v16, v6
	v_add_co_ci_u32_e32 v129, vcc_lo, v17, v7, vcc_lo
	v_add_co_u32 v7, vcc_lo, v16, v5
	v_add_co_ci_u32_e32 v11, vcc_lo, v17, v14, vcc_lo
	v_sub_co_u32 v14, vcc_lo, v0, v12
	v_dual_mov_b32 v1, v4 :: v_dual_add_nc_u32 v100, 0x2380, v95
	v_sub_co_ci_u32_e32 v2, vcc_lo, v2, v13, vcc_lo
	v_add_nc_u32_e32 v18, 0x180, v9
	v_add_co_u32 v130, vcc_lo, v7, 4
	s_delay_alu instid0(VALU_DEP_3) | instskip(NEXT) | instid1(VALU_DEP_3)
	v_mad_u64_u32 v[4:5], null, s25, v8, v[1:2]
	v_mad_u64_u32 v[5:6], null, s24, v18, 0
	v_add_co_ci_u32_e32 v131, vcc_lo, 0, v11, vcc_lo
	v_add_co_u32 v132, vcc_lo, v16, v14
	v_add_co_ci_u32_e32 v133, vcc_lo, v17, v2, vcc_lo
	s_delay_alu instid0(VALU_DEP_4) | instskip(SKIP_2) | instid1(VALU_DEP_3)
	v_dual_mov_b32 v2, v6 :: v_dual_add_nc_u32 v15, 0x280, v9
	v_sub_co_u32 v8, vcc_lo, v3, v12
	v_sub_co_ci_u32_e32 v11, vcc_lo, v4, v13, vcc_lo
	v_mad_u64_u32 v[0:1], null, s24, v15, 0
	v_add_nc_u32_e32 v14, 0x190, v9
	v_add_nc_u32_e32 v19, 0x198, v9
	v_cmp_gt_u32_e64 s1, 64, v22
	v_or_b32_e32 v104, 1, v96
	v_or_b32_e32 v105, 2, v96
	;; [unrolled: 1-line block ×3, first 2 shown]
	v_mad_u64_u32 v[3:4], null, s25, v15, v[1:2]
	v_add_co_u32 v1, vcc_lo, v16, v8
	v_add_nc_u32_e32 v4, 0x218, v9
	v_mad_u32_u24 v108, 0x860, v94, v95
	v_add_nc_u32_e32 v112, 19, v96
	v_add_nc_u32_e32 v114, 33, v96
	v_mad_u64_u32 v[6:7], null, s25, v18, v[2:3]
	v_add_co_ci_u32_e32 v2, vcc_lo, v17, v11, vcc_lo
	v_add_co_u32 v134, vcc_lo, v1, 4
	v_add_nc_u32_e32 v116, 35, v96
	s_delay_alu instid0(VALU_DEP_3)
	v_add_co_ci_u32_e32 v135, vcc_lo, 0, v2, vcc_lo
	v_mad_u64_u32 v[1:2], null, s24, v4, 0
	v_sub_co_u32 v7, vcc_lo, v0, v12
	v_sub_co_ci_u32_e32 v8, vcc_lo, v3, v13, vcc_lo
	v_sub_co_u32 v3, vcc_lo, v5, v12
	v_sub_co_ci_u32_e32 v5, vcc_lo, v6, v13, vcc_lo
	v_dual_mov_b32 v0, v2 :: v_dual_add_nc_u32 v107, 0x2180, v9
	s_delay_alu instid0(VALU_DEP_3) | instskip(SKIP_1) | instid1(VALU_DEP_4)
	v_add_co_u32 v11, vcc_lo, v16, v3
	v_add_nc_u32_e32 v6, 0x188, v9
	v_add_co_ci_u32_e32 v5, vcc_lo, v17, v5, vcc_lo
	s_delay_alu instid0(VALU_DEP_4)
	v_mad_u64_u32 v[2:3], null, s25, v4, v[0:1]
	v_add_co_u32 v136, vcc_lo, v16, v7
	v_add_co_ci_u32_e32 v137, vcc_lo, v17, v8, vcc_lo
	v_mad_u64_u32 v[3:4], null, s24, v6, 0
	v_add_co_u32 v138, vcc_lo, v11, 4
	v_add_nc_u32_e32 v11, 0x210, v9
	v_add_co_ci_u32_e32 v139, vcc_lo, 0, v5, vcc_lo
	v_sub_co_u32 v7, vcc_lo, v1, v12
	v_sub_co_ci_u32_e32 v8, vcc_lo, v2, v13, vcc_lo
	s_delay_alu instid0(VALU_DEP_4) | instskip(SKIP_4) | instid1(VALU_DEP_4)
	v_mad_u64_u32 v[1:2], null, s24, v11, 0
	v_dual_mov_b32 v0, v4 :: v_dual_add_nc_u32 v109, 16, v96
	v_add_nc_u32_e32 v111, 18, v96
	v_add_co_u32 v140, vcc_lo, v16, v7
	v_add_co_ci_u32_e32 v141, vcc_lo, v17, v8, vcc_lo
	v_mad_u64_u32 v[4:5], null, s25, v6, v[0:1]
	v_mov_b32_e32 v0, v2
	v_mad_u64_u32 v[5:6], null, s24, v14, 0
	v_add_nc_u32_e32 v113, 32, v96
	v_sub_co_u32 v3, vcc_lo, v3, v12
	v_dual_mov_b32 v2, v4 :: v_dual_add_nc_u32 v115, 34, v96
	v_mad_u64_u32 v[7:8], null, s25, v11, v[0:1]
	v_mov_b32_e32 v0, v6
	s_delay_alu instid0(VALU_DEP_3) | instskip(SKIP_2) | instid1(VALU_DEP_3)
	v_sub_co_ci_u32_e32 v2, vcc_lo, v2, v13, vcc_lo
	v_add_nc_u32_e32 v11, 0x208, v9
	v_add_co_u32 v6, vcc_lo, v16, v3
	v_add_co_ci_u32_e32 v8, vcc_lo, v17, v2, vcc_lo
	v_mad_u64_u32 v[2:3], null, s25, v14, v[0:1]
	s_delay_alu instid0(VALU_DEP_4) | instskip(NEXT) | instid1(VALU_DEP_4)
	v_mad_u64_u32 v[3:4], null, s24, v11, 0
	v_add_co_u32 v142, vcc_lo, v6, 4
	s_delay_alu instid0(VALU_DEP_4)
	v_add_co_ci_u32_e32 v143, vcc_lo, 0, v8, vcc_lo
	v_add_nc_u32_e32 v117, 48, v96
	v_sub_co_u32 v8, vcc_lo, v1, v12
	v_dual_mov_b32 v0, v4 :: v_dual_mov_b32 v1, v2
	v_add_nc_u32_e32 v9, 0x200, v9
	v_sub_co_ci_u32_e32 v14, vcc_lo, v7, v13, vcc_lo
	v_sub_co_u32 v15, vcc_lo, v5, v12
	s_delay_alu instid0(VALU_DEP_4)
	v_sub_co_ci_u32_e32 v18, vcc_lo, v1, v13, vcc_lo
	v_mad_u64_u32 v[1:2], null, s25, v11, v[0:1]
	v_mad_u64_u32 v[4:5], null, s24, v19, 0
	;; [unrolled: 1-line block ×3, first 2 shown]
	v_add_co_u32 v144, vcc_lo, v16, v8
	v_add_co_ci_u32_e32 v145, vcc_lo, v17, v14, vcc_lo
	v_dual_mov_b32 v2, v1 :: v_dual_add_nc_u32 v119, 50, v96
	v_add_co_u32 v11, vcc_lo, v16, v15
	v_dual_mov_b32 v0, v5 :: v_dual_mov_b32 v1, v7
	v_add_co_ci_u32_e32 v14, vcc_lo, v17, v18, vcc_lo
	v_sub_co_u32 v5, vcc_lo, v3, v12
	v_sub_co_ci_u32_e32 v15, vcc_lo, v2, v13, vcc_lo
	s_delay_alu instid0(VALU_DEP_4) | instskip(SKIP_3) | instid1(VALU_DEP_4)
	v_mad_u64_u32 v[2:3], null, s25, v19, v[0:1]
	v_add_co_u32 v146, vcc_lo, v11, 4
	v_add_co_ci_u32_e32 v147, vcc_lo, 0, v14, vcc_lo
	v_add_co_u32 v148, vcc_lo, v16, v5
	v_mad_u64_u32 v[7:8], null, s25, v9, v[1:2]
	v_mov_b32_e32 v0, v2
	v_add_co_ci_u32_e32 v149, vcc_lo, v17, v15, vcc_lo
	v_add_nc_u32_e32 v110, 17, v96
	v_sub_co_u32 v2, vcc_lo, v4, v12
	v_mov_b32_e32 v1, v7
	v_sub_co_ci_u32_e32 v0, vcc_lo, v0, v13, vcc_lo
	v_sub_co_u32 v3, vcc_lo, v6, v12
	s_delay_alu instid0(VALU_DEP_3) | instskip(SKIP_1) | instid1(VALU_DEP_4)
	v_sub_co_ci_u32_e32 v1, vcc_lo, v1, v13, vcc_lo
	v_add_co_u32 v2, vcc_lo, v16, v2
	v_add_co_ci_u32_e32 v0, vcc_lo, v17, v0, vcc_lo
	s_delay_alu instid0(VALU_DEP_4) | instskip(NEXT) | instid1(VALU_DEP_4)
	v_add_co_u32 v3, vcc_lo, v16, v3
	v_add_co_ci_u32_e32 v1, vcc_lo, v17, v1, vcc_lo
	s_delay_alu instid0(VALU_DEP_4) | instskip(NEXT) | instid1(VALU_DEP_4)
	v_add_co_u32 v150, vcc_lo, v2, 4
	v_add_co_ci_u32_e32 v151, vcc_lo, 0, v0, vcc_lo
	s_delay_alu instid0(VALU_DEP_4)
	v_add_co_u32 v152, vcc_lo, v3, 4
	v_add_nc_u32_e32 v118, 49, v96
	v_add_nc_u32_e32 v120, 51, v96
	v_add_co_ci_u32_e32 v153, vcc_lo, 0, v1, vcc_lo
	v_add_nc_u32_e32 v154, v103, v10
	s_add_i32 s9, s7, -2
	s_add_i32 s10, s10, 64
	s_lshl_b64 s[4:5], s[24:25], 9
	s_cmp_eq_u32 s9, s14
	s_cselect_b32 s11, s18, 0
	s_and_saveexec_b32 s2, s0
	s_cbranch_execz .LBB0_132
.LBB0_128:
	v_cmp_le_i32_e32 vcc_lo, s11, v93
	s_cmp_lg_u32 s11, 0
	s_cselect_b32 s12, -1, 0
	s_delay_alu instid0(SALU_CYCLE_1) | instskip(NEXT) | instid1(SALU_CYCLE_1)
	s_and_b32 s12, s12, vcc_lo
	s_and_saveexec_b32 s13, s12
	s_delay_alu instid0(SALU_CYCLE_1)
	s_xor_b32 s12, exec_lo, s13
	s_cbranch_execz .LBB0_130
; %bb.129:
	v_mov_b32_e32 v29, v28
	ds_store_b64 v99, v[28:29]
.LBB0_130:
	s_and_not1_saveexec_b32 s12, s12
	s_cbranch_execz .LBB0_132
; %bb.131:
	s_mul_i32 s12, s10, s37
	s_mul_hi_u32 s13, s10, s36
	s_ashr_i32 s15, s10, 31
	s_add_i32 s12, s13, s12
	s_mul_i32 s15, s15, s36
	s_delay_alu instid0(SALU_CYCLE_1) | instskip(SKIP_1) | instid1(SALU_CYCLE_1)
	s_add_i32 s13, s12, s15
	s_mul_i32 s12, s10, s36
	s_lshl_b64 s[12:13], s[12:13], 3
	s_delay_alu instid0(SALU_CYCLE_1)
	v_add_co_u32 v0, vcc_lo, v97, s12
	v_add_co_ci_u32_e32 v1, vcc_lo, s13, v98, vcc_lo
	global_load_b64 v[0:1], v[0:1], off
	s_waitcnt vmcnt(0)
	ds_store_b64 v99, v[0:1]
.LBB0_132:                              ; =>This Inner Loop Header: Depth=1
	s_or_b32 exec_lo, exec_lo, s2
	s_cmp_eq_u32 s11, 0
	v_add_co_u32 v0, vcc_lo, v122, v95
	s_cselect_b32 s12, -1, 0
	s_cmp_lg_u32 s11, 0
	v_add_co_ci_u32_e32 v1, vcc_lo, 0, v123, vcc_lo
	s_cselect_b32 s2, -1, 0
	s_waitcnt lgkmcnt(0)
	s_and_b32 vcc_lo, exec_lo, s2
	s_barrier
	buffer_gl0_inv
	s_cbranch_vccz .LBB0_140
; %bb.133:                              ;   in Loop: Header=BB0_132 Depth=1
	v_dual_mov_b32 v31, 0 :: v_dual_mov_b32 v30, 0
	v_mov_b32_e32 v29, 0
	s_mov_b32 s13, exec_lo
	v_cmpx_gt_i32_e64 s11, v96
	s_cbranch_execz .LBB0_135
; %bb.134:                              ;   in Loop: Header=BB0_132 Depth=1
	global_load_b64 v[29:30], v[0:1], off offset:-4
.LBB0_135:                              ;   in Loop: Header=BB0_132 Depth=1
	s_or_b32 exec_lo, exec_lo, s13
	v_mov_b32_e32 v32, 0
	s_mov_b32 s13, exec_lo
	v_cmpx_gt_i32_e64 s11, v104
	s_cbranch_execz .LBB0_137
; %bb.136:                              ;   in Loop: Header=BB0_132 Depth=1
	v_add_co_u32 v2, vcc_lo, v130, v95
	v_add_co_ci_u32_e32 v3, vcc_lo, 0, v131, vcc_lo
	global_load_b64 v[31:32], v[2:3], off offset:-4
.LBB0_137:                              ;   in Loop: Header=BB0_132 Depth=1
	s_or_b32 exec_lo, exec_lo, s13
	v_dual_mov_b32 v33, 0 :: v_dual_mov_b32 v34, 0
	s_mov_b32 s16, 0
	s_mov_b32 s13, exec_lo
	v_cmpx_gt_i32_e64 s11, v105
	s_cbranch_execz .LBB0_139
; %bb.138:                              ;   in Loop: Header=BB0_132 Depth=1
	v_add_co_u32 v2, vcc_lo, v126, v95
	v_add_co_ci_u32_e32 v3, vcc_lo, 0, v127, vcc_lo
	global_load_b64 v[33:34], v[2:3], off
.LBB0_139:                              ;   in Loop: Header=BB0_132 Depth=1
	s_or_b32 exec_lo, exec_lo, s13
	v_cmp_gt_i32_e64 s13, s11, v106
	s_mov_b32 s15, 0
	s_and_b32 vcc_lo, exec_lo, s16
	s_cbranch_vccnz .LBB0_141
	s_branch .LBB0_142
.LBB0_140:                              ;   in Loop: Header=BB0_132 Depth=1
	s_mov_b32 s13, 0
                                        ; implicit-def: $vgpr30
                                        ; implicit-def: $vgpr32
                                        ; implicit-def: $vgpr34
                                        ; implicit-def: $sgpr15
	s_cbranch_execz .LBB0_142
.LBB0_141:                              ;   in Loop: Header=BB0_132 Depth=1
	v_add_co_u32 v2, vcc_lo, v130, v95
	v_add_co_ci_u32_e32 v3, vcc_lo, 0, v131, vcc_lo
	v_add_co_u32 v4, vcc_lo, v126, v95
	v_add_co_ci_u32_e32 v5, vcc_lo, 0, v127, vcc_lo
	global_load_b64 v[29:30], v[0:1], off offset:-4
	global_load_b64 v[31:32], v[2:3], off offset:-4
	global_load_b64 v[33:34], v[4:5], off
	s_or_b32 s13, s13, exec_lo
                                        ; implicit-def: $sgpr15
.LBB0_142:                              ;   in Loop: Header=BB0_132 Depth=1
	v_dual_mov_b32 v35, s15 :: v_dual_mov_b32 v36, s15
	s_and_saveexec_b32 s15, s13
	s_cbranch_execz .LBB0_144
; %bb.143:                              ;   in Loop: Header=BB0_132 Depth=1
	v_add_co_u32 v0, vcc_lo, v134, v95
	v_add_co_ci_u32_e32 v1, vcc_lo, 0, v135, vcc_lo
	global_load_b64 v[35:36], v[0:1], off offset:-4
.LBB0_144:                              ;   in Loop: Header=BB0_132 Depth=1
	s_or_b32 exec_lo, exec_lo, s15
	ds_load_b64 v[0:1], v100
	ds_load_b64 v[37:38], v107
	v_cndmask_b32_e64 v77, 0, 1, s2
	s_waitcnt vmcnt(0) lgkmcnt(1)
	v_dual_mul_f32 v2, v30, v1 :: v_dual_mul_f32 v5, v32, v0
	v_dual_mul_f32 v3, v30, v0 :: v_dual_mul_f32 v4, v32, v1
	;; [unrolled: 1-line block ×4, first 2 shown]
	s_delay_alu instid0(VALU_DEP_4) | instskip(NEXT) | instid1(VALU_DEP_4)
	v_fmac_f32_e32 v2, v29, v0
	v_fma_f32 v3, v29, v1, -v3
	v_fmac_f32_e32 v4, v31, v0
	v_fma_f32 v5, v31, v1, -v5
	;; [unrolled: 2-line block ×4, first 2 shown]
	ds_store_b64 v108, v[2:3]
	ds_load_b64 v[43:44], v107 offset:8
	ds_store_b64 v108, v[4:5] offset:536
	ds_load_b64 v[41:42], v107 offset:16
	ds_store_b64 v108, v[6:7] offset:1072
	;; [unrolled: 2-line block ×3, first 2 shown]
	s_waitcnt lgkmcnt(0)
	s_barrier
	buffer_gl0_inv
	ds_load_2addr_b64 v[4:7], v103 offset1:1
	ds_load_2addr_b64 v[0:3], v103 offset0:2 offset1:3
	v_add_co_u32 v8, vcc_lo, v138, v95
	v_add_co_ci_u32_e32 v9, vcc_lo, 0, v139, vcc_lo
	s_and_not1_b32 vcc_lo, exec_lo, s2
	s_waitcnt lgkmcnt(0)
	s_barrier
	buffer_gl0_inv
	s_cbranch_vccnz .LBB0_152
; %bb.145:                              ;   in Loop: Header=BB0_132 Depth=1
	v_dual_mov_b32 v45, 0 :: v_dual_mov_b32 v48, 0
	v_mov_b32_e32 v47, 0
	s_mov_b32 s2, exec_lo
	v_cmpx_gt_i32_e64 s11, v109
	s_cbranch_execz .LBB0_147
; %bb.146:                              ;   in Loop: Header=BB0_132 Depth=1
	global_load_b64 v[47:48], v[8:9], off offset:-4
.LBB0_147:                              ;   in Loop: Header=BB0_132 Depth=1
	s_or_b32 exec_lo, exec_lo, s2
	v_mov_b32_e32 v46, 0
	s_mov_b32 s2, exec_lo
	v_cmpx_gt_i32_e64 s11, v110
	s_cbranch_execz .LBB0_149
; %bb.148:                              ;   in Loop: Header=BB0_132 Depth=1
	v_add_co_u32 v10, vcc_lo, v142, v95
	v_add_co_ci_u32_e32 v11, vcc_lo, 0, v143, vcc_lo
	global_load_b64 v[45:46], v[10:11], off offset:-4
.LBB0_149:                              ;   in Loop: Header=BB0_132 Depth=1
	s_or_b32 exec_lo, exec_lo, s2
	v_dual_mov_b32 v49, 0 :: v_dual_mov_b32 v50, 0
	s_mov_b32 s15, 0
	s_mov_b32 s2, exec_lo
	v_cmpx_gt_i32_e64 s11, v111
	s_cbranch_execz .LBB0_151
; %bb.150:                              ;   in Loop: Header=BB0_132 Depth=1
	v_add_co_u32 v10, vcc_lo, v146, v95
	v_add_co_ci_u32_e32 v11, vcc_lo, 0, v147, vcc_lo
	global_load_b64 v[49:50], v[10:11], off offset:-4
.LBB0_151:                              ;   in Loop: Header=BB0_132 Depth=1
	s_or_b32 exec_lo, exec_lo, s2
	v_cmp_gt_i32_e64 s2, s11, v112
	s_mov_b32 s13, 0
	s_and_b32 vcc_lo, exec_lo, s15
	s_cbranch_vccnz .LBB0_153
	s_branch .LBB0_154
.LBB0_152:                              ;   in Loop: Header=BB0_132 Depth=1
	s_mov_b32 s2, 0
                                        ; implicit-def: $vgpr48
                                        ; implicit-def: $vgpr46
                                        ; implicit-def: $vgpr50
                                        ; implicit-def: $sgpr13
	s_cbranch_execz .LBB0_154
.LBB0_153:                              ;   in Loop: Header=BB0_132 Depth=1
	v_add_co_u32 v10, vcc_lo, v142, v95
	v_add_co_ci_u32_e32 v11, vcc_lo, 0, v143, vcc_lo
	v_add_co_u32 v12, vcc_lo, v146, v95
	v_add_co_ci_u32_e32 v13, vcc_lo, 0, v147, vcc_lo
	global_load_b64 v[47:48], v[8:9], off offset:-4
	global_load_b64 v[45:46], v[10:11], off offset:-4
	;; [unrolled: 1-line block ×3, first 2 shown]
	s_or_b32 s2, s2, exec_lo
                                        ; implicit-def: $sgpr13
.LBB0_154:                              ;   in Loop: Header=BB0_132 Depth=1
	v_dual_mov_b32 v51, s13 :: v_dual_mov_b32 v52, s13
	s_and_saveexec_b32 s13, s2
	s_cbranch_execz .LBB0_156
; %bb.155:                              ;   in Loop: Header=BB0_132 Depth=1
	v_add_co_u32 v8, vcc_lo, v150, v95
	v_add_co_ci_u32_e32 v9, vcc_lo, 0, v151, vcc_lo
	global_load_b64 v[51:52], v[8:9], off offset:-4
.LBB0_156:                              ;   in Loop: Header=BB0_132 Depth=1
	s_or_b32 exec_lo, exec_lo, s13
	ds_load_b64 v[8:9], v100
	ds_load_b64 v[53:54], v107 offset:128
	v_cmp_ne_u32_e32 vcc_lo, 1, v77
	s_and_b32 vcc_lo, exec_lo, vcc_lo
	s_waitcnt vmcnt(0) lgkmcnt(1)
	v_dual_mul_f32 v10, v48, v9 :: v_dual_mul_f32 v13, v46, v8
	v_dual_mul_f32 v11, v48, v8 :: v_dual_mul_f32 v12, v46, v9
	;; [unrolled: 1-line block ×4, first 2 shown]
	s_delay_alu instid0(VALU_DEP_4) | instskip(NEXT) | instid1(VALU_DEP_4)
	v_fmac_f32_e32 v10, v47, v8
	v_fma_f32 v11, v47, v9, -v11
	v_fmac_f32_e32 v12, v45, v8
	v_fma_f32 v13, v45, v9, -v13
	;; [unrolled: 2-line block ×4, first 2 shown]
	ds_store_b64 v108, v[10:11]
	ds_load_b64 v[59:60], v107 offset:136
	ds_store_b64 v108, v[12:13] offset:536
	ds_load_b64 v[57:58], v107 offset:144
	ds_store_b64 v108, v[14:15] offset:1072
	ds_load_b64 v[55:56], v107 offset:152
	ds_store_b64 v108, v[16:17] offset:1608
	s_waitcnt lgkmcnt(0)
	s_barrier
	buffer_gl0_inv
	ds_load_2addr_b64 v[12:15], v103 offset1:1
	ds_load_2addr_b64 v[8:11], v103 offset0:2 offset1:3
	v_add_co_u32 v16, s2, v152, v95
	s_delay_alu instid0(VALU_DEP_1)
	v_add_co_ci_u32_e64 v17, s2, 0, v153, s2
	s_waitcnt lgkmcnt(0)
	s_barrier
	buffer_gl0_inv
	s_cbranch_vccnz .LBB0_164
; %bb.157:                              ;   in Loop: Header=BB0_132 Depth=1
	v_dual_mov_b32 v61, 0 :: v_dual_mov_b32 v64, 0
	v_mov_b32_e32 v63, 0
	s_mov_b32 s2, exec_lo
	v_cmpx_gt_i32_e64 s11, v113
	s_cbranch_execz .LBB0_159
; %bb.158:                              ;   in Loop: Header=BB0_132 Depth=1
	global_load_b64 v[63:64], v[16:17], off offset:-4
.LBB0_159:                              ;   in Loop: Header=BB0_132 Depth=1
	s_or_b32 exec_lo, exec_lo, s2
	v_mov_b32_e32 v62, 0
	s_mov_b32 s2, exec_lo
	v_cmpx_gt_i32_e64 s11, v114
	s_cbranch_execz .LBB0_161
; %bb.160:                              ;   in Loop: Header=BB0_132 Depth=1
	v_add_co_u32 v18, vcc_lo, v148, v95
	v_add_co_ci_u32_e32 v19, vcc_lo, 0, v149, vcc_lo
	global_load_b64 v[61:62], v[18:19], off
.LBB0_161:                              ;   in Loop: Header=BB0_132 Depth=1
	s_or_b32 exec_lo, exec_lo, s2
	v_dual_mov_b32 v65, 0 :: v_dual_mov_b32 v66, 0
	s_mov_b32 s15, 0
	s_mov_b32 s2, exec_lo
	v_cmpx_gt_i32_e64 s11, v115
	s_cbranch_execz .LBB0_163
; %bb.162:                              ;   in Loop: Header=BB0_132 Depth=1
	v_add_co_u32 v18, vcc_lo, v144, v95
	v_add_co_ci_u32_e32 v19, vcc_lo, 0, v145, vcc_lo
	global_load_b64 v[65:66], v[18:19], off
.LBB0_163:                              ;   in Loop: Header=BB0_132 Depth=1
	s_or_b32 exec_lo, exec_lo, s2
	v_cmp_gt_i32_e64 s2, s11, v116
	s_mov_b32 s13, 0
	s_and_b32 vcc_lo, exec_lo, s15
	s_cbranch_vccnz .LBB0_165
	s_branch .LBB0_166
.LBB0_164:                              ;   in Loop: Header=BB0_132 Depth=1
	s_mov_b32 s2, 0
                                        ; implicit-def: $vgpr64
                                        ; implicit-def: $vgpr62
                                        ; implicit-def: $vgpr66
                                        ; implicit-def: $sgpr13
	s_cbranch_execz .LBB0_166
.LBB0_165:                              ;   in Loop: Header=BB0_132 Depth=1
	v_add_co_u32 v18, vcc_lo, v148, v95
	v_add_co_ci_u32_e32 v19, vcc_lo, 0, v149, vcc_lo
	v_add_co_u32 v20, vcc_lo, v144, v95
	v_add_co_ci_u32_e32 v21, vcc_lo, 0, v145, vcc_lo
	global_load_b64 v[63:64], v[16:17], off offset:-4
	global_load_b64 v[61:62], v[18:19], off
	global_load_b64 v[65:66], v[20:21], off
	s_or_b32 s2, s2, exec_lo
                                        ; implicit-def: $sgpr13
.LBB0_166:                              ;   in Loop: Header=BB0_132 Depth=1
	v_dual_mov_b32 v67, s13 :: v_dual_mov_b32 v68, s13
	s_and_saveexec_b32 s13, s2
	s_cbranch_execz .LBB0_168
; %bb.167:                              ;   in Loop: Header=BB0_132 Depth=1
	v_add_co_u32 v16, vcc_lo, v140, v95
	v_add_co_ci_u32_e32 v17, vcc_lo, 0, v141, vcc_lo
	global_load_b64 v[67:68], v[16:17], off
.LBB0_168:                              ;   in Loop: Header=BB0_132 Depth=1
	s_or_b32 exec_lo, exec_lo, s13
	ds_load_b64 v[16:17], v100
	ds_load_b64 v[69:70], v107 offset:256
	v_cmp_ne_u32_e32 vcc_lo, 1, v77
	v_add_co_u32 v83, s2, v136, v95
	s_delay_alu instid0(VALU_DEP_1)
	v_add_co_ci_u32_e64 v84, s2, 0, v137, s2
	s_and_b32 vcc_lo, exec_lo, vcc_lo
	s_waitcnt vmcnt(0) lgkmcnt(1)
	v_dual_mul_f32 v18, v64, v17 :: v_dual_mul_f32 v21, v62, v16
	v_dual_mul_f32 v19, v64, v16 :: v_dual_mul_f32 v20, v62, v17
	;; [unrolled: 1-line block ×4, first 2 shown]
	s_delay_alu instid0(VALU_DEP_4) | instskip(NEXT) | instid1(VALU_DEP_4)
	v_fmac_f32_e32 v18, v63, v16
	v_fma_f32 v19, v63, v17, -v19
	v_fmac_f32_e32 v20, v61, v16
	v_fma_f32 v21, v61, v17, -v21
	;; [unrolled: 2-line block ×4, first 2 shown]
	ds_store_b64 v108, v[18:19]
	ds_load_b64 v[75:76], v107 offset:264
	ds_store_b64 v108, v[20:21] offset:536
	ds_load_b64 v[73:74], v107 offset:272
	ds_store_b64 v108, v[22:23] offset:1072
	;; [unrolled: 2-line block ×3, first 2 shown]
	s_waitcnt lgkmcnt(0)
	s_barrier
	buffer_gl0_inv
	ds_load_2addr_b64 v[20:23], v103 offset1:1
	ds_load_2addr_b64 v[16:19], v103 offset0:2 offset1:3
	s_waitcnt lgkmcnt(0)
	s_barrier
	buffer_gl0_inv
	s_cbranch_vccnz .LBB0_176
; %bb.169:                              ;   in Loop: Header=BB0_132 Depth=1
	v_dual_mov_b32 v79, 0 :: v_dual_mov_b32 v78, 0
	v_mov_b32_e32 v77, 0
	s_mov_b32 s2, exec_lo
	v_cmpx_gt_i32_e64 s11, v117
	s_cbranch_execz .LBB0_171
; %bb.170:                              ;   in Loop: Header=BB0_132 Depth=1
	global_load_b64 v[77:78], v[83:84], off
.LBB0_171:                              ;   in Loop: Header=BB0_132 Depth=1
	s_or_b32 exec_lo, exec_lo, s2
	v_mov_b32_e32 v80, 0
	s_mov_b32 s2, exec_lo
	v_cmpx_gt_i32_e64 s11, v118
	s_cbranch_execz .LBB0_173
; %bb.172:                              ;   in Loop: Header=BB0_132 Depth=1
	v_add_co_u32 v79, vcc_lo, v132, v95
	v_add_co_ci_u32_e32 v80, vcc_lo, 0, v133, vcc_lo
	global_load_b64 v[79:80], v[79:80], off
.LBB0_173:                              ;   in Loop: Header=BB0_132 Depth=1
	s_or_b32 exec_lo, exec_lo, s2
	v_dual_mov_b32 v81, 0 :: v_dual_mov_b32 v82, 0
	s_mov_b32 s15, 0
	s_mov_b32 s2, exec_lo
	v_cmpx_gt_i32_e64 s11, v119
	s_cbranch_execz .LBB0_175
; %bb.174:                              ;   in Loop: Header=BB0_132 Depth=1
	v_add_co_u32 v81, vcc_lo, v128, v95
	v_add_co_ci_u32_e32 v82, vcc_lo, 0, v129, vcc_lo
	global_load_b64 v[81:82], v[81:82], off
.LBB0_175:                              ;   in Loop: Header=BB0_132 Depth=1
	s_or_b32 exec_lo, exec_lo, s2
	v_cmp_gt_i32_e64 s2, s11, v120
	s_mov_b32 s13, 0
	s_and_b32 vcc_lo, exec_lo, s15
	s_cbranch_vccnz .LBB0_177
	s_branch .LBB0_178
.LBB0_176:                              ;   in Loop: Header=BB0_132 Depth=1
	s_mov_b32 s2, 0
                                        ; implicit-def: $vgpr78
                                        ; implicit-def: $vgpr80
                                        ; implicit-def: $vgpr82
                                        ; implicit-def: $sgpr13
	s_cbranch_execz .LBB0_178
.LBB0_177:                              ;   in Loop: Header=BB0_132 Depth=1
	s_waitcnt vmcnt(0)
	v_add_co_u32 v79, vcc_lo, v132, v95
	v_add_co_ci_u32_e32 v80, vcc_lo, 0, v133, vcc_lo
	v_add_co_u32 v81, vcc_lo, v128, v95
	v_add_co_ci_u32_e32 v82, vcc_lo, 0, v129, vcc_lo
	global_load_b64 v[77:78], v[83:84], off
	global_load_b64 v[79:80], v[79:80], off
	;; [unrolled: 1-line block ×3, first 2 shown]
	s_or_b32 s2, s2, exec_lo
                                        ; implicit-def: $sgpr13
.LBB0_178:                              ;   in Loop: Header=BB0_132 Depth=1
	v_dual_mov_b32 v83, s13 :: v_dual_mov_b32 v84, s13
	s_and_saveexec_b32 s13, s2
	s_cbranch_execz .LBB0_180
; %bb.179:                              ;   in Loop: Header=BB0_132 Depth=1
	v_add_co_u32 v83, vcc_lo, v124, v95
	v_add_co_ci_u32_e32 v84, vcc_lo, 0, v125, vcc_lo
	global_load_b64 v[83:84], v[83:84], off
.LBB0_180:                              ;   in Loop: Header=BB0_132 Depth=1
	s_or_b32 exec_lo, exec_lo, s13
	ds_load_b64 v[87:88], v100
	ds_load_b64 v[85:86], v107 offset:384
	v_add_f32_e32 v21, 0, v21
	v_cmp_gt_i32_e32 vcc_lo, s11, v93
	v_add_f32_e32 v20, 0, v20
	v_add_f32_e32 v12, 0, v12
	;; [unrolled: 1-line block ×3, first 2 shown]
	s_or_b32 s2, s12, vcc_lo
	s_delay_alu instid0(SALU_CYCLE_1) | instskip(NEXT) | instid1(VALU_DEP_2)
	s_and_b32 s11, s1, s2
	v_add_f32_e32 v12, v12, v14
	s_delay_alu instid0(VALU_DEP_2) | instskip(NEXT) | instid1(VALU_DEP_2)
	v_dual_add_f32 v4, v4, v6 :: v_dual_add_f32 v13, 0, v13
	v_add_f32_e32 v8, v12, v8
	s_waitcnt vmcnt(0) lgkmcnt(1)
	v_dual_mul_f32 v89, v78, v88 :: v_dual_mul_f32 v160, v84, v87
	v_dual_mul_f32 v90, v78, v87 :: v_dual_mul_f32 v155, v80, v88
	v_mul_f32_e32 v91, v80, v87
	v_mul_f32_e32 v157, v82, v88
	v_dual_mul_f32 v92, v82, v87 :: v_dual_mul_f32 v159, v84, v88
	v_fmac_f32_e32 v89, v77, v87
	v_fma_f32 v90, v77, v88, -v90
	v_fmac_f32_e32 v155, v79, v87
	v_fma_f32 v156, v79, v88, -v91
	;; [unrolled: 2-line block ×4, first 2 shown]
	ds_store_b64 v108, v[89:90]
	ds_load_b64 v[91:92], v107 offset:392
	ds_store_b64 v108, v[155:156] offset:536
	ds_load_b64 v[89:90], v107 offset:400
	ds_store_b64 v108, v[157:158] offset:1072
	ds_load_b64 v[87:88], v107 offset:408
	ds_store_b64 v108, v[159:160] offset:1608
	s_waitcnt lgkmcnt(0)
	s_barrier
	buffer_gl0_inv
	ds_load_2addr_b64 v[155:158], v103 offset1:1
	v_add_f32_e32 v159, v20, v22
	s_delay_alu instid0(VALU_DEP_1)
	v_add_f32_e32 v6, v159, v16
	v_add_f32_e32 v160, v21, v23
	ds_load_2addr_b64 v[20:23], v103 offset0:2 offset1:3
	v_add_f32_e32 v5, 0, v5
	s_waitcnt lgkmcnt(0)
	s_barrier
	buffer_gl0_inv
	v_add_f32_e32 v12, 0, v155
	v_dual_add_f32 v5, v5, v7 :: v_dual_add_f32 v14, 0, v156
	v_add_f32_e32 v13, v13, v15
	s_delay_alu instid0(VALU_DEP_2) | instskip(NEXT) | instid1(VALU_DEP_4)
	v_add_f32_e32 v15, v5, v1
	v_add_f32_e32 v5, v12, v157
	s_delay_alu instid0(VALU_DEP_4) | instskip(NEXT) | instid1(VALU_DEP_4)
	v_dual_add_f32 v7, v160, v17 :: v_dual_add_f32 v12, v14, v158
	v_add_f32_e32 v9, v13, v9
	v_dual_add_f32 v13, v4, v0 :: v_dual_add_f32 v0, v6, v18
	s_delay_alu instid0(VALU_DEP_3) | instskip(NEXT) | instid1(VALU_DEP_4)
	v_dual_add_f32 v6, v5, v20 :: v_dual_add_f32 v1, v7, v19
	v_add_f32_e32 v7, v12, v21
	s_delay_alu instid0(VALU_DEP_4) | instskip(NEXT) | instid1(VALU_DEP_3)
	v_dual_add_f32 v4, v8, v10 :: v_dual_add_f32 v5, v9, v11
	v_add_f32_e32 v6, v6, v22
	v_dual_add_f32 v2, v13, v2 :: v_dual_add_f32 v3, v15, v3
	s_delay_alu instid0(VALU_DEP_4)
	v_add_f32_e32 v7, v7, v23
	ds_store_2addr_b64 v154, v[2:3], v[4:5] offset1:16
	ds_store_2addr_b64 v154, v[0:1], v[6:7] offset0:32 offset1:48
	s_waitcnt lgkmcnt(0)
	s_barrier
	buffer_gl0_inv
	s_and_saveexec_b32 s2, s11
	s_cbranch_execz .LBB0_182
; %bb.181:                              ;   in Loop: Header=BB0_132 Depth=1
	ds_load_b64 v[11:12], v101
	ds_load_2addr_b64 v[0:3], v101 offset0:1 offset1:2
	ds_load_2addr_b64 v[4:7], v101 offset0:3 offset1:4
	s_waitcnt lgkmcnt(1)
	v_dual_add_f32 v0, v0, v11 :: v_dual_add_f32 v1, v1, v12
	ds_load_2addr_b64 v[8:11], v101 offset0:5 offset1:6
	v_add_f32_e32 v0, v0, v2
	v_add_f32_e32 v12, v1, v3
	s_waitcnt lgkmcnt(1)
	s_delay_alu instid0(VALU_DEP_2) | instskip(SKIP_3) | instid1(VALU_DEP_2)
	v_add_f32_e32 v4, v0, v4
	ds_load_2addr_b64 v[0:3], v101 offset0:7 offset1:8
	v_add_f32_e32 v5, v12, v5
	v_add_f32_e32 v4, v4, v6
	v_add_f32_e32 v12, v5, v7
	s_waitcnt lgkmcnt(1)
	s_delay_alu instid0(VALU_DEP_2) | instskip(SKIP_3) | instid1(VALU_DEP_2)
	v_add_f32_e32 v8, v4, v8
	ds_load_2addr_b64 v[4:7], v101 offset0:9 offset1:10
	v_add_f32_e32 v9, v12, v9
	v_add_f32_e32 v8, v8, v10
	;; [unrolled: 1-line block ×3, first 2 shown]
	s_waitcnt lgkmcnt(1)
	s_delay_alu instid0(VALU_DEP_2) | instskip(SKIP_4) | instid1(VALU_DEP_1)
	v_add_f32_e32 v0, v8, v0
	ds_load_2addr_b64 v[8:11], v101 offset0:11 offset1:12
	v_add_f32_e32 v1, v12, v1
	v_add_f32_e32 v12, v0, v2
	s_waitcnt lgkmcnt(1)
	v_add_f32_e32 v4, v12, v4
	s_delay_alu instid0(VALU_DEP_1) | instskip(SKIP_1) | instid1(VALU_DEP_1)
	v_add_f32_e32 v6, v4, v6
	s_waitcnt lgkmcnt(0)
	v_add_f32_e32 v6, v6, v8
	s_delay_alu instid0(VALU_DEP_1) | instskip(SKIP_3) | instid1(VALU_DEP_1)
	v_dual_add_f32 v8, v6, v10 :: v_dual_add_f32 v13, v1, v3
	ds_load_2addr_b64 v[0:3], v101 offset0:13 offset1:14
	v_add_nc_u32_e32 v6, s10, v121
	v_add_f32_e32 v5, v13, v5
	v_add_f32_e32 v7, v5, v7
	ds_load_b64 v[4:5], v102
	v_add_f32_e32 v7, v7, v9
	s_waitcnt lgkmcnt(1)
	s_delay_alu instid0(VALU_DEP_1) | instskip(NEXT) | instid1(VALU_DEP_1)
	v_dual_add_f32 v7, v7, v11 :: v_dual_add_f32 v0, v8, v0
	v_add_f32_e32 v1, v7, v1
	v_ashrrev_i32_e32 v7, 31, v6
	s_delay_alu instid0(VALU_DEP_2) | instskip(NEXT) | instid1(VALU_DEP_2)
	v_dual_add_f32 v2, v0, v2 :: v_dual_add_f32 v3, v1, v3
	v_lshlrev_b64 v[0:1], 3, v[6:7]
	s_waitcnt lgkmcnt(0)
	s_delay_alu instid0(VALU_DEP_2) | instskip(NEXT) | instid1(VALU_DEP_2)
	v_dual_add_f32 v2, v2, v4 :: v_dual_add_f32 v3, v3, v5
	v_add_co_u32 v0, vcc_lo, s3, v0
	s_delay_alu instid0(VALU_DEP_3)
	v_add_co_ci_u32_e32 v1, vcc_lo, s6, v1, vcc_lo
	global_store_b64 v[0:1], v[2:3], off
.LBB0_182:                              ;   in Loop: Header=BB0_132 Depth=1
	s_or_b32 exec_lo, exec_lo, s2
	v_dual_mul_f32 v0, v30, v38 :: v_dual_mul_f32 v3, v31, v44
	v_dual_mul_f32 v1, v29, v38 :: v_dual_mul_f32 v2, v32, v44
	;; [unrolled: 1-line block ×3, first 2 shown]
	s_delay_alu instid0(VALU_DEP_3) | instskip(NEXT) | instid1(VALU_DEP_3)
	v_fma_f32 v0, v29, v37, -v0
	v_dual_mul_f32 v8, v48, v54 :: v_dual_fmac_f32 v1, v30, v37
	s_delay_alu instid0(VALU_DEP_4) | instskip(SKIP_1) | instid1(VALU_DEP_4)
	v_fma_f32 v2, v31, v43, -v2
	v_dual_mul_f32 v5, v33, v42 :: v_dual_mul_f32 v6, v36, v40
	v_dual_add_f32 v0, v26, v0 :: v_dual_mul_f32 v9, v47, v54
	v_fma_f32 v4, v33, v41, -v4
	v_fmac_f32_e32 v3, v32, v43
	s_delay_alu instid0(VALU_DEP_3)
	v_dual_add_f32 v1, v27, v1 :: v_dual_add_f32 v0, v0, v2
	v_mul_f32_e32 v2, v46, v60
	v_fma_f32 v6, v35, v39, -v6
	v_fmac_f32_e32 v5, v34, v41
	v_fmac_f32_e32 v7, v36, v39
	v_dual_add_f32 v0, v0, v4 :: v_dual_add_f32 v1, v1, v3
	v_mul_f32_e32 v4, v45, v60
	v_fma_f32 v3, v47, v53, -v8
	v_fma_f32 v2, v45, v59, -v2
	s_delay_alu instid0(VALU_DEP_4) | instskip(SKIP_3) | instid1(VALU_DEP_3)
	v_add_f32_e32 v0, v0, v6
	v_dual_mul_f32 v6, v50, v58 :: v_dual_add_f32 v1, v1, v5
	v_dual_fmac_f32 v9, v48, v53 :: v_dual_fmac_f32 v4, v46, v59
	v_add_co_u32 v122, vcc_lo, v122, s4
	v_add_f32_e32 v1, v1, v7
	v_add_f32_e32 v0, v0, v3
	v_mul_f32_e32 v3, v52, v56
	v_fma_f32 v5, v49, v57, -v6
	v_add_co_ci_u32_e32 v123, vcc_lo, s5, v123, vcc_lo
	s_delay_alu instid0(VALU_DEP_4) | instskip(SKIP_3) | instid1(VALU_DEP_4)
	v_dual_add_f32 v1, v1, v9 :: v_dual_add_f32 v0, v0, v2
	v_mul_f32_e32 v2, v49, v58
	v_fma_f32 v3, v51, v55, -v3
	v_add_co_u32 v124, vcc_lo, v124, s4
	v_dual_add_f32 v0, v0, v5 :: v_dual_add_f32 v1, v1, v4
	s_delay_alu instid0(VALU_DEP_4) | instskip(SKIP_1) | instid1(VALU_DEP_3)
	v_dual_mul_f32 v5, v64, v70 :: v_dual_fmac_f32 v2, v50, v57
	v_mul_f32_e32 v4, v51, v56
	v_add_f32_e32 v0, v0, v3
	v_add_co_ci_u32_e32 v125, vcc_lo, s5, v125, vcc_lo
	s_delay_alu instid0(VALU_DEP_4) | instskip(SKIP_3) | instid1(VALU_DEP_4)
	v_fma_f32 v3, v63, v69, -v5
	v_mul_f32_e32 v5, v62, v76
	v_dual_add_f32 v1, v1, v2 :: v_dual_fmac_f32 v4, v52, v55
	v_add_co_u32 v126, vcc_lo, v126, s4
	v_add_f32_e32 v0, v0, v3
	s_delay_alu instid0(VALU_DEP_4)
	v_fma_f32 v3, v61, v75, -v5
	v_mul_f32_e32 v5, v66, v74
	v_dual_mul_f32 v2, v63, v70 :: v_dual_add_f32 v1, v1, v4
	v_mul_f32_e32 v4, v61, v76
	v_add_co_ci_u32_e32 v127, vcc_lo, s5, v127, vcc_lo
	v_add_co_u32 v128, vcc_lo, v128, s4
	s_delay_alu instid0(VALU_DEP_3) | instskip(SKIP_3) | instid1(VALU_DEP_3)
	v_fmac_f32_e32 v4, v62, v75
	v_fmac_f32_e32 v2, v64, v69
	v_add_co_ci_u32_e32 v129, vcc_lo, s5, v129, vcc_lo
	v_add_co_u32 v130, vcc_lo, v130, s4
	v_dual_add_f32 v1, v1, v2 :: v_dual_add_f32 v0, v0, v3
	v_fma_f32 v3, v65, v73, -v5
	v_dual_mul_f32 v5, v68, v72 :: v_dual_mul_f32 v2, v65, v74
	s_delay_alu instid0(VALU_DEP_3) | instskip(SKIP_1) | instid1(VALU_DEP_3)
	v_dual_add_f32 v1, v1, v4 :: v_dual_mul_f32 v4, v78, v86
	v_add_co_ci_u32_e32 v131, vcc_lo, s5, v131, vcc_lo
	v_fmac_f32_e32 v2, v66, v73
	v_add_co_u32 v132, vcc_lo, v132, s4
	v_add_co_ci_u32_e32 v133, vcc_lo, s5, v133, vcc_lo
	s_delay_alu instid0(VALU_DEP_3)
	v_dual_add_f32 v1, v1, v2 :: v_dual_add_f32 v0, v0, v3
	v_fma_f32 v3, v67, v71, -v5
	v_mul_f32_e32 v5, v67, v72
	v_fma_f32 v2, v77, v85, -v4
	v_add_co_u32 v134, vcc_lo, v134, s4
	v_add_co_ci_u32_e32 v135, vcc_lo, s5, v135, vcc_lo
	s_delay_alu instid0(VALU_DEP_4) | instskip(SKIP_2) | instid1(VALU_DEP_3)
	v_fmac_f32_e32 v5, v68, v71
	v_add_co_u32 v136, vcc_lo, v136, s4
	v_add_co_ci_u32_e32 v137, vcc_lo, s5, v137, vcc_lo
	v_dual_add_f32 v1, v1, v5 :: v_dual_add_f32 v0, v0, v3
	v_mul_f32_e32 v5, v82, v90
	v_mul_f32_e32 v3, v80, v92
	v_add_co_u32 v138, vcc_lo, v138, s4
	s_delay_alu instid0(VALU_DEP_4) | instskip(SKIP_1) | instid1(VALU_DEP_4)
	v_add_f32_e32 v0, v0, v2
	v_add_co_ci_u32_e32 v139, vcc_lo, s5, v139, vcc_lo
	v_fma_f32 v2, v79, v91, -v3
	v_dual_mul_f32 v3, v79, v92 :: v_dual_mul_f32 v4, v77, v86
	v_add_co_u32 v140, vcc_lo, v140, s4
	v_add_co_ci_u32_e32 v141, vcc_lo, s5, v141, vcc_lo
	s_delay_alu instid0(VALU_DEP_3) | instskip(SKIP_2) | instid1(VALU_DEP_3)
	v_dual_fmac_f32 v3, v80, v91 :: v_dual_fmac_f32 v4, v78, v85
	v_add_co_u32 v142, vcc_lo, v142, s4
	v_add_co_ci_u32_e32 v143, vcc_lo, s5, v143, vcc_lo
	v_dual_add_f32 v1, v1, v4 :: v_dual_add_f32 v0, v0, v2
	v_mul_f32_e32 v2, v81, v90
	v_add_co_u32 v144, vcc_lo, v144, s4
	s_delay_alu instid0(VALU_DEP_3)
	v_add_f32_e32 v1, v1, v3
	v_add_co_ci_u32_e32 v145, vcc_lo, s5, v145, vcc_lo
	v_add_co_u32 v146, vcc_lo, v146, s4
	v_fma_f32 v4, v81, v89, -v5
	v_dual_mul_f32 v5, v84, v88 :: v_dual_fmac_f32 v2, v82, v89
	v_mul_f32_e32 v6, v83, v88
	v_add_co_ci_u32_e32 v147, vcc_lo, s5, v147, vcc_lo
	v_add_co_u32 v148, vcc_lo, v148, s4
	s_delay_alu instid0(VALU_DEP_4)
	v_add_f32_e32 v1, v1, v2
	v_add_co_ci_u32_e32 v149, vcc_lo, s5, v149, vcc_lo
	v_add_f32_e32 v0, v0, v4
	v_fma_f32 v3, v83, v87, -v5
	v_fmac_f32_e32 v6, v84, v87
	v_add_co_u32 v150, vcc_lo, v150, s4
	v_add_co_ci_u32_e32 v151, vcc_lo, s5, v151, vcc_lo
	v_add_co_u32 v152, vcc_lo, v152, s4
	s_delay_alu instid0(VALU_DEP_4)
	v_dual_add_f32 v26, v0, v3 :: v_dual_add_f32 v27, v1, v6
	v_add_co_ci_u32_e32 v153, vcc_lo, s5, v153, vcc_lo
	s_add_i32 s11, s14, 2
	s_add_i32 s2, s14, 1
	;; [unrolled: 1-line block ×3, first 2 shown]
	s_cmp_ge_u32 s11, s7
	s_waitcnt_vscnt null, 0x0
	s_barrier
	buffer_gl0_inv
	s_cbranch_scc1 .LBB0_184
; %bb.183:                              ;   in Loop: Header=BB0_132 Depth=1
	s_mov_b32 s14, s2
	s_delay_alu instid0(SALU_CYCLE_1)
	s_cmp_eq_u32 s9, s14
	s_cselect_b32 s11, s18, 0
	s_and_saveexec_b32 s2, s0
	s_cbranch_execnz .LBB0_128
	s_branch .LBB0_132
.LBB0_184:
	v_cmp_gt_i32_e32 vcc_lo, s8, v93
	v_mad_u32_u24 v0, 0x218, v94, v95
	s_or_b32 s1, s19, vcc_lo
	ds_store_b64 v0, v[26:27]
	s_and_b32 s0, s0, s1
	s_waitcnt lgkmcnt(0)
	s_barrier
	buffer_gl0_inv
	s_and_saveexec_b32 s1, s0
	s_cbranch_execz .LBB0_186
; %bb.185:
	ds_load_2addr_b64 v[0:3], v95 offset1:67
	ds_load_2addr_b64 v[4:7], v95 offset0:134 offset1:201
	s_waitcnt lgkmcnt(1)
	v_dual_add_f32 v0, v2, v0 :: v_dual_add_f32 v1, v3, v1
	s_waitcnt lgkmcnt(0)
	s_delay_alu instid0(VALU_DEP_1) | instskip(SKIP_1) | instid1(VALU_DEP_2)
	v_dual_add_f32 v2, v0, v4 :: v_dual_add_f32 v3, v1, v5
	v_lshlrev_b64 v[0:1], 3, v[24:25]
	v_dual_add_f32 v2, v2, v6 :: v_dual_add_f32 v3, v3, v7
	s_delay_alu instid0(VALU_DEP_2) | instskip(NEXT) | instid1(VALU_DEP_3)
	v_add_co_u32 v0, vcc_lo, s3, v0
	v_add_co_ci_u32_e32 v1, vcc_lo, s6, v1, vcc_lo
	global_store_b64 v[0:1], v[2:3], off
.LBB0_186:
	s_nop 0
	s_sendmsg sendmsg(MSG_DEALLOC_VGPRS)
	s_endpgm
	.section	.rodata,"a",@progbits
	.p2align	6, 0x0
	.amdhsa_kernel _ZL26rocblas_hemvn_kernel_upperILb1ELi64ELi4ELi33ELi32ELi16ElPK19rocblas_complex_numIfES3_PS1_EviT6_lT7_lT5_lS6_lS7_lS5_lT8_i
		.amdhsa_group_segment_fixed_size 9600
		.amdhsa_private_segment_fixed_size 0
		.amdhsa_kernarg_size 376
		.amdhsa_user_sgpr_count 14
		.amdhsa_user_sgpr_dispatch_ptr 0
		.amdhsa_user_sgpr_queue_ptr 0
		.amdhsa_user_sgpr_kernarg_segment_ptr 1
		.amdhsa_user_sgpr_dispatch_id 0
		.amdhsa_user_sgpr_private_segment_size 0
		.amdhsa_wavefront_size32 1
		.amdhsa_uses_dynamic_stack 0
		.amdhsa_enable_private_segment 0
		.amdhsa_system_sgpr_workgroup_id_x 1
		.amdhsa_system_sgpr_workgroup_id_y 0
		.amdhsa_system_sgpr_workgroup_id_z 1
		.amdhsa_system_sgpr_workgroup_info 0
		.amdhsa_system_vgpr_workitem_id 1
		.amdhsa_next_free_vgpr 161
		.amdhsa_next_free_sgpr 44
		.amdhsa_reserve_vcc 1
		.amdhsa_float_round_mode_32 0
		.amdhsa_float_round_mode_16_64 0
		.amdhsa_float_denorm_mode_32 3
		.amdhsa_float_denorm_mode_16_64 3
		.amdhsa_dx10_clamp 1
		.amdhsa_ieee_mode 1
		.amdhsa_fp16_overflow 0
		.amdhsa_workgroup_processor_mode 1
		.amdhsa_memory_ordered 1
		.amdhsa_forward_progress 0
		.amdhsa_shared_vgpr_count 0
		.amdhsa_exception_fp_ieee_invalid_op 0
		.amdhsa_exception_fp_denorm_src 0
		.amdhsa_exception_fp_ieee_div_zero 0
		.amdhsa_exception_fp_ieee_overflow 0
		.amdhsa_exception_fp_ieee_underflow 0
		.amdhsa_exception_fp_ieee_inexact 0
		.amdhsa_exception_int_div_zero 0
	.end_amdhsa_kernel
	.section	.text._ZL26rocblas_hemvn_kernel_upperILb1ELi64ELi4ELi33ELi32ELi16ElPK19rocblas_complex_numIfES3_PS1_EviT6_lT7_lT5_lS6_lS7_lS5_lT8_i,"axG",@progbits,_ZL26rocblas_hemvn_kernel_upperILb1ELi64ELi4ELi33ELi32ELi16ElPK19rocblas_complex_numIfES3_PS1_EviT6_lT7_lT5_lS6_lS7_lS5_lT8_i,comdat
.Lfunc_end0:
	.size	_ZL26rocblas_hemvn_kernel_upperILb1ELi64ELi4ELi33ELi32ELi16ElPK19rocblas_complex_numIfES3_PS1_EviT6_lT7_lT5_lS6_lS7_lS5_lT8_i, .Lfunc_end0-_ZL26rocblas_hemvn_kernel_upperILb1ELi64ELi4ELi33ELi32ELi16ElPK19rocblas_complex_numIfES3_PS1_EviT6_lT7_lT5_lS6_lS7_lS5_lT8_i
                                        ; -- End function
	.section	.AMDGPU.csdata,"",@progbits
; Kernel info:
; codeLenInByte = 10720
; NumSgprs: 46
; NumVgprs: 161
; ScratchSize: 0
; MemoryBound: 1
; FloatMode: 240
; IeeeMode: 1
; LDSByteSize: 9600 bytes/workgroup (compile time only)
; SGPRBlocks: 5
; VGPRBlocks: 20
; NumSGPRsForWavesPerEU: 46
; NumVGPRsForWavesPerEU: 161
; Occupancy: 9
; WaveLimiterHint : 0
; COMPUTE_PGM_RSRC2:SCRATCH_EN: 0
; COMPUTE_PGM_RSRC2:USER_SGPR: 14
; COMPUTE_PGM_RSRC2:TRAP_HANDLER: 0
; COMPUTE_PGM_RSRC2:TGID_X_EN: 1
; COMPUTE_PGM_RSRC2:TGID_Y_EN: 0
; COMPUTE_PGM_RSRC2:TGID_Z_EN: 1
; COMPUTE_PGM_RSRC2:TIDIG_COMP_CNT: 1
	.section	.text._ZL36rocblas_hemvn_kernel_upper_block_sumILi64ElPK19rocblas_complex_numIfEPS1_S1_EviT1_lS5_lT2_lT0_lPT3_i,"axG",@progbits,_ZL36rocblas_hemvn_kernel_upper_block_sumILi64ElPK19rocblas_complex_numIfEPS1_S1_EviT1_lS5_lT2_lT0_lPT3_i,comdat
	.globl	_ZL36rocblas_hemvn_kernel_upper_block_sumILi64ElPK19rocblas_complex_numIfEPS1_S1_EviT1_lS5_lT2_lT0_lPT3_i ; -- Begin function _ZL36rocblas_hemvn_kernel_upper_block_sumILi64ElPK19rocblas_complex_numIfEPS1_S1_EviT1_lS5_lT2_lT0_lPT3_i
	.p2align	8
	.type	_ZL36rocblas_hemvn_kernel_upper_block_sumILi64ElPK19rocblas_complex_numIfEPS1_S1_EviT1_lS5_lT2_lT0_lPT3_i,@function
_ZL36rocblas_hemvn_kernel_upper_block_sumILi64ElPK19rocblas_complex_numIfEPS1_S1_EviT1_lS5_lT2_lT0_lPT3_i: ; @_ZL36rocblas_hemvn_kernel_upper_block_sumILi64ElPK19rocblas_complex_numIfEPS1_S1_EviT1_lS5_lT2_lT0_lPT3_i
; %bb.0:
	s_load_b256 s[4:11], s[0:1], 0x8
	s_waitcnt lgkmcnt(0)
	s_mul_i32 s3, s15, s7
	s_mul_hi_u32 s7, s15, s6
	s_mul_i32 s2, s15, s6
	s_add_i32 s3, s7, s3
	s_delay_alu instid0(SALU_CYCLE_1) | instskip(NEXT) | instid1(SALU_CYCLE_1)
	s_lshl_b64 s[2:3], s[2:3], 3
	s_add_u32 s2, s4, s2
	s_addc_u32 s3, s5, s3
	s_mul_i32 s4, s15, s11
	s_load_b64 s[16:17], s[2:3], 0x0
	s_mul_hi_u32 s3, s15, s10
	s_mul_i32 s2, s15, s10
	s_add_i32 s3, s3, s4
	s_delay_alu instid0(SALU_CYCLE_1) | instskip(NEXT) | instid1(SALU_CYCLE_1)
	s_lshl_b64 s[2:3], s[2:3], 3
	s_add_u32 s2, s8, s2
	s_addc_u32 s3, s9, s3
	s_load_b64 s[12:13], s[2:3], 0x0
	s_waitcnt lgkmcnt(0)
	s_or_b32 s2, s16, s17
	s_delay_alu instid0(SALU_CYCLE_1) | instskip(NEXT) | instid1(SALU_CYCLE_1)
	s_bitset0_b32 s2, 31
	s_cmp_eq_u32 s2, 0
	s_cselect_b32 s19, -1, 0
	s_cmp_lg_u32 s2, 0
	s_mov_b32 s2, -1
	s_cbranch_scc1 .LBB1_2
; %bb.1:
	v_cmp_neq_f32_e64 s2, s12, 1.0
	v_cmp_neq_f32_e64 s3, s13, 0
	s_delay_alu instid0(VALU_DEP_1)
	s_or_b32 s2, s2, s3
.LBB1_2:
	s_delay_alu instid0(SALU_CYCLE_1)
	s_and_not1_b32 vcc_lo, exec_lo, s2
	s_cbranch_vccnz .LBB1_19
; %bb.3:
	s_clause 0x2
	s_load_b256 s[4:11], s[0:1], 0x30
	s_load_b64 s[2:3], s[0:1], 0x28
	s_load_b32 s18, s[0:1], 0x0
	v_lshl_or_b32 v0, s14, 6, v0
	s_waitcnt lgkmcnt(0)
	s_mul_i32 s9, s15, s9
	s_mul_hi_u32 s20, s15, s8
	s_mul_i32 s8, s15, s8
	s_add_i32 s9, s20, s9
	s_delay_alu instid0(SALU_CYCLE_1) | instskip(NEXT) | instid1(SALU_CYCLE_1)
	s_lshl_b64 s[8:9], s[8:9], 3
	s_add_u32 s8, s2, s8
	s_addc_u32 s9, s3, s9
	s_lshl_b64 s[4:5], s[4:5], 3
	v_cmp_gt_i32_e64 s2, s18, v0
	s_add_u32 s3, s8, s4
	s_addc_u32 s4, s9, s5
	s_and_not1_b32 vcc_lo, exec_lo, s19
	s_mov_b32 s5, -1
	s_cbranch_vccnz .LBB1_9
; %bb.4:
	s_and_saveexec_b32 s5, s2
	s_cbranch_execz .LBB1_8
; %bb.5:
	v_ashrrev_i32_e32 v1, 31, v0
	v_mul_lo_u32 v3, v0, s7
	v_cmp_neq_f32_e64 s2, s12, 0
	v_cmp_neq_f32_e64 s8, s13, 0
	s_delay_alu instid0(VALU_DEP_4) | instskip(SKIP_1) | instid1(VALU_DEP_3)
	v_mul_lo_u32 v4, v1, s6
	v_mad_u64_u32 v[1:2], null, v0, s6, 0
	s_or_b32 s2, s2, s8
	s_delay_alu instid0(SALU_CYCLE_1) | instskip(NEXT) | instid1(VALU_DEP_1)
	s_and_not1_b32 vcc_lo, exec_lo, s2
	v_add3_u32 v2, v2, v3, v4
	v_dual_mov_b32 v3, 0 :: v_dual_mov_b32 v4, 0
	s_delay_alu instid0(VALU_DEP_2)
	v_lshlrev_b64 v[1:2], 3, v[1:2]
	s_cbranch_vccnz .LBB1_7
; %bb.6:
	s_delay_alu instid0(VALU_DEP_1) | instskip(NEXT) | instid1(VALU_DEP_2)
	v_add_co_u32 v3, vcc_lo, s3, v1
	v_add_co_ci_u32_e32 v4, vcc_lo, s4, v2, vcc_lo
	global_load_b64 v[5:6], v[3:4], off
	s_waitcnt vmcnt(0)
	v_mul_f32_e32 v4, s12, v6
	s_delay_alu instid0(VALU_DEP_1) | instskip(NEXT) | instid1(VALU_DEP_1)
	v_dual_mul_f32 v3, s13, v6 :: v_dual_fmac_f32 v4, s13, v5
	v_fma_f32 v3, v5, s12, -v3
.LBB1_7:
	s_delay_alu instid0(VALU_DEP_1) | instskip(NEXT) | instid1(VALU_DEP_2)
	v_add_co_u32 v1, vcc_lo, s3, v1
	v_add_co_ci_u32_e32 v2, vcc_lo, s4, v2, vcc_lo
	global_store_b64 v[1:2], v[3:4], off
.LBB1_8:
	s_or_b32 exec_lo, exec_lo, s5
	s_mov_b32 s5, 0
.LBB1_9:
	s_delay_alu instid0(SALU_CYCLE_1)
	s_and_not1_b32 vcc_lo, exec_lo, s5
	s_cbranch_vccnz .LBB1_19
; %bb.10:
	s_mov_b32 s2, exec_lo
	v_cmpx_gt_i32_e64 s18, v0
	s_cbranch_execz .LBB1_19
; %bb.11:
	v_ashrrev_i32_e32 v1, 31, v0
	v_dual_mov_b32 v4, 0 :: v_dual_mov_b32 v5, 0
	s_cmp_lt_i32 s14, 0
	s_cbranch_scc1 .LBB1_14
; %bb.12:
	s_load_b32 s0, s[0:1], 0x58
	s_ashr_i32 s19, s18, 31
	s_mul_hi_u32 s1, s18, s15
	s_mul_i32 s2, s19, s15
	v_lshlrev_b64 v[2:3], 3, v[0:1]
	s_add_i32 s1, s1, s2
	s_mul_i32 s2, s18, s15
	v_dual_mov_b32 v4, 0 :: v_dual_mov_b32 v5, 0
	s_waitcnt lgkmcnt(0)
	s_mul_i32 s1, s1, s0
	s_mul_hi_u32 s5, s2, s0
	s_mul_i32 s0, s2, s0
	s_add_i32 s1, s5, s1
	s_add_i32 s2, s14, 1
	s_lshl_b64 s[0:1], s[0:1], 3
	s_delay_alu instid0(SALU_CYCLE_1) | instskip(SKIP_4) | instid1(VALU_DEP_2)
	s_add_u32 s0, s10, s0
	s_addc_u32 s1, s11, s1
	v_add_co_u32 v2, vcc_lo, s0, v2
	v_add_co_ci_u32_e32 v3, vcc_lo, s1, v3, vcc_lo
	s_lshl_b64 s[0:1], s[18:19], 3
	v_add_co_u32 v2, vcc_lo, v2, 4
	s_delay_alu instid0(VALU_DEP_2)
	v_add_co_ci_u32_e32 v3, vcc_lo, 0, v3, vcc_lo
.LBB1_13:                               ; =>This Inner Loop Header: Depth=1
	global_load_b64 v[6:7], v[2:3], off offset:-4
	v_add_co_u32 v2, vcc_lo, v2, s0
	v_add_co_ci_u32_e32 v3, vcc_lo, s1, v3, vcc_lo
	s_add_i32 s2, s2, -1
	s_delay_alu instid0(SALU_CYCLE_1)
	s_cmp_eq_u32 s2, 0
	s_waitcnt vmcnt(0)
	v_dual_add_f32 v5, v5, v6 :: v_dual_add_f32 v4, v4, v7
	s_cbranch_scc0 .LBB1_13
.LBB1_14:
	s_delay_alu instid0(VALU_DEP_1)
	v_mul_f32_e32 v2, s16, v4
	v_mul_f32_e32 v3, s17, v4
	v_cmp_neq_f32_e64 s0, s12, 0
	v_cmp_neq_f32_e64 s1, s13, 0
	v_mul_lo_u32 v6, v1, s6
	v_fmac_f32_e32 v2, s17, v5
	v_mul_lo_u32 v7, v0, s7
	v_fma_f32 v1, v5, s16, -v3
	s_or_b32 s0, s0, s1
	s_delay_alu instid0(SALU_CYCLE_1)
	s_and_not1_b32 vcc_lo, exec_lo, s0
	s_mov_b32 s0, 0
	s_cbranch_vccz .LBB1_16
; %bb.15:
	v_mad_u64_u32 v[3:4], null, v0, s6, 0
	s_delay_alu instid0(VALU_DEP_1)
	v_add3_u32 v4, v4, v7, v6
	s_and_not1_b32 vcc_lo, exec_lo, s0
	s_cbranch_vccz .LBB1_17
	s_branch .LBB1_18
.LBB1_16:
                                        ; implicit-def: $vgpr3_vgpr4
.LBB1_17:
	v_mad_u64_u32 v[3:4], null, v0, s6, 0
	s_delay_alu instid0(VALU_DEP_1) | instskip(NEXT) | instid1(VALU_DEP_1)
	v_add3_u32 v4, v4, v7, v6
	v_lshlrev_b64 v[5:6], 3, v[3:4]
	s_delay_alu instid0(VALU_DEP_1) | instskip(NEXT) | instid1(VALU_DEP_2)
	v_add_co_u32 v5, vcc_lo, s3, v5
	v_add_co_ci_u32_e32 v6, vcc_lo, s4, v6, vcc_lo
	global_load_b64 v[5:6], v[5:6], off
	s_waitcnt vmcnt(0)
	v_mul_f32_e32 v0, s13, v6
	s_delay_alu instid0(VALU_DEP_1) | instskip(NEXT) | instid1(VALU_DEP_1)
	v_fma_f32 v0, v5, s12, -v0
	v_dual_mul_f32 v6, s12, v6 :: v_dual_add_f32 v1, v1, v0
	s_delay_alu instid0(VALU_DEP_1) | instskip(NEXT) | instid1(VALU_DEP_1)
	v_fmac_f32_e32 v6, s13, v5
	v_add_f32_e32 v2, v2, v6
.LBB1_18:
	s_delay_alu instid0(VALU_DEP_1) | instskip(NEXT) | instid1(VALU_DEP_1)
	v_lshlrev_b64 v[3:4], 3, v[3:4]
	v_add_co_u32 v3, vcc_lo, s3, v3
	s_delay_alu instid0(VALU_DEP_2)
	v_add_co_ci_u32_e32 v4, vcc_lo, s4, v4, vcc_lo
	global_store_b64 v[3:4], v[1:2], off
.LBB1_19:
	s_nop 0
	s_sendmsg sendmsg(MSG_DEALLOC_VGPRS)
	s_endpgm
	.section	.rodata,"a",@progbits
	.p2align	6, 0x0
	.amdhsa_kernel _ZL36rocblas_hemvn_kernel_upper_block_sumILi64ElPK19rocblas_complex_numIfEPS1_S1_EviT1_lS5_lT2_lT0_lPT3_i
		.amdhsa_group_segment_fixed_size 0
		.amdhsa_private_segment_fixed_size 0
		.amdhsa_kernarg_size 344
		.amdhsa_user_sgpr_count 14
		.amdhsa_user_sgpr_dispatch_ptr 0
		.amdhsa_user_sgpr_queue_ptr 0
		.amdhsa_user_sgpr_kernarg_segment_ptr 1
		.amdhsa_user_sgpr_dispatch_id 0
		.amdhsa_user_sgpr_private_segment_size 0
		.amdhsa_wavefront_size32 1
		.amdhsa_uses_dynamic_stack 0
		.amdhsa_enable_private_segment 0
		.amdhsa_system_sgpr_workgroup_id_x 1
		.amdhsa_system_sgpr_workgroup_id_y 0
		.amdhsa_system_sgpr_workgroup_id_z 1
		.amdhsa_system_sgpr_workgroup_info 0
		.amdhsa_system_vgpr_workitem_id 0
		.amdhsa_next_free_vgpr 8
		.amdhsa_next_free_sgpr 21
		.amdhsa_reserve_vcc 1
		.amdhsa_float_round_mode_32 0
		.amdhsa_float_round_mode_16_64 0
		.amdhsa_float_denorm_mode_32 3
		.amdhsa_float_denorm_mode_16_64 3
		.amdhsa_dx10_clamp 1
		.amdhsa_ieee_mode 1
		.amdhsa_fp16_overflow 0
		.amdhsa_workgroup_processor_mode 1
		.amdhsa_memory_ordered 1
		.amdhsa_forward_progress 0
		.amdhsa_shared_vgpr_count 0
		.amdhsa_exception_fp_ieee_invalid_op 0
		.amdhsa_exception_fp_denorm_src 0
		.amdhsa_exception_fp_ieee_div_zero 0
		.amdhsa_exception_fp_ieee_overflow 0
		.amdhsa_exception_fp_ieee_underflow 0
		.amdhsa_exception_fp_ieee_inexact 0
		.amdhsa_exception_int_div_zero 0
	.end_amdhsa_kernel
	.section	.text._ZL36rocblas_hemvn_kernel_upper_block_sumILi64ElPK19rocblas_complex_numIfEPS1_S1_EviT1_lS5_lT2_lT0_lPT3_i,"axG",@progbits,_ZL36rocblas_hemvn_kernel_upper_block_sumILi64ElPK19rocblas_complex_numIfEPS1_S1_EviT1_lS5_lT2_lT0_lPT3_i,comdat
.Lfunc_end1:
	.size	_ZL36rocblas_hemvn_kernel_upper_block_sumILi64ElPK19rocblas_complex_numIfEPS1_S1_EviT1_lS5_lT2_lT0_lPT3_i, .Lfunc_end1-_ZL36rocblas_hemvn_kernel_upper_block_sumILi64ElPK19rocblas_complex_numIfEPS1_S1_EviT1_lS5_lT2_lT0_lPT3_i
                                        ; -- End function
	.section	.AMDGPU.csdata,"",@progbits
; Kernel info:
; codeLenInByte = 912
; NumSgprs: 23
; NumVgprs: 8
; ScratchSize: 0
; MemoryBound: 0
; FloatMode: 240
; IeeeMode: 1
; LDSByteSize: 0 bytes/workgroup (compile time only)
; SGPRBlocks: 2
; VGPRBlocks: 0
; NumSGPRsForWavesPerEU: 23
; NumVGPRsForWavesPerEU: 8
; Occupancy: 16
; WaveLimiterHint : 0
; COMPUTE_PGM_RSRC2:SCRATCH_EN: 0
; COMPUTE_PGM_RSRC2:USER_SGPR: 14
; COMPUTE_PGM_RSRC2:TRAP_HANDLER: 0
; COMPUTE_PGM_RSRC2:TGID_X_EN: 1
; COMPUTE_PGM_RSRC2:TGID_Y_EN: 0
; COMPUTE_PGM_RSRC2:TGID_Z_EN: 1
; COMPUTE_PGM_RSRC2:TIDIG_COMP_CNT: 0
	.section	.text._ZL26rocblas_hemvn_kernel_upperILb1ELi64ELi4ELi33ELi32ELi16EiPK19rocblas_complex_numIfES3_PS1_EviT6_lT7_lT5_lS6_lS7_lS5_lT8_i,"axG",@progbits,_ZL26rocblas_hemvn_kernel_upperILb1ELi64ELi4ELi33ELi32ELi16EiPK19rocblas_complex_numIfES3_PS1_EviT6_lT7_lT5_lS6_lS7_lS5_lT8_i,comdat
	.globl	_ZL26rocblas_hemvn_kernel_upperILb1ELi64ELi4ELi33ELi32ELi16EiPK19rocblas_complex_numIfES3_PS1_EviT6_lT7_lT5_lS6_lS7_lS5_lT8_i ; -- Begin function _ZL26rocblas_hemvn_kernel_upperILb1ELi64ELi4ELi33ELi32ELi16EiPK19rocblas_complex_numIfES3_PS1_EviT6_lT7_lT5_lS6_lS7_lS5_lT8_i
	.p2align	8
	.type	_ZL26rocblas_hemvn_kernel_upperILb1ELi64ELi4ELi33ELi32ELi16EiPK19rocblas_complex_numIfES3_PS1_EviT6_lT7_lT5_lS6_lS7_lS5_lT8_i,@function
_ZL26rocblas_hemvn_kernel_upperILb1ELi64ELi4ELi33ELi32ELi16EiPK19rocblas_complex_numIfES3_PS1_EviT6_lT7_lT5_lS6_lS7_lS5_lT8_i: ; @_ZL26rocblas_hemvn_kernel_upperILb1ELi64ELi4ELi33ELi32ELi16EiPK19rocblas_complex_numIfES3_PS1_EviT6_lT7_lT5_lS6_lS7_lS5_lT8_i
; %bb.0:
	s_load_b64 s[4:5], s[0:1], 0x84
	s_add_u32 s2, s0, 0x78
	s_addc_u32 s3, s1, 0
	s_waitcnt lgkmcnt(0)
	s_lshr_b32 s6, s4, 16
	s_and_b32 s4, s4, 0xffff
	s_and_b32 s5, s5, 0xffff
	s_mul_i32 s4, s6, s4
	s_delay_alu instid0(SALU_CYCLE_1) | instskip(NEXT) | instid1(SALU_CYCLE_1)
	s_mul_i32 s4, s4, s5
	s_cmpk_lg_i32 s4, 0x100
	s_cbranch_scc1 .LBB2_186
; %bb.1:
	s_load_b256 s[16:23], s[0:1], 0x8
	s_waitcnt lgkmcnt(0)
	s_mul_i32 s4, s15, s19
	s_mul_hi_u32 s5, s15, s18
	s_delay_alu instid0(SALU_CYCLE_1) | instskip(SKIP_1) | instid1(SALU_CYCLE_1)
	s_add_i32 s5, s5, s4
	s_mul_i32 s4, s15, s18
	s_lshl_b64 s[4:5], s[4:5], 3
	s_delay_alu instid0(SALU_CYCLE_1)
	s_add_u32 s4, s16, s4
	s_addc_u32 s5, s17, s5
	s_load_b64 s[12:13], s[4:5], 0x0
	s_load_b256 s[4:11], s[0:1], 0x50
	s_waitcnt lgkmcnt(0)
	s_or_b32 s12, s12, s13
	s_mov_b32 s13, -1
	s_bitset0_b32 s12, 31
	s_delay_alu instid0(SALU_CYCLE_1) | instskip(SKIP_1) | instid1(SALU_CYCLE_1)
	s_cmp_lg_u32 s12, 0
	s_cselect_b32 s12, -1, 0
	s_and_b32 vcc_lo, exec_lo, s12
	s_cbranch_vccnz .LBB2_3
; %bb.2:
	s_mul_i32 s9, s15, s9
	s_mul_hi_u32 s13, s15, s8
	s_mul_i32 s8, s15, s8
	s_add_i32 s9, s13, s9
	s_delay_alu instid0(SALU_CYCLE_1) | instskip(NEXT) | instid1(SALU_CYCLE_1)
	s_lshl_b64 s[8:9], s[8:9], 3
	s_add_u32 s6, s6, s8
	s_addc_u32 s7, s7, s9
	s_load_b64 s[6:7], s[6:7], 0x0
	s_waitcnt lgkmcnt(0)
	v_cmp_neq_f32_e64 s6, s6, 1.0
	v_cmp_neq_f32_e64 s7, s7, 0
	s_delay_alu instid0(VALU_DEP_1)
	s_or_b32 s13, s6, s7
.LBB2_3:
	s_delay_alu instid0(SALU_CYCLE_1)
	s_and_not1_b32 vcc_lo, exec_lo, s13
	s_cbranch_vccnz .LBB2_186
; %bb.4:
	s_and_not1_b32 vcc_lo, exec_lo, s12
	s_cbranch_vccnz .LBB2_186
; %bb.5:
	s_clause 0x2
	s_load_b128 s[16:19], s[0:1], 0x30
	s_load_b64 s[8:9], s[0:1], 0x40
	s_load_b32 s7, s[0:1], 0x48
	s_mul_i32 s5, s15, s5
	s_mul_hi_u32 s6, s15, s4
	s_mul_i32 s4, s15, s4
	s_add_i32 s5, s6, s5
	v_and_b32_e32 v25, 0x3ff, v0
	s_lshl_b64 s[4:5], s[4:5], 3
	s_load_b32 s24, s[0:1], 0x0
	s_load_b32 s26, s[2:3], 0x0
	v_bfe_u32 v95, v0, 10, 10
	s_waitcnt lgkmcnt(0)
	s_add_u32 s6, s18, s4
	s_addc_u32 s12, s19, s5
	s_lshl_b64 s[4:5], s[8:9], 3
	s_delay_alu instid0(SALU_CYCLE_1) | instskip(SKIP_2) | instid1(SALU_CYCLE_1)
	s_add_u32 s4, s6, s4
	s_addc_u32 s5, s12, s5
	s_lshl_b32 s12, s14, 6
	v_add_nc_u32_e32 v24, s12, v25
	s_ashr_i32 s25, s24, 31
	s_add_i32 s3, s26, -1
	s_lshr_b32 s2, s25, 26
	s_delay_alu instid0(VALU_DEP_1) | instskip(SKIP_1) | instid1(SALU_CYCLE_1)
	v_mul_lo_u32 v1, v24, s7
	s_add_i32 s2, s24, s2
	s_and_not1_b32 s2, s2, 63
	s_delay_alu instid0(SALU_CYCLE_1) | instskip(SKIP_2) | instid1(VALU_DEP_2)
	s_sub_i32 s27, s24, s2
	v_cmp_eq_u32_e64 s2, 0, v95
	s_cmp_eq_u32 s14, s3
	v_ashrrev_i32_e32 v2, 31, v1
	s_mov_b32 s3, -1
	s_cselect_b32 s8, s27, 0
	s_delay_alu instid0(VALU_DEP_1) | instskip(NEXT) | instid1(VALU_DEP_1)
	v_lshlrev_b64 v[1:2], 3, v[1:2]
	v_add_co_u32 v12, vcc_lo, s4, v1
	s_delay_alu instid0(VALU_DEP_2)
	v_add_co_ci_u32_e32 v13, vcc_lo, s5, v2, vcc_lo
	s_and_saveexec_b32 s4, s2
	s_cbranch_execz .LBB2_10
; %bb.6:
	v_cmp_le_i32_e32 vcc_lo, s8, v25
	s_cmp_lg_u32 s8, 0
	v_lshl_add_u32 v0, v25, 3, 0x2380
	s_cselect_b32 s5, -1, 0
	s_delay_alu instid0(SALU_CYCLE_1) | instskip(NEXT) | instid1(SALU_CYCLE_1)
	s_and_b32 s5, s5, vcc_lo
	s_and_saveexec_b32 s6, s5
	s_delay_alu instid0(SALU_CYCLE_1)
	s_xor_b32 s5, exec_lo, s6
	s_cbranch_execz .LBB2_8
; %bb.7:
	v_mov_b32_e32 v1, 0
	s_delay_alu instid0(VALU_DEP_1)
	v_mov_b32_e32 v2, v1
	ds_store_b64 v0, v[1:2]
                                        ; implicit-def: $vgpr0
.LBB2_8:
	s_and_not1_saveexec_b32 s5, s5
	s_cbranch_execz .LBB2_10
; %bb.9:
	global_load_b64 v[1:2], v[12:13], off
	s_waitcnt vmcnt(0)
	ds_store_b64 v0, v[1:2]
.LBB2_10:
	s_or_b32 exec_lo, exec_lo, s4
	s_load_b32 s18, s[0:1], 0x28
	v_lshl_add_u32 v22, v95, 6, v25
	v_and_b32_e32 v0, 31, v25
	s_mul_i32 s1, s15, s17
	s_mul_hi_u32 s4, s15, s16
	s_mul_i32 s0, s15, s16
	v_lshrrev_b32_e32 v7, 5, v22
	s_add_i32 s1, s4, s1
	v_lshlrev_b32_e32 v9, 3, v0
	s_lshl_b64 s[0:1], s[0:1], 3
	s_delay_alu instid0(SALU_CYCLE_1)
	s_add_u32 s4, s20, s0
	s_addc_u32 s5, s21, s1
	s_lshl_b64 s[0:1], s[22:23], 3
	v_mul_u32_u24_e32 v8, 33, v7
	s_add_u32 s4, s4, s0
	s_addc_u32 s5, s5, s1
	s_ashr_i32 s13, s12, 31
	s_delay_alu instid0(SALU_CYCLE_1)
	s_lshl_b64 s[0:1], s[12:13], 3
	s_waitcnt lgkmcnt(0)
	v_mad_u64_u32 v[1:2], null, v7, s18, v[0:1]
	s_add_u32 s4, s4, s0
	s_mul_i32 s0, s12, s18
	s_addc_u32 s5, s5, s1
	s_ashr_i32 s1, s0, 31
	s_delay_alu instid0(SALU_CYCLE_1) | instskip(NEXT) | instid1(VALU_DEP_1)
	s_lshl_b64 s[0:1], s[0:1], 3
	v_ashrrev_i32_e32 v2, 31, v1
	s_add_u32 s4, s0, s4
	s_addc_u32 s5, s1, s5
	s_cmp_eq_u32 s8, 0
	v_cmp_gt_i32_e64 s0, s8, v0
	v_lshlrev_b64 v[14:15], 3, v[1:2]
	s_cselect_b32 s28, -1, 0
	s_cmp_lg_u32 s8, 0
	s_cselect_b32 s13, -1, 0
	s_delay_alu instid0(SALU_CYCLE_1) | instskip(NEXT) | instid1(VALU_DEP_1)
	s_and_b32 vcc_lo, exec_lo, s13
	v_add_co_u32 v3, s1, s4, v14
	s_delay_alu instid0(VALU_DEP_1)
	v_add_co_ci_u32_e64 v4, s1, s5, v15, s1
	s_cbranch_vccz .LBB2_28
; %bb.11:
	s_delay_alu instid0(VALU_DEP_2) | instskip(SKIP_1) | instid1(VALU_DEP_2)
	v_sub_co_u32 v1, vcc_lo, v3, v9
	s_ashr_i32 s9, s8, 31
	v_subrev_co_ci_u32_e32 v2, vcc_lo, 0, v4, vcc_lo
	s_lshl_b64 s[4:5], s[8:9], 3
	v_add_lshl_u32 v5, v8, v0, 3
	v_add_co_u32 v1, vcc_lo, v1, s4
	s_delay_alu instid0(VALU_DEP_3) | instskip(SKIP_1) | instid1(VALU_DEP_2)
	v_add_co_ci_u32_e32 v2, vcc_lo, s5, v2, vcc_lo
	s_mov_b32 s1, exec_lo
	v_add_co_u32 v1, vcc_lo, v1, -8
	s_delay_alu instid0(VALU_DEP_2) | instskip(NEXT) | instid1(VALU_DEP_2)
	v_add_co_ci_u32_e32 v2, vcc_lo, -1, v2, vcc_lo
	v_cndmask_b32_e64 v1, v1, v3, s0
	s_delay_alu instid0(VALU_DEP_2)
	v_cndmask_b32_e64 v2, v2, v4, s0
	v_cmpx_le_i32_e64 s8, v7
	s_xor_b32 s1, exec_lo, s1
	s_cbranch_execz .LBB2_13
; %bb.12:
	v_mov_b32_e32 v10, 0
	s_delay_alu instid0(VALU_DEP_1)
	v_mov_b32_e32 v11, v10
	ds_store_b64 v5, v[10:11]
.LBB2_13:
	s_and_not1_saveexec_b32 s1, s1
	s_cbranch_execz .LBB2_15
; %bb.14:
	global_load_b64 v[10:11], v[1:2], off
	s_waitcnt vmcnt(0)
	ds_store_b64 v5, v[10:11]
.LBB2_15:
	s_or_b32 exec_lo, exec_lo, s1
	v_add_nc_u32_e32 v6, 8, v7
	s_mov_b32 s1, exec_lo
	s_delay_alu instid0(VALU_DEP_1)
	v_cmpx_le_i32_e64 s8, v6
	s_xor_b32 s1, exec_lo, s1
	s_cbranch_execz .LBB2_17
; %bb.16:
	v_mul_u32_u24_e32 v6, 33, v6
	v_mov_b32_e32 v10, 0
	s_delay_alu instid0(VALU_DEP_2) | instskip(NEXT) | instid1(VALU_DEP_2)
	v_add_lshl_u32 v6, v6, v0, 3
	v_mov_b32_e32 v11, v10
	ds_store_b64 v6, v[10:11]
.LBB2_17:
	s_and_not1_saveexec_b32 s1, s1
	s_cbranch_execz .LBB2_19
; %bb.18:
	s_lshl_b32 s16, s18, 3
	s_delay_alu instid0(SALU_CYCLE_1) | instskip(NEXT) | instid1(SALU_CYCLE_1)
	s_ashr_i32 s17, s16, 31
	s_lshl_b64 s[16:17], s[16:17], 3
	s_delay_alu instid0(SALU_CYCLE_1)
	v_add_co_u32 v10, vcc_lo, v1, s16
	v_add_co_ci_u32_e32 v11, vcc_lo, s17, v2, vcc_lo
	global_load_b64 v[10:11], v[10:11], off
	s_waitcnt vmcnt(0)
	ds_store_b64 v5, v[10:11] offset:2112
.LBB2_19:
	s_or_b32 exec_lo, exec_lo, s1
	v_add_nc_u32_e32 v6, 16, v7
	s_mov_b32 s1, exec_lo
	s_delay_alu instid0(VALU_DEP_1)
	v_cmpx_le_i32_e64 s8, v6
	s_xor_b32 s1, exec_lo, s1
	s_cbranch_execz .LBB2_21
; %bb.20:
	v_mul_u32_u24_e32 v6, 33, v6
	v_mov_b32_e32 v10, 0
	s_delay_alu instid0(VALU_DEP_2) | instskip(NEXT) | instid1(VALU_DEP_2)
	v_add_lshl_u32 v6, v6, v0, 3
	v_mov_b32_e32 v11, v10
	ds_store_b64 v6, v[10:11]
.LBB2_21:
	s_and_not1_saveexec_b32 s1, s1
	s_cbranch_execz .LBB2_23
; %bb.22:
	s_lshl_b32 s16, s18, 4
	s_delay_alu instid0(SALU_CYCLE_1) | instskip(NEXT) | instid1(SALU_CYCLE_1)
	s_ashr_i32 s17, s16, 31
	s_lshl_b64 s[16:17], s[16:17], 3
	s_delay_alu instid0(SALU_CYCLE_1)
	v_add_co_u32 v10, vcc_lo, v1, s16
	v_add_co_ci_u32_e32 v11, vcc_lo, s17, v2, vcc_lo
	global_load_b64 v[10:11], v[10:11], off
	s_waitcnt vmcnt(0)
	ds_store_b64 v5, v[10:11] offset:4224
.LBB2_23:
	s_or_b32 exec_lo, exec_lo, s1
	v_add_nc_u32_e32 v6, 24, v7
	s_mov_b32 s1, exec_lo
	s_delay_alu instid0(VALU_DEP_1)
	v_cmpx_le_i32_e64 s8, v6
	s_xor_b32 s1, exec_lo, s1
	s_cbranch_execz .LBB2_25
; %bb.24:
	v_mov_b32_e32 v10, 0
	s_delay_alu instid0(VALU_DEP_1)
	v_mov_b32_e32 v11, v10
	ds_store_b64 v5, v[10:11] offset:6336
                                        ; implicit-def: $vgpr5
.LBB2_25:
	s_and_not1_saveexec_b32 s1, s1
	s_cbranch_execz .LBB2_27
; %bb.26:
	s_mul_i32 s16, s18, 24
	s_delay_alu instid0(SALU_CYCLE_1) | instskip(NEXT) | instid1(SALU_CYCLE_1)
	s_ashr_i32 s17, s16, 31
	s_lshl_b64 s[16:17], s[16:17], 3
	s_delay_alu instid0(SALU_CYCLE_1)
	v_add_co_u32 v10, vcc_lo, v1, s16
	v_add_co_ci_u32_e32 v11, vcc_lo, s17, v2, vcc_lo
	global_load_b64 v[10:11], v[10:11], off
	s_waitcnt vmcnt(0)
	ds_store_b64 v5, v[10:11] offset:6336
.LBB2_27:
	s_or_b32 exec_lo, exec_lo, s1
	v_add_co_u32 v1, vcc_lo, v1, v9
	v_add_co_ci_u32_e32 v2, vcc_lo, 0, v2, vcc_lo
	s_delay_alu instid0(VALU_DEP_2) | instskip(NEXT) | instid1(VALU_DEP_2)
	v_sub_co_u32 v1, vcc_lo, v1, s4
	v_subrev_co_ci_u32_e32 v2, vcc_lo, s5, v2, vcc_lo
	s_delay_alu instid0(VALU_DEP_2) | instskip(NEXT) | instid1(VALU_DEP_2)
	v_add_co_u32 v1, vcc_lo, v1, 8
	v_add_co_ci_u32_e32 v2, vcc_lo, 0, v2, vcc_lo
	s_delay_alu instid0(VALU_DEP_2) | instskip(NEXT) | instid1(VALU_DEP_2)
	v_cndmask_b32_e64 v1, v1, v3, s0
	v_cndmask_b32_e64 v2, v2, v4, s0
	s_branch .LBB2_30
.LBB2_28:
                                        ; implicit-def: $vgpr1_vgpr2
	s_and_b32 vcc_lo, exec_lo, s3
	s_cbranch_vccz .LBB2_30
; %bb.29:
	s_lshl_b32 s0, s18, 3
	s_ashr_i32 s19, s18, 31
	s_ashr_i32 s1, s0, 31
	v_add_lshl_u32 v20, v8, v0, 3
	s_lshl_b64 s[0:1], s[0:1], 3
	s_delay_alu instid0(SALU_CYCLE_1)
	v_add_co_u32 v1, vcc_lo, v3, s0
	v_add_co_ci_u32_e32 v2, vcc_lo, s1, v4, vcc_lo
	s_lshl_b64 s[0:1], s[18:19], 6
	s_delay_alu instid0(VALU_DEP_2) | instid1(SALU_CYCLE_1)
	v_add_co_u32 v5, vcc_lo, v1, s0
	s_delay_alu instid0(VALU_DEP_2) | instskip(NEXT) | instid1(VALU_DEP_2)
	v_add_co_ci_u32_e32 v6, vcc_lo, s1, v2, vcc_lo
	v_add_co_u32 v10, vcc_lo, v5, s0
	s_delay_alu instid0(VALU_DEP_2)
	v_add_co_ci_u32_e32 v11, vcc_lo, s1, v6, vcc_lo
	s_clause 0x1
	global_load_b64 v[16:17], v[3:4], off
	global_load_b64 v[18:19], v[1:2], off
	;; [unrolled: 1-line block ×4, first 2 shown]
	v_dual_mov_b32 v1, v3 :: v_dual_mov_b32 v2, v4
	s_waitcnt vmcnt(3)
	ds_store_b64 v20, v[16:17]
	s_waitcnt vmcnt(2)
	ds_store_b64 v20, v[18:19] offset:2112
	s_waitcnt vmcnt(1)
	ds_store_b64 v20, v[5:6] offset:4224
	;; [unrolled: 2-line block ×3, first 2 shown]
.LBB2_30:
	v_lshlrev_b32_e32 v19, 2, v7
	s_waitcnt lgkmcnt(0)
	s_barrier
	buffer_gl0_inv
	v_cmp_le_u32_e64 s1, v19, v0
	s_delay_alu instid0(VALU_DEP_1) | instskip(NEXT) | instid1(SALU_CYCLE_1)
	s_and_saveexec_b32 s0, s1
	s_xor_b32 s0, exec_lo, s0
	s_cbranch_execz .LBB2_34
; %bb.31:
	s_mov_b32 s3, exec_lo
	v_cmpx_eq_u32_e64 v19, v0
	s_cbranch_execz .LBB2_33
; %bb.32:
	v_mul_u32_u24_e32 v3, 34, v0
	s_delay_alu instid0(VALU_DEP_1)
	v_dual_mov_b32 v4, 0 :: v_dual_lshlrev_b32 v3, 3, v3
	ds_store_b32 v3, v4 offset:4
.LBB2_33:
	s_or_b32 exec_lo, exec_lo, s3
.LBB2_34:
	s_or_saveexec_b32 s0, s0
	v_mul_u32_u24_e32 v10, 33, v0
	v_mul_u32_u24_e32 v3, 0x84, v7
	s_delay_alu instid0(VALU_DEP_2)
	v_add_lshl_u32 v16, v19, v10, 3
	s_xor_b32 exec_lo, exec_lo, s0
	s_cbranch_execz .LBB2_36
; %bb.35:
	s_delay_alu instid0(VALU_DEP_2)
	v_add_lshl_u32 v4, v3, v0, 3
	ds_load_b64 v[4:5], v4
	s_waitcnt lgkmcnt(0)
	v_xor_b32_e32 v5, 0x80000000, v5
	ds_store_b64 v16, v[4:5]
.LBB2_36:
	s_or_b32 exec_lo, exec_lo, s0
	v_or_b32_e32 v17, 1, v19
	v_cmp_ge_u32_e64 s3, v19, v0
	s_delay_alu instid0(VALU_DEP_2) | instskip(NEXT) | instid1(VALU_DEP_2)
	v_mul_u32_u24_e32 v4, 33, v17
	s_and_saveexec_b32 s0, s3
	s_delay_alu instid0(SALU_CYCLE_1)
	s_xor_b32 s0, exec_lo, s0
	s_cbranch_execz .LBB2_38
; %bb.37:
	s_delay_alu instid0(VALU_DEP_1)
	v_add_lshl_u32 v5, v4, v0, 3
	ds_load_b64 v[5:6], v5
	s_waitcnt lgkmcnt(0)
	v_xor_b32_e32 v6, 0x80000000, v6
	ds_store_b64 v16, v[5:6] offset:8
.LBB2_38:
	s_and_not1_saveexec_b32 s0, s0
	s_cbranch_execz .LBB2_42
; %bb.39:
	s_mov_b32 s4, exec_lo
	v_cmpx_eq_u32_e64 v17, v0
	s_cbranch_execz .LBB2_41
; %bb.40:
	v_mul_u32_u24_e32 v5, 34, v0
	s_delay_alu instid0(VALU_DEP_1)
	v_dual_mov_b32 v6, 0 :: v_dual_lshlrev_b32 v5, 3, v5
	ds_store_b32 v5, v6 offset:4
.LBB2_41:
	s_or_b32 exec_lo, exec_lo, s4
.LBB2_42:
	s_delay_alu instid0(SALU_CYCLE_1) | instskip(SKIP_1) | instid1(VALU_DEP_1)
	s_or_b32 exec_lo, exec_lo, s0
	v_or_b32_e32 v20, 2, v19
	v_cmp_le_u32_e64 s4, v20, v0
	s_delay_alu instid0(VALU_DEP_1) | instskip(NEXT) | instid1(SALU_CYCLE_1)
	s_and_saveexec_b32 s0, s4
	s_xor_b32 s0, exec_lo, s0
	s_cbranch_execz .LBB2_46
; %bb.43:
	s_mov_b32 s5, exec_lo
	v_cmpx_eq_u32_e64 v20, v0
	s_cbranch_execz .LBB2_45
; %bb.44:
	v_mul_u32_u24_e32 v5, 34, v0
	s_delay_alu instid0(VALU_DEP_1)
	v_dual_mov_b32 v6, 0 :: v_dual_lshlrev_b32 v5, 3, v5
	ds_store_b32 v5, v6 offset:4
.LBB2_45:
	s_or_b32 exec_lo, exec_lo, s5
.LBB2_46:
	s_and_not1_saveexec_b32 s0, s0
	s_cbranch_execz .LBB2_48
; %bb.47:
	v_mul_u32_u24_e32 v5, 33, v20
	s_delay_alu instid0(VALU_DEP_1)
	v_add_lshl_u32 v5, v5, v0, 3
	ds_load_b64 v[5:6], v5
	s_waitcnt lgkmcnt(0)
	v_xor_b32_e32 v6, 0x80000000, v6
	ds_store_b64 v16, v[5:6] offset:16
.LBB2_48:
	s_or_b32 exec_lo, exec_lo, s0
	v_or_b32_e32 v21, 3, v19
	s_delay_alu instid0(VALU_DEP_1) | instskip(NEXT) | instid1(VALU_DEP_1)
	v_cmp_le_u32_e64 s5, v21, v0
	s_and_saveexec_b32 s0, s5
	s_delay_alu instid0(SALU_CYCLE_1)
	s_xor_b32 s0, exec_lo, s0
	s_cbranch_execz .LBB2_52
; %bb.49:
	s_mov_b32 s6, exec_lo
	v_cmpx_eq_u32_e64 v21, v0
	s_cbranch_execz .LBB2_51
; %bb.50:
	v_mul_u32_u24_e32 v5, 34, v0
	s_delay_alu instid0(VALU_DEP_1)
	v_dual_mov_b32 v6, 0 :: v_dual_lshlrev_b32 v5, 3, v5
	ds_store_b32 v5, v6 offset:4
.LBB2_51:
	s_or_b32 exec_lo, exec_lo, s6
.LBB2_52:
	s_and_not1_saveexec_b32 s0, s0
	s_cbranch_execz .LBB2_54
; %bb.53:
	v_mul_u32_u24_e32 v5, 33, v21
	s_delay_alu instid0(VALU_DEP_1)
	v_add_lshl_u32 v5, v5, v0, 3
	ds_load_b64 v[5:6], v5
	s_waitcnt lgkmcnt(0)
	v_xor_b32_e32 v6, 0x80000000, v6
	ds_store_b64 v16, v[5:6] offset:24
.LBB2_54:
	s_or_b32 exec_lo, exec_lo, s0
	v_add_lshl_u32 v11, v3, v0, 3
	v_lshlrev_b32_e32 v29, 3, v19
	v_add_lshl_u32 v18, v4, v0, 3
	s_waitcnt lgkmcnt(0)
	s_barrier
	buffer_gl0_inv
	ds_load_b64 v[26:27], v11
	ds_load_b128 v[3:6], v29 offset:9088
	ds_load_2addr_b64 v[30:33], v18 offset1:33
	ds_load_b128 v[34:37], v29 offset:9104
	ds_load_b64 v[38:39], v18 offset:528
	v_cmp_gt_u32_e64 s0, 32, v22
	s_waitcnt lgkmcnt(0)
	s_barrier
	buffer_gl0_inv
	v_mul_f32_e32 v23, v4, v27
	v_mul_f32_e32 v27, v3, v27
	;; [unrolled: 1-line block ×3, first 2 shown]
	v_dual_mul_f32 v31, v5, v31 :: v_dual_mul_f32 v40, v35, v33
	s_delay_alu instid0(VALU_DEP_4) | instskip(NEXT) | instid1(VALU_DEP_4)
	v_fma_f32 v3, v3, v26, -v23
	v_fmac_f32_e32 v27, v4, v26
	v_dual_mul_f32 v33, v34, v33 :: v_dual_mul_f32 v4, v37, v39
	v_fma_f32 v5, v5, v30, -v28
	s_delay_alu instid0(VALU_DEP_3)
	v_dual_fmac_f32 v31, v6, v30 :: v_dual_add_f32 v6, 0, v27
	v_add_f32_e32 v3, 0, v3
	v_mul_f32_e32 v27, v36, v39
	v_fma_f32 v23, v34, v32, -v40
	v_fma_f32 v4, v36, v38, -v4
	v_add_lshl_u32 v28, v7, v10, 3
	v_add_f32_e32 v3, v3, v5
	v_add_f32_e32 v5, v6, v31
	v_fmac_f32_e32 v27, v37, v38
	v_dual_fmac_f32 v33, v35, v32 :: v_dual_mov_b32 v26, 0
	s_delay_alu instid0(VALU_DEP_4) | instskip(SKIP_1) | instid1(VALU_DEP_3)
	v_add_f32_e32 v3, v3, v23
	v_lshlrev_b32_e32 v23, 3, v10
	v_add_f32_e32 v5, v5, v33
	s_delay_alu instid0(VALU_DEP_1)
	v_dual_add_f32 v3, v3, v4 :: v_dual_add_f32 v4, v5, v27
	v_mov_b32_e32 v27, 0
	ds_store_b64 v28, v[3:4]
	s_waitcnt lgkmcnt(0)
	s_barrier
	buffer_gl0_inv
	s_and_saveexec_b32 s6, s0
	s_cbranch_execz .LBB2_56
; %bb.55:
	ds_load_2addr_b64 v[3:6], v23 offset1:7
	ds_load_2addr_b64 v[30:33], v23 offset0:1 offset1:2
	ds_load_2addr_b64 v[34:37], v23 offset0:3 offset1:4
	;; [unrolled: 1-line block ×3, first 2 shown]
	s_waitcnt lgkmcnt(2)
	v_dual_add_f32 v3, v30, v3 :: v_dual_add_f32 v4, v31, v4
	s_delay_alu instid0(VALU_DEP_1) | instskip(SKIP_1) | instid1(VALU_DEP_1)
	v_dual_add_f32 v3, v3, v32 :: v_dual_add_f32 v4, v4, v33
	s_waitcnt lgkmcnt(1)
	v_dual_add_f32 v3, v3, v34 :: v_dual_add_f32 v4, v4, v35
	s_delay_alu instid0(VALU_DEP_1) | instskip(SKIP_1) | instid1(VALU_DEP_1)
	v_dual_add_f32 v3, v3, v36 :: v_dual_add_f32 v4, v4, v37
	s_waitcnt lgkmcnt(0)
	v_dual_add_f32 v3, v3, v38 :: v_dual_add_f32 v4, v4, v39
	s_delay_alu instid0(VALU_DEP_1) | instskip(NEXT) | instid1(VALU_DEP_1)
	v_dual_add_f32 v3, v3, v40 :: v_dual_add_f32 v4, v4, v41
	v_dual_add_f32 v26, v3, v5 :: v_dual_add_f32 v27, v4, v6
.LBB2_56:
	s_or_b32 exec_lo, exec_lo, s6
	s_lshl_b32 s20, s18, 5
	s_delay_alu instid0(SALU_CYCLE_1)
	s_ashr_i32 s21, s20, 31
	s_barrier
	s_lshl_b64 s[16:17], s[20:21], 3
	buffer_gl0_inv
	v_add_co_u32 v5, vcc_lo, v1, s16
	v_add_co_ci_u32_e32 v6, vcc_lo, s17, v2, vcc_lo
	s_delay_alu instid0(VALU_DEP_2) | instskip(NEXT) | instid1(VALU_DEP_2)
	v_add_co_u32 v3, vcc_lo, 0x100, v5
	v_add_co_ci_u32_e32 v4, vcc_lo, 0, v6, vcc_lo
	s_and_b32 vcc_lo, exec_lo, s13
	s_cbranch_vccz .LBB2_74
; %bb.57:
	s_delay_alu instid0(VALU_DEP_2)
	v_sub_co_u32 v1, vcc_lo, v3, v9
	s_ashr_i32 s9, s8, 31
	v_subrev_co_ci_u32_e32 v2, vcc_lo, 0, v4, vcc_lo
	s_lshl_b64 s[22:23], s[8:9], 3
	v_or_b32_e32 v30, 32, v0
	v_add_co_u32 v1, vcc_lo, v1, s22
	s_delay_alu instid0(VALU_DEP_3) | instskip(SKIP_1) | instid1(VALU_DEP_2)
	v_add_co_ci_u32_e32 v2, vcc_lo, s23, v2, vcc_lo
	s_sub_i32 s9, s8, 32
	v_add_co_u32 v1, vcc_lo, 0xfffffef8, v1
	s_delay_alu instid0(VALU_DEP_2) | instskip(SKIP_3) | instid1(VALU_DEP_4)
	v_add_co_ci_u32_e32 v2, vcc_lo, -1, v2, vcc_lo
	v_cmp_gt_i32_e32 vcc_lo, s8, v30
	v_cmp_le_i32_e64 s6, s9, v7
	v_add_lshl_u32 v30, v8, v0, 3
	v_dual_cndmask_b32 v2, v2, v4 :: v_dual_cndmask_b32 v1, v1, v3
	s_delay_alu instid0(VALU_DEP_3) | instskip(NEXT) | instid1(SALU_CYCLE_1)
	s_and_saveexec_b32 s19, s6
	s_xor_b32 s6, exec_lo, s19
	s_cbranch_execz .LBB2_59
; %bb.58:
	v_mov_b32_e32 v31, 0
	s_delay_alu instid0(VALU_DEP_1)
	v_mov_b32_e32 v32, v31
	ds_store_b64 v30, v[31:32]
.LBB2_59:
	s_and_not1_saveexec_b32 s6, s6
	s_cbranch_execz .LBB2_61
; %bb.60:
	global_load_b64 v[31:32], v[1:2], off
	s_waitcnt vmcnt(0)
	ds_store_b64 v30, v[31:32]
.LBB2_61:
	s_or_b32 exec_lo, exec_lo, s6
	v_add_nc_u32_e32 v31, 8, v7
	s_delay_alu instid0(VALU_DEP_1) | instskip(NEXT) | instid1(VALU_DEP_1)
	v_cmp_le_i32_e64 s6, s9, v31
	s_and_saveexec_b32 s19, s6
	s_delay_alu instid0(SALU_CYCLE_1)
	s_xor_b32 s6, exec_lo, s19
	s_cbranch_execz .LBB2_63
; %bb.62:
	v_mul_u32_u24_e32 v32, 33, v31
	v_mov_b32_e32 v31, 0
	s_delay_alu instid0(VALU_DEP_2) | instskip(NEXT) | instid1(VALU_DEP_2)
	v_add_lshl_u32 v33, v32, v0, 3
	v_mov_b32_e32 v32, v31
	ds_store_b64 v33, v[31:32]
.LBB2_63:
	s_and_not1_saveexec_b32 s19, s6
	s_cbranch_execz .LBB2_65
; %bb.64:
	s_lshl_b32 s30, s18, 3
	s_delay_alu instid0(SALU_CYCLE_1) | instskip(NEXT) | instid1(SALU_CYCLE_1)
	s_ashr_i32 s31, s30, 31
	s_lshl_b64 s[30:31], s[30:31], 3
	s_delay_alu instid0(SALU_CYCLE_1) | instskip(NEXT) | instid1(VALU_DEP_1)
	v_add_co_u32 v31, s6, v1, s30
	v_add_co_ci_u32_e64 v32, s6, s31, v2, s6
	global_load_b64 v[31:32], v[31:32], off
	s_waitcnt vmcnt(0)
	ds_store_b64 v30, v[31:32] offset:2112
.LBB2_65:
	s_or_b32 exec_lo, exec_lo, s19
	v_add_nc_u32_e32 v31, 16, v7
	s_delay_alu instid0(VALU_DEP_1) | instskip(NEXT) | instid1(VALU_DEP_1)
	v_cmp_le_i32_e64 s6, s9, v31
	s_and_saveexec_b32 s19, s6
	s_delay_alu instid0(SALU_CYCLE_1)
	s_xor_b32 s6, exec_lo, s19
	s_cbranch_execz .LBB2_67
; %bb.66:
	v_mul_u32_u24_e32 v32, 33, v31
	v_mov_b32_e32 v31, 0
	s_delay_alu instid0(VALU_DEP_2) | instskip(NEXT) | instid1(VALU_DEP_2)
	v_add_lshl_u32 v33, v32, v0, 3
	v_mov_b32_e32 v32, v31
	ds_store_b64 v33, v[31:32]
.LBB2_67:
	s_and_not1_saveexec_b32 s19, s6
	s_cbranch_execz .LBB2_69
; %bb.68:
	s_lshl_b32 s30, s18, 4
	s_delay_alu instid0(SALU_CYCLE_1) | instskip(NEXT) | instid1(SALU_CYCLE_1)
	s_ashr_i32 s31, s30, 31
	s_lshl_b64 s[30:31], s[30:31], 3
	s_delay_alu instid0(SALU_CYCLE_1) | instskip(NEXT) | instid1(VALU_DEP_1)
	v_add_co_u32 v31, s6, v1, s30
	v_add_co_ci_u32_e64 v32, s6, s31, v2, s6
	global_load_b64 v[31:32], v[31:32], off
	s_waitcnt vmcnt(0)
	ds_store_b64 v30, v[31:32] offset:4224
.LBB2_69:
	s_or_b32 exec_lo, exec_lo, s19
	v_add_nc_u32_e32 v31, 24, v7
	s_delay_alu instid0(VALU_DEP_1) | instskip(NEXT) | instid1(VALU_DEP_1)
	v_cmp_le_i32_e64 s6, s9, v31
	s_and_saveexec_b32 s9, s6
	s_delay_alu instid0(SALU_CYCLE_1)
	s_xor_b32 s6, exec_lo, s9
	s_cbranch_execz .LBB2_71
; %bb.70:
	v_mov_b32_e32 v31, 0
	s_delay_alu instid0(VALU_DEP_1)
	v_mov_b32_e32 v32, v31
	ds_store_b64 v30, v[31:32] offset:6336
                                        ; implicit-def: $vgpr30
.LBB2_71:
	s_and_not1_saveexec_b32 s9, s6
	s_cbranch_execz .LBB2_73
; %bb.72:
	s_mul_i32 s30, s18, 24
	s_delay_alu instid0(SALU_CYCLE_1) | instskip(NEXT) | instid1(SALU_CYCLE_1)
	s_ashr_i32 s31, s30, 31
	s_lshl_b64 s[30:31], s[30:31], 3
	s_delay_alu instid0(SALU_CYCLE_1) | instskip(NEXT) | instid1(VALU_DEP_1)
	v_add_co_u32 v31, s6, v1, s30
	v_add_co_ci_u32_e64 v32, s6, s31, v2, s6
	global_load_b64 v[31:32], v[31:32], off
	s_waitcnt vmcnt(0)
	ds_store_b64 v30, v[31:32] offset:6336
.LBB2_73:
	s_or_b32 exec_lo, exec_lo, s9
	v_add_co_u32 v1, s6, v1, v9
	s_delay_alu instid0(VALU_DEP_1) | instskip(NEXT) | instid1(VALU_DEP_2)
	v_add_co_ci_u32_e64 v2, s6, 0, v2, s6
	v_sub_co_u32 v1, s6, v1, s22
	s_delay_alu instid0(VALU_DEP_1) | instskip(NEXT) | instid1(VALU_DEP_2)
	v_subrev_co_ci_u32_e64 v2, s6, s23, v2, s6
	v_add_co_u32 v1, s6, 0x108, v1
	s_delay_alu instid0(VALU_DEP_1) | instskip(NEXT) | instid1(VALU_DEP_1)
	v_add_co_ci_u32_e64 v2, s6, 0, v2, s6
	v_dual_cndmask_b32 v1, v1, v3 :: v_dual_cndmask_b32 v2, v2, v4
	s_branch .LBB2_76
.LBB2_74:
                                        ; implicit-def: $vgpr1_vgpr2
	s_cbranch_execz .LBB2_76
; %bb.75:
	s_lshl_b32 s22, s18, 3
	s_ashr_i32 s19, s18, 31
	s_ashr_i32 s23, s22, 31
	v_add_lshl_u32 v36, v8, v0, 3
	s_lshl_b64 s[22:23], s[22:23], 3
	s_delay_alu instid0(SALU_CYCLE_1)
	v_add_co_u32 v1, vcc_lo, v5, s22
	v_add_co_ci_u32_e32 v2, vcc_lo, s23, v6, vcc_lo
	s_lshl_b64 s[22:23], s[18:19], 6
	s_delay_alu instid0(VALU_DEP_2) | instid1(SALU_CYCLE_1)
	v_add_co_u32 v30, vcc_lo, v1, s22
	s_delay_alu instid0(VALU_DEP_2) | instskip(NEXT) | instid1(VALU_DEP_2)
	v_add_co_ci_u32_e32 v31, vcc_lo, s23, v2, vcc_lo
	v_add_co_u32 v32, vcc_lo, v30, s22
	s_delay_alu instid0(VALU_DEP_2)
	v_add_co_ci_u32_e32 v33, vcc_lo, s23, v31, vcc_lo
	s_clause 0x3
	global_load_b64 v[5:6], v[5:6], off offset:256
	global_load_b64 v[34:35], v[1:2], off offset:256
	;; [unrolled: 1-line block ×4, first 2 shown]
	v_dual_mov_b32 v1, v3 :: v_dual_mov_b32 v2, v4
	s_waitcnt vmcnt(3)
	ds_store_b64 v36, v[5:6]
	s_waitcnt vmcnt(2)
	ds_store_b64 v36, v[34:35] offset:2112
	s_waitcnt vmcnt(1)
	ds_store_b64 v36, v[30:31] offset:4224
	;; [unrolled: 2-line block ×3, first 2 shown]
.LBB2_76:
	s_waitcnt lgkmcnt(0)
	s_barrier
	buffer_gl0_inv
	s_and_saveexec_b32 s6, s1
	s_delay_alu instid0(SALU_CYCLE_1)
	s_xor_b32 s1, exec_lo, s6
	s_cbranch_execnz .LBB2_105
; %bb.77:
	s_and_not1_saveexec_b32 s1, s1
	s_cbranch_execnz .LBB2_108
.LBB2_78:
	s_or_b32 exec_lo, exec_lo, s1
	s_and_saveexec_b32 s1, s3
	s_delay_alu instid0(SALU_CYCLE_1)
	s_xor_b32 s1, exec_lo, s1
	s_cbranch_execnz .LBB2_109
.LBB2_79:
	s_and_not1_saveexec_b32 s1, s1
	s_cbranch_execnz .LBB2_110
.LBB2_80:
	s_or_b32 exec_lo, exec_lo, s1
	s_and_saveexec_b32 s1, s4
	s_delay_alu instid0(SALU_CYCLE_1)
	s_xor_b32 s1, exec_lo, s1
	s_cbranch_execnz .LBB2_113
.LBB2_81:
	s_and_not1_saveexec_b32 s1, s1
	s_cbranch_execnz .LBB2_116
.LBB2_82:
	s_or_b32 exec_lo, exec_lo, s1
	s_and_saveexec_b32 s1, s5
	s_delay_alu instid0(SALU_CYCLE_1)
	s_xor_b32 s1, exec_lo, s1
	s_cbranch_execnz .LBB2_117
.LBB2_83:
	s_or_saveexec_b32 s1, s1
	v_add_nc_u32_e32 v19, 0x2380, v29
	s_xor_b32 exec_lo, exec_lo, s1
	s_cbranch_execz .LBB2_85
.LBB2_84:
	ds_load_b64 v[3:4], v18 offset:528
	s_waitcnt lgkmcnt(0)
	v_xor_b32_e32 v4, 0x80000000, v4
	ds_store_b64 v16, v[3:4] offset:24
.LBB2_85:
	s_or_b32 exec_lo, exec_lo, s1
	s_waitcnt lgkmcnt(0)
	s_barrier
	buffer_gl0_inv
	ds_load_b64 v[16:17], v11
	ds_load_b128 v[3:6], v19 offset:256
	ds_load_2addr_b64 v[29:32], v18 offset1:33
	ds_load_b128 v[33:36], v19 offset:272
	ds_load_b64 v[20:21], v18 offset:528
	v_cmp_eq_u32_e64 s1, 1, v7
	s_waitcnt lgkmcnt(0)
	s_barrier
	buffer_gl0_inv
	v_dual_mul_f32 v37, v4, v17 :: v_dual_mul_f32 v38, v6, v30
	v_dual_mul_f32 v17, v3, v17 :: v_dual_mul_f32 v30, v5, v30
	v_mul_f32_e32 v39, v34, v32
	s_delay_alu instid0(VALU_DEP_3) | instskip(SKIP_1) | instid1(VALU_DEP_4)
	v_fma_f32 v3, v3, v16, -v37
	v_mul_f32_e32 v32, v33, v32
	v_dual_fmac_f32 v17, v4, v16 :: v_dual_fmac_f32 v30, v6, v29
	v_fma_f32 v5, v5, v29, -v38
	s_delay_alu instid0(VALU_DEP_4) | instskip(NEXT) | instid1(VALU_DEP_4)
	v_add_f32_e32 v3, 0, v3
	v_fmac_f32_e32 v32, v34, v31
	v_mul_f32_e32 v4, v36, v21
	s_delay_alu instid0(VALU_DEP_3) | instskip(SKIP_4) | instid1(VALU_DEP_3)
	v_add_f32_e32 v3, v3, v5
	v_add_f32_e32 v6, 0, v17
	v_mul_f32_e32 v16, v35, v21
	v_fma_f32 v17, v33, v31, -v39
	v_fma_f32 v4, v35, v20, -v4
	v_dual_add_f32 v5, v6, v30 :: v_dual_fmac_f32 v16, v36, v20
	s_delay_alu instid0(VALU_DEP_3) | instskip(NEXT) | instid1(VALU_DEP_2)
	v_add_f32_e32 v3, v3, v17
	v_add_f32_e32 v5, v5, v32
	s_delay_alu instid0(VALU_DEP_2) | instskip(NEXT) | instid1(VALU_DEP_2)
	v_add_f32_e32 v3, v3, v4
	v_add_f32_e32 v4, v5, v16
	ds_store_b64 v28, v[3:4]
	s_waitcnt lgkmcnt(0)
	s_barrier
	buffer_gl0_inv
	s_and_saveexec_b32 s3, s1
	s_cbranch_execz .LBB2_87
; %bb.86:
	ds_load_2addr_b64 v[3:6], v23 offset1:7
	ds_load_2addr_b64 v[29:32], v23 offset0:1 offset1:2
	ds_load_2addr_b64 v[33:36], v23 offset0:3 offset1:4
	;; [unrolled: 1-line block ×3, first 2 shown]
	s_waitcnt lgkmcnt(2)
	v_dual_add_f32 v3, v29, v3 :: v_dual_add_f32 v4, v30, v4
	s_delay_alu instid0(VALU_DEP_1) | instskip(SKIP_1) | instid1(VALU_DEP_1)
	v_dual_add_f32 v3, v3, v31 :: v_dual_add_f32 v4, v4, v32
	s_waitcnt lgkmcnt(1)
	v_dual_add_f32 v3, v3, v33 :: v_dual_add_f32 v4, v4, v34
	s_delay_alu instid0(VALU_DEP_1) | instskip(SKIP_1) | instid1(VALU_DEP_1)
	v_dual_add_f32 v3, v3, v35 :: v_dual_add_f32 v4, v4, v36
	s_waitcnt lgkmcnt(0)
	v_dual_add_f32 v3, v3, v37 :: v_dual_add_f32 v4, v4, v38
	s_delay_alu instid0(VALU_DEP_1) | instskip(NEXT) | instid1(VALU_DEP_1)
	v_dual_add_f32 v3, v3, v39 :: v_dual_add_f32 v4, v4, v40
	v_dual_add_f32 v26, v3, v5 :: v_dual_add_f32 v27, v4, v6
.LBB2_87:
	s_or_b32 exec_lo, exec_lo, s3
	v_add_co_u32 v3, vcc_lo, 0xffffff00, v1
	v_add_co_ci_u32_e32 v4, vcc_lo, -1, v2, vcc_lo
	s_and_b32 vcc_lo, exec_lo, s13
	s_barrier
	buffer_gl0_inv
	s_cbranch_vccz .LBB2_120
; %bb.88:
	v_sub_co_u32 v5, vcc_lo, v1, v9
	s_ashr_i32 s9, s8, 31
	v_subrev_co_ci_u32_e32 v6, vcc_lo, 0, v2, vcc_lo
	s_lshl_b64 s[4:5], s[8:9], 3
	s_sub_i32 s6, s8, 32
	v_add_co_u32 v5, vcc_lo, v5, s4
	s_delay_alu instid0(VALU_DEP_2) | instskip(SKIP_1) | instid1(VALU_DEP_3)
	v_add_co_ci_u32_e32 v6, vcc_lo, s5, v6, vcc_lo
	v_cmp_le_i32_e64 s3, s6, v7
	v_add_co_u32 v5, vcc_lo, 0xfffffef8, v5
	s_delay_alu instid0(VALU_DEP_3) | instskip(SKIP_2) | instid1(VALU_DEP_3)
	v_add_co_ci_u32_e32 v6, vcc_lo, -1, v6, vcc_lo
	v_cmp_gt_i32_e32 vcc_lo, s8, v0
	v_add_lshl_u32 v16, v8, v0, 3
	v_dual_cndmask_b32 v6, v6, v4 :: v_dual_cndmask_b32 v5, v5, v3
	s_and_saveexec_b32 s9, s3
	s_delay_alu instid0(SALU_CYCLE_1)
	s_xor_b32 s3, exec_lo, s9
	s_cbranch_execz .LBB2_90
; %bb.89:
	v_mov_b32_e32 v20, 0
	s_delay_alu instid0(VALU_DEP_1)
	v_mov_b32_e32 v21, v20
	ds_store_b64 v16, v[20:21]
.LBB2_90:
	s_and_not1_saveexec_b32 s3, s3
	s_cbranch_execz .LBB2_92
; %bb.91:
	global_load_b64 v[20:21], v[5:6], off
	s_waitcnt vmcnt(0)
	ds_store_b64 v16, v[20:21]
.LBB2_92:
	s_or_b32 exec_lo, exec_lo, s3
	v_add_nc_u32_e32 v20, 8, v7
	s_delay_alu instid0(VALU_DEP_1) | instskip(NEXT) | instid1(VALU_DEP_1)
	v_cmp_le_i32_e64 s3, s6, v20
	s_and_saveexec_b32 s9, s3
	s_delay_alu instid0(SALU_CYCLE_1)
	s_xor_b32 s3, exec_lo, s9
	s_cbranch_execz .LBB2_94
; %bb.93:
	v_mul_u32_u24_e32 v17, 33, v20
	v_mov_b32_e32 v29, 0
	s_delay_alu instid0(VALU_DEP_2) | instskip(NEXT) | instid1(VALU_DEP_2)
	v_add_lshl_u32 v17, v17, v0, 3
	v_mov_b32_e32 v30, v29
	ds_store_b64 v17, v[29:30]
.LBB2_94:
	s_and_not1_saveexec_b32 s9, s3
	s_cbranch_execz .LBB2_96
; %bb.95:
	s_lshl_b32 s22, s18, 3
	s_delay_alu instid0(SALU_CYCLE_1) | instskip(NEXT) | instid1(SALU_CYCLE_1)
	s_ashr_i32 s23, s22, 31
	s_lshl_b64 s[22:23], s[22:23], 3
	s_delay_alu instid0(SALU_CYCLE_1) | instskip(NEXT) | instid1(VALU_DEP_1)
	v_add_co_u32 v29, s3, v5, s22
	v_add_co_ci_u32_e64 v30, s3, s23, v6, s3
	global_load_b64 v[29:30], v[29:30], off
	s_waitcnt vmcnt(0)
	ds_store_b64 v16, v[29:30] offset:2112
.LBB2_96:
	s_or_b32 exec_lo, exec_lo, s9
	v_add_nc_u32_e32 v21, 16, v7
	s_delay_alu instid0(VALU_DEP_1) | instskip(NEXT) | instid1(VALU_DEP_1)
	v_cmp_le_i32_e64 s3, s6, v21
	s_and_saveexec_b32 s9, s3
	s_delay_alu instid0(SALU_CYCLE_1)
	s_xor_b32 s3, exec_lo, s9
	s_cbranch_execz .LBB2_98
; %bb.97:
	v_mul_u32_u24_e32 v17, 33, v21
	v_mov_b32_e32 v29, 0
	s_delay_alu instid0(VALU_DEP_2) | instskip(NEXT) | instid1(VALU_DEP_2)
	v_add_lshl_u32 v17, v17, v0, 3
	v_mov_b32_e32 v30, v29
	ds_store_b64 v17, v[29:30]
.LBB2_98:
	s_and_not1_saveexec_b32 s9, s3
	s_cbranch_execz .LBB2_100
; %bb.99:
	s_lshl_b32 s22, s18, 4
	s_delay_alu instid0(SALU_CYCLE_1) | instskip(NEXT) | instid1(SALU_CYCLE_1)
	s_ashr_i32 s23, s22, 31
	s_lshl_b64 s[22:23], s[22:23], 3
	s_delay_alu instid0(SALU_CYCLE_1) | instskip(NEXT) | instid1(VALU_DEP_1)
	v_add_co_u32 v29, s3, v5, s22
	v_add_co_ci_u32_e64 v30, s3, s23, v6, s3
	global_load_b64 v[29:30], v[29:30], off
	s_waitcnt vmcnt(0)
	ds_store_b64 v16, v[29:30] offset:4224
.LBB2_100:
	s_or_b32 exec_lo, exec_lo, s9
	v_add_nc_u32_e32 v29, 24, v7
	s_delay_alu instid0(VALU_DEP_1) | instskip(NEXT) | instid1(VALU_DEP_1)
	v_cmp_le_i32_e64 s3, s6, v29
	s_and_saveexec_b32 s6, s3
	s_delay_alu instid0(SALU_CYCLE_1)
	s_xor_b32 s3, exec_lo, s6
	s_cbranch_execz .LBB2_102
; %bb.101:
	v_mov_b32_e32 v30, 0
	s_delay_alu instid0(VALU_DEP_1)
	v_mov_b32_e32 v31, v30
	ds_store_b64 v16, v[30:31] offset:6336
                                        ; implicit-def: $vgpr16
.LBB2_102:
	s_and_not1_saveexec_b32 s6, s3
	s_cbranch_execz .LBB2_104
; %bb.103:
	s_mul_i32 s22, s18, 24
	s_delay_alu instid0(SALU_CYCLE_1) | instskip(NEXT) | instid1(SALU_CYCLE_1)
	s_ashr_i32 s23, s22, 31
	s_lshl_b64 s[22:23], s[22:23], 3
	s_delay_alu instid0(SALU_CYCLE_1) | instskip(NEXT) | instid1(VALU_DEP_1)
	v_add_co_u32 v30, s3, v5, s22
	v_add_co_ci_u32_e64 v31, s3, s23, v6, s3
	global_load_b64 v[30:31], v[30:31], off
	s_waitcnt vmcnt(0)
	ds_store_b64 v16, v[30:31] offset:6336
.LBB2_104:
	s_or_b32 exec_lo, exec_lo, s6
	v_add_co_u32 v5, s3, v5, v9
	s_delay_alu instid0(VALU_DEP_1) | instskip(NEXT) | instid1(VALU_DEP_2)
	v_add_co_ci_u32_e64 v6, s3, 0, v6, s3
	v_sub_co_u32 v5, s3, v5, s4
	s_delay_alu instid0(VALU_DEP_1) | instskip(NEXT) | instid1(VALU_DEP_2)
	v_subrev_co_ci_u32_e64 v6, s3, s5, v6, s3
	v_add_co_u32 v5, s3, v5, 8
	s_delay_alu instid0(VALU_DEP_1) | instskip(NEXT) | instid1(VALU_DEP_1)
	v_add_co_ci_u32_e64 v6, s3, 0, v6, s3
	v_dual_cndmask_b32 v16, v5, v3 :: v_dual_cndmask_b32 v17, v6, v4
	s_branch .LBB2_122
.LBB2_105:
	s_mov_b32 s6, exec_lo
	v_cmpx_eq_u32_e64 v19, v0
	s_cbranch_execz .LBB2_107
; %bb.106:
	v_mul_u32_u24_e32 v3, 34, v0
	s_delay_alu instid0(VALU_DEP_1)
	v_dual_mov_b32 v4, 0 :: v_dual_lshlrev_b32 v3, 3, v3
	ds_store_b32 v3, v4 offset:4
.LBB2_107:
	s_or_b32 exec_lo, exec_lo, s6
	s_and_not1_saveexec_b32 s1, s1
	s_cbranch_execz .LBB2_78
.LBB2_108:
	ds_load_b64 v[3:4], v11
	s_waitcnt lgkmcnt(0)
	v_xor_b32_e32 v4, 0x80000000, v4
	ds_store_b64 v16, v[3:4]
	s_or_b32 exec_lo, exec_lo, s1
	s_and_saveexec_b32 s1, s3
	s_delay_alu instid0(SALU_CYCLE_1)
	s_xor_b32 s1, exec_lo, s1
	s_cbranch_execz .LBB2_79
.LBB2_109:
	ds_load_b64 v[3:4], v18
                                        ; implicit-def: $vgpr17
	s_waitcnt lgkmcnt(0)
	v_xor_b32_e32 v4, 0x80000000, v4
	ds_store_b64 v16, v[3:4] offset:8
	s_and_not1_saveexec_b32 s1, s1
	s_cbranch_execz .LBB2_80
.LBB2_110:
	s_mov_b32 s3, exec_lo
	v_cmpx_eq_u32_e64 v17, v0
	s_cbranch_execz .LBB2_112
; %bb.111:
	v_mul_u32_u24_e32 v3, 34, v0
	s_delay_alu instid0(VALU_DEP_1)
	v_dual_mov_b32 v4, 0 :: v_dual_lshlrev_b32 v3, 3, v3
	ds_store_b32 v3, v4 offset:4
.LBB2_112:
	s_or_b32 exec_lo, exec_lo, s3
	s_delay_alu instid0(SALU_CYCLE_1) | instskip(SKIP_1) | instid1(SALU_CYCLE_1)
	s_or_b32 exec_lo, exec_lo, s1
	s_and_saveexec_b32 s1, s4
	s_xor_b32 s1, exec_lo, s1
	s_cbranch_execz .LBB2_81
.LBB2_113:
	s_mov_b32 s3, exec_lo
	v_cmpx_eq_u32_e64 v20, v0
	s_cbranch_execz .LBB2_115
; %bb.114:
	v_mul_u32_u24_e32 v3, 34, v0
	s_delay_alu instid0(VALU_DEP_1)
	v_dual_mov_b32 v4, 0 :: v_dual_lshlrev_b32 v3, 3, v3
	ds_store_b32 v3, v4 offset:4
.LBB2_115:
	s_or_b32 exec_lo, exec_lo, s3
	s_and_not1_saveexec_b32 s1, s1
	s_cbranch_execz .LBB2_82
.LBB2_116:
	ds_load_b64 v[3:4], v18 offset:264
	s_waitcnt lgkmcnt(0)
	v_xor_b32_e32 v4, 0x80000000, v4
	ds_store_b64 v16, v[3:4] offset:16
	s_or_b32 exec_lo, exec_lo, s1
	s_and_saveexec_b32 s1, s5
	s_delay_alu instid0(SALU_CYCLE_1)
	s_xor_b32 s1, exec_lo, s1
	s_cbranch_execz .LBB2_83
.LBB2_117:
	s_mov_b32 s3, exec_lo
	v_cmpx_eq_u32_e64 v21, v0
	s_cbranch_execz .LBB2_119
; %bb.118:
	v_mul_u32_u24_e32 v3, 34, v0
	s_delay_alu instid0(VALU_DEP_1)
	v_dual_mov_b32 v4, 0 :: v_dual_lshlrev_b32 v3, 3, v3
	ds_store_b32 v3, v4 offset:4
.LBB2_119:
	s_or_b32 exec_lo, exec_lo, s3
                                        ; implicit-def: $vgpr16
	s_or_saveexec_b32 s1, s1
	v_add_nc_u32_e32 v19, 0x2380, v29
	s_xor_b32 exec_lo, exec_lo, s1
	s_cbranch_execnz .LBB2_84
	s_branch .LBB2_85
.LBB2_120:
                                        ; implicit-def: $vgpr16_vgpr17
                                        ; implicit-def: $vgpr20
                                        ; implicit-def: $vgpr21
                                        ; implicit-def: $vgpr29
	s_cbranch_execz .LBB2_122
; %bb.121:
	s_lshl_b32 s4, s18, 3
	s_ashr_i32 s19, s18, 31
	s_ashr_i32 s5, s4, 31
	v_add_lshl_u32 v0, v8, v0, 3
	s_lshl_b64 s[4:5], s[4:5], 3
	v_add_nc_u32_e32 v29, 24, v7
	v_add_co_u32 v5, vcc_lo, v1, s4
	v_add_co_ci_u32_e32 v6, vcc_lo, s5, v2, vcc_lo
	s_lshl_b64 s[4:5], s[18:19], 6
	s_delay_alu instid0(VALU_DEP_2) | instid1(SALU_CYCLE_1)
	v_add_co_u32 v16, vcc_lo, v5, s4
	s_delay_alu instid0(VALU_DEP_2) | instskip(NEXT) | instid1(VALU_DEP_2)
	v_add_co_ci_u32_e32 v17, vcc_lo, s5, v6, vcc_lo
	v_add_co_u32 v20, vcc_lo, v16, s4
	s_delay_alu instid0(VALU_DEP_2)
	v_add_co_ci_u32_e32 v21, vcc_lo, s5, v17, vcc_lo
	s_clause 0x3
	global_load_b64 v[1:2], v[1:2], off offset:-256
	global_load_b64 v[5:6], v[5:6], off offset:-256
	;; [unrolled: 1-line block ×4, first 2 shown]
	v_dual_mov_b32 v17, v4 :: v_dual_add_nc_u32 v20, 8, v7
	v_dual_mov_b32 v16, v3 :: v_dual_add_nc_u32 v21, 16, v7
	s_waitcnt vmcnt(3)
	ds_store_b64 v0, v[1:2]
	s_waitcnt vmcnt(2)
	ds_store_b64 v0, v[5:6] offset:2112
	s_waitcnt vmcnt(1)
	ds_store_b64 v0, v[30:31] offset:4224
	;; [unrolled: 2-line block ×3, first 2 shown]
.LBB2_122:
	v_lshlrev_b32_e32 v0, 3, v7
	v_add_lshl_u32 v1, v20, v10, 3
	v_lshlrev_b32_e32 v2, 3, v20
	s_waitcnt lgkmcnt(0)
	s_barrier
	buffer_gl0_inv
	ds_load_b64 v[30:31], v28
	ds_load_b64 v[32:33], v0 offset:9088
	ds_load_b64 v[34:35], v1
	ds_load_b64 v[36:37], v2 offset:9088
	v_add_lshl_u32 v3, v21, v10, 3
	v_add_lshl_u32 v0, v29, v10, 3
	v_lshlrev_b32_e32 v4, 3, v21
	s_waitcnt lgkmcnt(0)
	v_mul_f32_e32 v46, v35, v37
	v_lshlrev_b32_e32 v1, 3, v29
	v_mul_f32_e32 v29, v31, v33
	v_mul_f32_e32 v31, v31, v32
	s_delay_alu instid0(VALU_DEP_2)
	v_fmac_f32_e32 v29, v30, v32
	v_fmac_f32_e32 v46, v34, v36
	ds_load_b64 v[38:39], v3
	ds_load_b64 v[40:41], v4 offset:9088
	ds_load_b64 v[42:43], v0
	ds_load_b64 v[44:45], v1 offset:9088
	ds_load_b64 v[20:21], v11
	ds_load_b128 v[8:11], v19 offset:256
	ds_load_2addr_b64 v[4:7], v18 offset1:33
	ds_load_b128 v[0:3], v19 offset:272
	ds_load_b64 v[18:19], v18 offset:528
	v_fma_f32 v30, v30, v33, -v31
	v_mul_f32_e32 v35, v35, v36
	s_waitcnt lgkmcnt(0)
	s_barrier
	buffer_gl0_inv
	v_add_f32_e32 v30, 0, v30
	v_fma_f32 v32, v34, v37, -v35
	s_delay_alu instid0(VALU_DEP_1) | instskip(SKIP_3) | instid1(VALU_DEP_4)
	v_dual_add_f32 v30, v30, v32 :: v_dual_mul_f32 v47, v39, v41
	v_mul_f32_e32 v39, v39, v40
	v_mul_f32_e32 v31, v43, v45
	v_mul_f32_e32 v33, v43, v44
	v_fmac_f32_e32 v47, v38, v40
	s_delay_alu instid0(VALU_DEP_4) | instskip(NEXT) | instid1(VALU_DEP_4)
	v_fma_f32 v34, v38, v41, -v39
	v_fmac_f32_e32 v31, v42, v44
	s_delay_alu instid0(VALU_DEP_4) | instskip(NEXT) | instid1(VALU_DEP_3)
	v_fma_f32 v32, v42, v45, -v33
	v_dual_add_f32 v30, v30, v34 :: v_dual_add_f32 v29, 0, v29
	s_delay_alu instid0(VALU_DEP_1) | instskip(NEXT) | instid1(VALU_DEP_1)
	v_dual_add_f32 v30, v30, v32 :: v_dual_add_f32 v29, v29, v46
	v_add_f32_e32 v29, v29, v47
	s_delay_alu instid0(VALU_DEP_1)
	v_add_f32_e32 v29, v29, v31
	ds_store_b64 v28, v[29:30]
	s_waitcnt lgkmcnt(0)
	s_barrier
	buffer_gl0_inv
	s_and_saveexec_b32 s3, s1
	s_cbranch_execz .LBB2_124
; %bb.123:
	ds_load_2addr_b64 v[29:32], v23 offset1:1
	ds_load_2addr_b64 v[33:36], v23 offset0:2 offset1:3
	ds_load_2addr_b64 v[37:40], v23 offset0:4 offset1:5
	s_waitcnt lgkmcnt(2)
	v_dual_add_f32 v26, v26, v29 :: v_dual_add_f32 v27, v27, v30
	s_delay_alu instid0(VALU_DEP_1) | instskip(SKIP_3) | instid1(VALU_DEP_1)
	v_dual_add_f32 v26, v26, v31 :: v_dual_add_f32 v27, v27, v32
	ds_load_2addr_b64 v[29:32], v23 offset0:6 offset1:7
	s_waitcnt lgkmcnt(2)
	v_dual_add_f32 v26, v26, v33 :: v_dual_add_f32 v27, v27, v34
	v_dual_add_f32 v26, v26, v35 :: v_dual_add_f32 v27, v27, v36
	s_waitcnt lgkmcnt(1)
	s_delay_alu instid0(VALU_DEP_1) | instskip(NEXT) | instid1(VALU_DEP_1)
	v_dual_add_f32 v26, v26, v37 :: v_dual_add_f32 v27, v27, v38
	v_dual_add_f32 v26, v26, v39 :: v_dual_add_f32 v27, v27, v40
	s_waitcnt lgkmcnt(0)
	s_delay_alu instid0(VALU_DEP_1) | instskip(NEXT) | instid1(VALU_DEP_1)
	v_dual_add_f32 v26, v26, v29 :: v_dual_add_f32 v27, v27, v30
	v_dual_add_f32 v26, v26, v31 :: v_dual_add_f32 v27, v27, v32
.LBB2_124:
	s_or_b32 exec_lo, exec_lo, s3
	v_mul_f32_e32 v29, v9, v21
	v_mul_f32_e32 v21, v8, v21
	v_dual_mul_f32 v30, v11, v5 :: v_dual_mul_f32 v31, v1, v7
	s_delay_alu instid0(VALU_DEP_3) | instskip(NEXT) | instid1(VALU_DEP_3)
	v_fma_f32 v8, v8, v20, -v29
	v_fmac_f32_e32 v21, v9, v20
	v_mul_f32_e32 v7, v0, v7
	s_delay_alu instid0(VALU_DEP_4)
	v_fma_f32 v0, v0, v6, -v31
	s_barrier
	v_dual_add_f32 v8, 0, v8 :: v_dual_mul_f32 v5, v10, v5
	v_fma_f32 v10, v10, v4, -v30
	buffer_gl0_inv
	v_dual_add_f32 v8, v8, v10 :: v_dual_mul_f32 v9, v3, v19
	v_fmac_f32_e32 v5, v11, v4
	s_delay_alu instid0(VALU_DEP_2) | instskip(NEXT) | instid1(VALU_DEP_3)
	v_dual_mul_f32 v11, v2, v19 :: v_dual_add_f32 v0, v8, v0
	v_fma_f32 v2, v2, v18, -v9
	s_delay_alu instid0(VALU_DEP_2) | instskip(NEXT) | instid1(VALU_DEP_2)
	v_fmac_f32_e32 v11, v3, v18
	v_add_f32_e32 v0, v0, v2
	v_dual_add_f32 v4, 0, v21 :: v_dual_fmac_f32 v7, v1, v6
	s_delay_alu instid0(VALU_DEP_1) | instskip(NEXT) | instid1(VALU_DEP_1)
	v_add_f32_e32 v1, v4, v5
	v_add_f32_e32 v1, v1, v7
	s_delay_alu instid0(VALU_DEP_1)
	v_add_f32_e32 v1, v1, v11
	ds_store_b64 v28, v[0:1]
	s_waitcnt lgkmcnt(0)
	s_barrier
	buffer_gl0_inv
	s_and_saveexec_b32 s1, s0
	s_cbranch_execz .LBB2_126
; %bb.125:
	ds_load_2addr_b64 v[0:3], v23 offset1:1
	ds_load_2addr_b64 v[4:7], v23 offset0:2 offset1:3
	ds_load_2addr_b64 v[8:11], v23 offset0:4 offset1:5
	s_waitcnt lgkmcnt(2)
	v_dual_add_f32 v0, v26, v0 :: v_dual_add_f32 v1, v27, v1
	s_delay_alu instid0(VALU_DEP_1) | instskip(SKIP_3) | instid1(VALU_DEP_1)
	v_dual_add_f32 v18, v0, v2 :: v_dual_add_f32 v19, v1, v3
	ds_load_2addr_b64 v[0:3], v23 offset0:6 offset1:7
	s_waitcnt lgkmcnt(2)
	v_dual_add_f32 v4, v18, v4 :: v_dual_add_f32 v5, v19, v5
	v_dual_add_f32 v4, v4, v6 :: v_dual_add_f32 v5, v5, v7
	s_waitcnt lgkmcnt(1)
	s_delay_alu instid0(VALU_DEP_1) | instskip(NEXT) | instid1(VALU_DEP_1)
	v_dual_add_f32 v4, v4, v8 :: v_dual_add_f32 v5, v5, v9
	v_dual_add_f32 v4, v4, v10 :: v_dual_add_f32 v5, v5, v11
	s_waitcnt lgkmcnt(0)
	s_delay_alu instid0(VALU_DEP_1) | instskip(NEXT) | instid1(VALU_DEP_1)
	v_dual_add_f32 v0, v4, v0 :: v_dual_add_f32 v1, v5, v1
	v_dual_add_f32 v26, v0, v2 :: v_dual_add_f32 v27, v1, v3
.LBB2_126:
	s_or_b32 exec_lo, exec_lo, s1
	s_mul_hi_u32 s0, s24, s15
	s_mul_i32 s25, s25, s15
	s_mul_i32 s1, s24, s15
	s_add_i32 s0, s0, s25
	s_mul_hi_u32 s4, s1, s26
	s_mul_i32 s3, s0, s26
	s_mul_i32 s0, s1, s26
	s_add_i32 s1, s4, s3
	s_mul_hi_i32 s5, s24, s14
	s_lshl_b64 s[0:1], s[0:1], 3
	s_mul_i32 s4, s24, s14
	s_add_u32 s3, s10, s0
	s_addc_u32 s6, s11, s1
	s_lshl_b64 s[0:1], s[4:5], 3
	v_lshlrev_b32_e32 v96, 3, v25
	s_add_u32 s3, s3, s0
	s_addc_u32 s9, s6, s1
	s_add_i32 s1, s14, 1
	s_delay_alu instid0(SALU_CYCLE_1)
	s_cmp_ge_u32 s1, s26
	s_barrier
	buffer_gl0_inv
	s_cbranch_scc1 .LBB2_184
; %bb.127:
	v_dual_mov_b32 v30, 0 :: v_dual_lshlrev_b32 v97, 2, v95
	s_mul_i32 s4, s12, s7
	v_and_b32_e32 v2, 15, v25
	v_lshrrev_b32_e32 v3, 4, v22
	s_delay_alu instid0(VALU_DEP_3)
	v_mad_u64_u32 v[0:1], null, v97, s18, v[25:26]
	s_ashr_i32 s5, s4, 31
	v_and_b32_e32 v4, 48, v25
	v_or_b32_e32 v6, 0x78, v96
	s_lshl_b64 s[4:5], s[4:5], 3
	v_lshlrev_b32_e32 v7, 5, v3
	v_sub_co_u32 v98, vcc_lo, v12, s4
	v_ashrrev_i32_e32 v1, 31, v0
	v_lshlrev_b32_e32 v5, 3, v4
	v_mad_u32_u24 v103, 0x218, v2, v6
	v_mul_i32_i24_e32 v6, 0xffffffe8, v3
	v_add_nc_u32_e32 v3, s12, v4
	v_subrev_co_ci_u32_e32 v99, vcc_lo, s5, v13, vcc_lo
	v_sub_co_u32 v122, vcc_lo, 0, v14
	v_sub_co_ci_u32_e32 v123, vcc_lo, 0, v15, vcc_lo
	v_mad_u32_u24 v102, 0x218, v2, v5
	v_mad_u32_u24 v104, 0x218, v2, v7
	v_add3_u32 v28, v3, v2, 64
	v_lshlrev_b64 v[2:3], 3, v[0:1]
	v_add_co_u32 v0, vcc_lo, s20, v0
	v_add_co_ci_u32_e32 v1, vcc_lo, s21, v1, vcc_lo
	s_lshl_b32 s22, s18, 4
	s_delay_alu instid0(VALU_DEP_3) | instskip(NEXT) | instid1(VALU_DEP_2)
	v_add_co_u32 v4, vcc_lo, s16, v2
	v_lshlrev_b64 v[0:1], 3, v[0:1]
	v_add_co_ci_u32_e32 v5, vcc_lo, s17, v3, vcc_lo
	s_delay_alu instid0(VALU_DEP_3) | instskip(SKIP_1) | instid1(VALU_DEP_2)
	v_add_co_u32 v7, vcc_lo, v4, v16
	s_mul_i32 s30, s18, 3
	v_add_co_ci_u32_e32 v8, vcc_lo, v5, v17, vcc_lo
	s_delay_alu instid0(VALU_DEP_4) | instskip(SKIP_4) | instid1(VALU_DEP_3)
	v_mad_i64_i32 v[4:5], null, s22, 24, v[0:1]
	s_ashr_i32 s31, s30, 31
	v_add_co_u32 v124, vcc_lo, v7, 4
	s_lshl_b64 s[12:13], s[30:31], 3
	v_add_co_ci_u32_e32 v125, vcc_lo, 0, v8, vcc_lo
	v_add_co_u32 v7, vcc_lo, v4, s12
	s_ashr_i32 s19, s18, 31
	s_delay_alu instid0(VALU_DEP_4)
	v_add_co_ci_u32_e32 v8, vcc_lo, s13, v5, vcc_lo
	s_lshl_b32 s29, s7, 6
	s_ashr_i32 s23, s22, 31
	s_lshl_b32 s24, s18, 1
	s_mul_i32 s7, s7, s1
	s_lshl_b64 s[10:11], s[18:19], 3
	s_mul_i32 s1, s18, 0x180
	s_lshl_b64 s[18:19], s[18:19], 4
	s_add_i32 s15, s26, -2
	s_ashr_i32 s25, s24, 31
	s_lshl_b32 s4, s7, 6
	s_lshl_b64 s[6:7], s[22:23], 5
	v_add_co_u32 v126, vcc_lo, v16, v7
	s_add_u32 s30, s18, s16
	v_add_co_ci_u32_e32 v127, vcc_lo, v17, v8, vcc_lo
	s_addc_u32 s31, s19, s17
	v_add_co_u32 v7, vcc_lo, s30, v2
	s_mul_hi_i32 s5, s22, 24
	s_add_u32 s1, s1, s18
	v_add_co_ci_u32_e32 v8, vcc_lo, s31, v3, vcc_lo
	s_addc_u32 s5, s5, s19
	v_add_co_u32 v0, vcc_lo, s1, v0
	v_add_co_ci_u32_e32 v1, vcc_lo, s5, v1, vcc_lo
	v_add_co_u32 v128, vcc_lo, v16, v7
	v_add_co_ci_u32_e32 v129, vcc_lo, v17, v8, vcc_lo
	s_delay_alu instid0(VALU_DEP_4)
	v_add_co_u32 v0, vcc_lo, v0, v16
	s_add_u32 s1, s10, s16
	v_add_co_ci_u32_e32 v1, vcc_lo, v1, v17, vcc_lo
	s_addc_u32 s5, s11, s17
	v_add_co_u32 v7, vcc_lo, s1, v2
	v_add_co_ci_u32_e32 v8, vcc_lo, s5, v3, vcc_lo
	v_add_co_u32 v130, vcc_lo, v0, 4
	v_add_co_ci_u32_e32 v131, vcc_lo, 0, v1, vcc_lo
	s_delay_alu instid0(VALU_DEP_4) | instskip(NEXT) | instid1(VALU_DEP_4)
	v_add_co_u32 v0, vcc_lo, v7, v16
	v_add_co_ci_u32_e32 v1, vcc_lo, v8, v17, vcc_lo
	s_lshl_b64 s[18:19], s[24:25], 3
	s_delay_alu instid0(VALU_DEP_2) | instskip(SKIP_1) | instid1(VALU_DEP_2)
	v_add_co_u32 v132, vcc_lo, v0, 4
	s_add_u32 s20, s16, s18
	v_add_co_ci_u32_e32 v133, vcc_lo, 0, v1, vcc_lo
	s_addc_u32 s21, s17, s19
	v_add_co_u32 v0, vcc_lo, s20, v2
	v_add_co_ci_u32_e32 v1, vcc_lo, s21, v3, vcc_lo
	v_add_co_u32 v7, vcc_lo, v4, s18
	v_add_co_ci_u32_e32 v8, vcc_lo, s19, v5, vcc_lo
	s_delay_alu instid0(VALU_DEP_4) | instskip(NEXT) | instid1(VALU_DEP_4)
	v_add_co_u32 v0, vcc_lo, v0, v16
	v_add_co_ci_u32_e32 v1, vcc_lo, v1, v17, vcc_lo
	s_delay_alu instid0(VALU_DEP_4) | instskip(NEXT) | instid1(VALU_DEP_4)
	;; [unrolled: 3-line block ×3, first 2 shown]
	v_add_co_u32 v136, vcc_lo, v0, 4
	v_add_co_ci_u32_e32 v137, vcc_lo, 0, v1, vcc_lo
	v_add_co_u32 v0, vcc_lo, v4, s10
	s_add_u32 s20, s16, s12
	v_add_co_ci_u32_e32 v1, vcc_lo, s11, v5, vcc_lo
	s_addc_u32 s21, s17, s13
	v_add_co_u32 v7, vcc_lo, s20, v2
	v_add_co_ci_u32_e32 v8, vcc_lo, s21, v3, vcc_lo
	v_add_co_u32 v138, vcc_lo, v16, v0
	v_add_co_ci_u32_e32 v139, vcc_lo, v17, v1, vcc_lo
	s_delay_alu instid0(VALU_DEP_4) | instskip(NEXT) | instid1(VALU_DEP_4)
	v_add_co_u32 v0, vcc_lo, v7, v16
	v_add_co_ci_u32_e32 v1, vcc_lo, v8, v17, vcc_lo
	s_lshl_b64 s[20:21], s[22:23], 3
	s_delay_alu instid0(VALU_DEP_2) | instskip(SKIP_1) | instid1(VALU_DEP_2)
	v_add_co_u32 v140, vcc_lo, v0, 4
	s_add_u32 s24, s16, s20
	v_add_co_ci_u32_e32 v141, vcc_lo, 0, v1, vcc_lo
	s_addc_u32 s25, s17, s21
	v_add_co_u32 v0, vcc_lo, s24, v2
	v_add_co_ci_u32_e32 v1, vcc_lo, s25, v3, vcc_lo
	v_add_co_u32 v142, vcc_lo, v16, v4
	v_add_co_ci_u32_e32 v143, vcc_lo, v17, v5, vcc_lo
	s_delay_alu instid0(VALU_DEP_4) | instskip(NEXT) | instid1(VALU_DEP_4)
	v_add_co_u32 v0, vcc_lo, v0, v16
	v_add_co_ci_u32_e32 v1, vcc_lo, v1, v17, vcc_lo
	s_lshl_b64 s[22:23], s[22:23], 4
	s_delay_alu instid0(VALU_DEP_2)
	v_add_co_u32 v144, vcc_lo, v0, 4
	s_add_u32 s16, s22, s16
	s_addc_u32 s17, s23, s17
	s_add_u32 s33, s16, s12
	v_add_co_ci_u32_e32 v145, vcc_lo, 0, v1, vcc_lo
	s_addc_u32 s34, s17, s13
	v_add_co_u32 v0, vcc_lo, s33, v2
	s_add_u32 s1, s1, s20
	v_add_co_ci_u32_e32 v1, vcc_lo, s34, v3, vcc_lo
	s_addc_u32 s5, s5, s21
	v_add_co_u32 v4, vcc_lo, s1, v2
	v_add_co_ci_u32_e32 v5, vcc_lo, s5, v3, vcc_lo
	v_add_co_u32 v146, vcc_lo, v16, v0
	v_add_co_ci_u32_e32 v147, vcc_lo, v17, v1, vcc_lo
	s_delay_alu instid0(VALU_DEP_4)
	v_add_co_u32 v0, vcc_lo, v4, v16
	s_add_u32 s1, s30, s22
	v_add_co_ci_u32_e32 v1, vcc_lo, v5, v17, vcc_lo
	s_addc_u32 s5, s31, s23
	v_add_co_u32 v4, vcc_lo, s1, v2
	v_add_co_ci_u32_e32 v5, vcc_lo, s5, v3, vcc_lo
	v_add_co_u32 v148, vcc_lo, v0, 4
	v_add_co_ci_u32_e32 v149, vcc_lo, 0, v1, vcc_lo
	s_delay_alu instid0(VALU_DEP_4)
	;; [unrolled: 9-line block ×4, first 2 shown]
	v_add_co_u32 v154, vcc_lo, v16, v4
	s_add_u32 s1, s30, s20
	v_add_co_ci_u32_e32 v155, vcc_lo, v17, v5, vcc_lo
	s_addc_u32 s5, s31, s21
	v_add_co_u32 v0, vcc_lo, s1, v2
	s_add_u32 s1, s16, s10
	v_add_co_ci_u32_e32 v1, vcc_lo, s5, v3, vcc_lo
	s_addc_u32 s5, s17, s11
	v_add_co_u32 v4, vcc_lo, s1, v2
	v_add_co_ci_u32_e32 v5, vcc_lo, s5, v3, vcc_lo
	v_add_co_u32 v156, vcc_lo, v16, v0
	v_add_co_ci_u32_e32 v157, vcc_lo, v17, v1, vcc_lo
	s_delay_alu instid0(VALU_DEP_4)
	v_add_co_u32 v158, vcc_lo, v16, v4
	s_add_u32 s1, s24, s12
	v_add_co_ci_u32_e32 v159, vcc_lo, v17, v5, vcc_lo
	s_addc_u32 s5, s25, s13
	v_add_co_u32 v0, vcc_lo, s1, v2
	v_add_co_ci_u32_e32 v1, vcc_lo, s5, v3, vcc_lo
	v_add_co_u32 v2, vcc_lo, s16, v2
	v_add_co_ci_u32_e32 v3, vcc_lo, s17, v3, vcc_lo
	s_delay_alu instid0(VALU_DEP_4) | instskip(NEXT) | instid1(VALU_DEP_4)
	v_add_co_u32 v0, vcc_lo, v0, v16
	v_add_co_ci_u32_e32 v1, vcc_lo, v1, v17, vcc_lo
	s_delay_alu instid0(VALU_DEP_4) | instskip(NEXT) | instid1(VALU_DEP_4)
	;; [unrolled: 3-line block ×3, first 2 shown]
	v_add_co_u32 v160, vcc_lo, v0, 4
	v_add_co_ci_u32_e32 v161, vcc_lo, 0, v1, vcc_lo
	s_delay_alu instid0(VALU_DEP_4)
	v_add_co_u32 v162, vcc_lo, v2, 4
	v_add_nc_u32_e32 v100, 0x2180, v96
	v_add_nc_u32_e32 v101, 0x2380, v96
	v_cmp_gt_u32_e64 s0, 64, v22
	v_or_b32_e32 v105, 1, v97
	v_or_b32_e32 v106, 2, v97
	;; [unrolled: 1-line block ×3, first 2 shown]
	v_lshl_add_u32 v108, v95, 5, 0x2180
	v_mad_u32_u24 v109, 0x860, v95, v96
	v_add_nc_u32_e32 v110, 16, v97
	v_add_nc_u32_e32 v111, 17, v97
	;; [unrolled: 1-line block ×12, first 2 shown]
	v_add_co_ci_u32_e32 v163, vcc_lo, 0, v3, vcc_lo
	v_add_nc_u32_e32 v164, v104, v6
	s_cmp_eq_u32 s15, s14
	s_cselect_b32 s10, s27, 0
	s_and_saveexec_b32 s1, s2
	s_cbranch_execz .LBB2_132
.LBB2_128:
	v_cmp_le_i32_e32 vcc_lo, s10, v25
	s_cmp_lg_u32 s10, 0
	s_cselect_b32 s5, -1, 0
	s_delay_alu instid0(SALU_CYCLE_1) | instskip(NEXT) | instid1(SALU_CYCLE_1)
	s_and_b32 s5, s5, vcc_lo
	s_and_saveexec_b32 s11, s5
	s_delay_alu instid0(SALU_CYCLE_1)
	s_xor_b32 s5, exec_lo, s11
	s_cbranch_execz .LBB2_130
; %bb.129:
	v_mov_b32_e32 v31, v30
	ds_store_b64 v100, v[30:31]
.LBB2_130:
	s_and_not1_saveexec_b32 s5, s5
	s_cbranch_execz .LBB2_132
; %bb.131:
	s_ashr_i32 s5, s4, 31
	s_delay_alu instid0(SALU_CYCLE_1) | instskip(NEXT) | instid1(SALU_CYCLE_1)
	s_lshl_b64 s[12:13], s[4:5], 3
	v_add_co_u32 v0, vcc_lo, v98, s12
	v_add_co_ci_u32_e32 v1, vcc_lo, s13, v99, vcc_lo
	global_load_b64 v[0:1], v[0:1], off
	s_waitcnt vmcnt(0)
	ds_store_b64 v100, v[0:1]
.LBB2_132:                              ; =>This Inner Loop Header: Depth=1
	s_or_b32 exec_lo, exec_lo, s1
	s_cmp_eq_u32 s10, 0
	v_add_co_u32 v0, vcc_lo, v124, v122
	s_cselect_b32 s5, -1, 0
	s_cmp_lg_u32 s10, 0
	v_add_co_ci_u32_e32 v1, vcc_lo, v125, v123, vcc_lo
	s_cselect_b32 s1, -1, 0
	s_waitcnt lgkmcnt(0)
	s_and_b32 vcc_lo, exec_lo, s1
	s_barrier
	buffer_gl0_inv
	s_cbranch_vccz .LBB2_140
; %bb.133:                              ;   in Loop: Header=BB2_132 Depth=1
	v_dual_mov_b32 v33, 0 :: v_dual_mov_b32 v32, 0
	v_mov_b32_e32 v31, 0
	s_mov_b32 s11, exec_lo
	v_cmpx_gt_i32_e64 s10, v97
	s_cbranch_execz .LBB2_135
; %bb.134:                              ;   in Loop: Header=BB2_132 Depth=1
	global_load_b64 v[31:32], v[0:1], off offset:-4
.LBB2_135:                              ;   in Loop: Header=BB2_132 Depth=1
	s_or_b32 exec_lo, exec_lo, s11
	v_mov_b32_e32 v34, 0
	s_mov_b32 s11, exec_lo
	v_cmpx_gt_i32_e64 s10, v105
	s_cbranch_execz .LBB2_137
; %bb.136:                              ;   in Loop: Header=BB2_132 Depth=1
	v_add_co_u32 v2, vcc_lo, v132, v122
	v_add_co_ci_u32_e32 v3, vcc_lo, v133, v123, vcc_lo
	global_load_b64 v[33:34], v[2:3], off offset:-4
.LBB2_137:                              ;   in Loop: Header=BB2_132 Depth=1
	s_or_b32 exec_lo, exec_lo, s11
	v_dual_mov_b32 v35, 0 :: v_dual_mov_b32 v36, 0
	s_mov_b32 s13, 0
	s_mov_b32 s11, exec_lo
	v_cmpx_gt_i32_e64 s10, v106
	s_cbranch_execz .LBB2_139
; %bb.138:                              ;   in Loop: Header=BB2_132 Depth=1
	v_add_co_u32 v2, vcc_lo, v136, v122
	v_add_co_ci_u32_e32 v3, vcc_lo, v137, v123, vcc_lo
	global_load_b64 v[35:36], v[2:3], off offset:-4
.LBB2_139:                              ;   in Loop: Header=BB2_132 Depth=1
	s_or_b32 exec_lo, exec_lo, s11
	v_cmp_gt_i32_e64 s11, s10, v107
	s_mov_b32 s12, 0
	s_and_b32 vcc_lo, exec_lo, s13
	s_cbranch_vccnz .LBB2_141
	s_branch .LBB2_142
.LBB2_140:                              ;   in Loop: Header=BB2_132 Depth=1
	s_mov_b32 s11, 0
                                        ; implicit-def: $vgpr32
                                        ; implicit-def: $vgpr34
                                        ; implicit-def: $vgpr36
                                        ; implicit-def: $sgpr12
	s_cbranch_execz .LBB2_142
.LBB2_141:                              ;   in Loop: Header=BB2_132 Depth=1
	v_add_co_u32 v2, vcc_lo, v132, v122
	v_add_co_ci_u32_e32 v3, vcc_lo, v133, v123, vcc_lo
	v_add_co_u32 v4, vcc_lo, v128, v122
	v_add_co_ci_u32_e32 v5, vcc_lo, v129, v123, vcc_lo
	global_load_b64 v[31:32], v[0:1], off offset:-4
	global_load_b64 v[33:34], v[2:3], off offset:-4
	global_load_b64 v[35:36], v[4:5], off
	s_or_b32 s11, s11, exec_lo
                                        ; implicit-def: $sgpr12
.LBB2_142:                              ;   in Loop: Header=BB2_132 Depth=1
	v_dual_mov_b32 v37, s12 :: v_dual_mov_b32 v38, s12
	s_and_saveexec_b32 s12, s11
	s_cbranch_execz .LBB2_144
; %bb.143:                              ;   in Loop: Header=BB2_132 Depth=1
	v_add_co_u32 v0, vcc_lo, v140, v122
	v_add_co_ci_u32_e32 v1, vcc_lo, v141, v123, vcc_lo
	global_load_b64 v[37:38], v[0:1], off offset:-4
.LBB2_144:                              ;   in Loop: Header=BB2_132 Depth=1
	s_or_b32 exec_lo, exec_lo, s12
	ds_load_b64 v[0:1], v101
	ds_load_b64 v[39:40], v108
	v_cndmask_b32_e64 v29, 0, 1, s1
	s_waitcnt vmcnt(0) lgkmcnt(1)
	v_dual_mul_f32 v2, v32, v1 :: v_dual_mul_f32 v5, v34, v0
	v_dual_mul_f32 v3, v32, v0 :: v_dual_mul_f32 v4, v34, v1
	;; [unrolled: 1-line block ×4, first 2 shown]
	s_delay_alu instid0(VALU_DEP_4) | instskip(NEXT) | instid1(VALU_DEP_4)
	v_fmac_f32_e32 v2, v31, v0
	v_fma_f32 v3, v31, v1, -v3
	v_fmac_f32_e32 v4, v33, v0
	v_fma_f32 v5, v33, v1, -v5
	;; [unrolled: 2-line block ×4, first 2 shown]
	ds_store_b64 v109, v[2:3]
	ds_load_b64 v[45:46], v108 offset:8
	ds_store_b64 v109, v[4:5] offset:536
	ds_load_b64 v[43:44], v108 offset:16
	ds_store_b64 v109, v[6:7] offset:1072
	;; [unrolled: 2-line block ×3, first 2 shown]
	s_waitcnt lgkmcnt(0)
	s_barrier
	buffer_gl0_inv
	ds_load_2addr_b64 v[4:7], v104 offset1:1
	ds_load_2addr_b64 v[0:3], v104 offset0:2 offset1:3
	v_add_co_u32 v8, vcc_lo, v144, v122
	v_add_co_ci_u32_e32 v9, vcc_lo, v145, v123, vcc_lo
	s_and_not1_b32 vcc_lo, exec_lo, s1
	s_waitcnt lgkmcnt(0)
	s_barrier
	buffer_gl0_inv
	s_cbranch_vccnz .LBB2_152
; %bb.145:                              ;   in Loop: Header=BB2_132 Depth=1
	v_dual_mov_b32 v47, 0 :: v_dual_mov_b32 v50, 0
	v_mov_b32_e32 v49, 0
	s_mov_b32 s1, exec_lo
	v_cmpx_gt_i32_e64 s10, v110
	s_cbranch_execz .LBB2_147
; %bb.146:                              ;   in Loop: Header=BB2_132 Depth=1
	global_load_b64 v[49:50], v[8:9], off offset:-4
.LBB2_147:                              ;   in Loop: Header=BB2_132 Depth=1
	s_or_b32 exec_lo, exec_lo, s1
	v_mov_b32_e32 v48, 0
	s_mov_b32 s1, exec_lo
	v_cmpx_gt_i32_e64 s10, v111
	s_cbranch_execz .LBB2_149
; %bb.148:                              ;   in Loop: Header=BB2_132 Depth=1
	v_add_co_u32 v10, vcc_lo, v148, v122
	v_add_co_ci_u32_e32 v11, vcc_lo, v149, v123, vcc_lo
	global_load_b64 v[47:48], v[10:11], off offset:-4
.LBB2_149:                              ;   in Loop: Header=BB2_132 Depth=1
	s_or_b32 exec_lo, exec_lo, s1
	v_dual_mov_b32 v51, 0 :: v_dual_mov_b32 v52, 0
	s_mov_b32 s12, 0
	s_mov_b32 s1, exec_lo
	v_cmpx_gt_i32_e64 s10, v112
	s_cbranch_execz .LBB2_151
; %bb.150:                              ;   in Loop: Header=BB2_132 Depth=1
	v_add_co_u32 v10, vcc_lo, v152, v122
	v_add_co_ci_u32_e32 v11, vcc_lo, v153, v123, vcc_lo
	global_load_b64 v[51:52], v[10:11], off offset:-4
.LBB2_151:                              ;   in Loop: Header=BB2_132 Depth=1
	s_or_b32 exec_lo, exec_lo, s1
	v_cmp_gt_i32_e64 s1, s10, v113
	s_mov_b32 s11, 0
	s_and_b32 vcc_lo, exec_lo, s12
	s_cbranch_vccnz .LBB2_153
	s_branch .LBB2_154
.LBB2_152:                              ;   in Loop: Header=BB2_132 Depth=1
	s_mov_b32 s1, 0
                                        ; implicit-def: $vgpr50
                                        ; implicit-def: $vgpr48
                                        ; implicit-def: $vgpr52
                                        ; implicit-def: $sgpr11
	s_cbranch_execz .LBB2_154
.LBB2_153:                              ;   in Loop: Header=BB2_132 Depth=1
	v_add_co_u32 v10, vcc_lo, v148, v122
	v_add_co_ci_u32_e32 v11, vcc_lo, v149, v123, vcc_lo
	v_add_co_u32 v12, vcc_lo, v156, v122
	v_add_co_ci_u32_e32 v13, vcc_lo, v157, v123, vcc_lo
	global_load_b64 v[49:50], v[8:9], off offset:-4
	global_load_b64 v[47:48], v[10:11], off offset:-4
	global_load_b64 v[51:52], v[12:13], off
	s_or_b32 s1, s1, exec_lo
                                        ; implicit-def: $sgpr11
.LBB2_154:                              ;   in Loop: Header=BB2_132 Depth=1
	v_dual_mov_b32 v53, s11 :: v_dual_mov_b32 v54, s11
	s_and_saveexec_b32 s11, s1
	s_cbranch_execz .LBB2_156
; %bb.155:                              ;   in Loop: Header=BB2_132 Depth=1
	v_add_co_u32 v8, vcc_lo, v160, v122
	v_add_co_ci_u32_e32 v9, vcc_lo, v161, v123, vcc_lo
	global_load_b64 v[53:54], v[8:9], off offset:-4
.LBB2_156:                              ;   in Loop: Header=BB2_132 Depth=1
	s_or_b32 exec_lo, exec_lo, s11
	ds_load_b64 v[8:9], v101
	ds_load_b64 v[55:56], v108 offset:128
	v_cmp_ne_u32_e32 vcc_lo, 1, v29
	s_and_b32 vcc_lo, exec_lo, vcc_lo
	s_waitcnt vmcnt(0) lgkmcnt(1)
	v_dual_mul_f32 v10, v50, v9 :: v_dual_mul_f32 v13, v48, v8
	v_dual_mul_f32 v11, v50, v8 :: v_dual_mul_f32 v12, v48, v9
	;; [unrolled: 1-line block ×4, first 2 shown]
	s_delay_alu instid0(VALU_DEP_4) | instskip(NEXT) | instid1(VALU_DEP_4)
	v_fmac_f32_e32 v10, v49, v8
	v_fma_f32 v11, v49, v9, -v11
	v_fmac_f32_e32 v12, v47, v8
	v_fma_f32 v13, v47, v9, -v13
	;; [unrolled: 2-line block ×4, first 2 shown]
	ds_store_b64 v109, v[10:11]
	ds_load_b64 v[61:62], v108 offset:136
	ds_store_b64 v109, v[12:13] offset:536
	ds_load_b64 v[59:60], v108 offset:144
	ds_store_b64 v109, v[14:15] offset:1072
	;; [unrolled: 2-line block ×3, first 2 shown]
	s_waitcnt lgkmcnt(0)
	s_barrier
	buffer_gl0_inv
	ds_load_2addr_b64 v[12:15], v104 offset1:1
	ds_load_2addr_b64 v[8:11], v104 offset0:2 offset1:3
	v_add_co_u32 v16, s1, v162, v122
	s_delay_alu instid0(VALU_DEP_1)
	v_add_co_ci_u32_e64 v17, s1, v163, v123, s1
	s_waitcnt lgkmcnt(0)
	s_barrier
	buffer_gl0_inv
	s_cbranch_vccnz .LBB2_164
; %bb.157:                              ;   in Loop: Header=BB2_132 Depth=1
	v_dual_mov_b32 v63, 0 :: v_dual_mov_b32 v66, 0
	v_mov_b32_e32 v65, 0
	s_mov_b32 s1, exec_lo
	v_cmpx_gt_i32_e64 s10, v114
	s_cbranch_execz .LBB2_159
; %bb.158:                              ;   in Loop: Header=BB2_132 Depth=1
	global_load_b64 v[65:66], v[16:17], off offset:-4
.LBB2_159:                              ;   in Loop: Header=BB2_132 Depth=1
	s_or_b32 exec_lo, exec_lo, s1
	v_mov_b32_e32 v64, 0
	s_mov_b32 s1, exec_lo
	v_cmpx_gt_i32_e64 s10, v115
	s_cbranch_execz .LBB2_161
; %bb.160:                              ;   in Loop: Header=BB2_132 Depth=1
	v_add_co_u32 v18, vcc_lo, v158, v122
	v_add_co_ci_u32_e32 v19, vcc_lo, v159, v123, vcc_lo
	global_load_b64 v[63:64], v[18:19], off
.LBB2_161:                              ;   in Loop: Header=BB2_132 Depth=1
	s_or_b32 exec_lo, exec_lo, s1
	v_dual_mov_b32 v67, 0 :: v_dual_mov_b32 v68, 0
	s_mov_b32 s12, 0
	s_mov_b32 s1, exec_lo
	v_cmpx_gt_i32_e64 s10, v116
	s_cbranch_execz .LBB2_163
; %bb.162:                              ;   in Loop: Header=BB2_132 Depth=1
	v_add_co_u32 v18, vcc_lo, v154, v122
	v_add_co_ci_u32_e32 v19, vcc_lo, v155, v123, vcc_lo
	global_load_b64 v[67:68], v[18:19], off
.LBB2_163:                              ;   in Loop: Header=BB2_132 Depth=1
	s_or_b32 exec_lo, exec_lo, s1
	v_cmp_gt_i32_e64 s1, s10, v117
	s_mov_b32 s11, 0
	s_and_b32 vcc_lo, exec_lo, s12
	s_cbranch_vccnz .LBB2_165
	s_branch .LBB2_166
.LBB2_164:                              ;   in Loop: Header=BB2_132 Depth=1
	s_mov_b32 s1, 0
                                        ; implicit-def: $vgpr66
                                        ; implicit-def: $vgpr64
                                        ; implicit-def: $vgpr68
                                        ; implicit-def: $sgpr11
	s_cbranch_execz .LBB2_166
.LBB2_165:                              ;   in Loop: Header=BB2_132 Depth=1
	v_add_co_u32 v18, vcc_lo, v158, v122
	v_add_co_ci_u32_e32 v19, vcc_lo, v159, v123, vcc_lo
	v_add_co_u32 v20, vcc_lo, v150, v122
	v_add_co_ci_u32_e32 v21, vcc_lo, v151, v123, vcc_lo
	global_load_b64 v[65:66], v[16:17], off offset:-4
	global_load_b64 v[63:64], v[18:19], off
	global_load_b64 v[67:68], v[20:21], off offset:-4
	s_or_b32 s1, s1, exec_lo
                                        ; implicit-def: $sgpr11
.LBB2_166:                              ;   in Loop: Header=BB2_132 Depth=1
	v_dual_mov_b32 v69, s11 :: v_dual_mov_b32 v70, s11
	s_and_saveexec_b32 s11, s1
	s_cbranch_execz .LBB2_168
; %bb.167:                              ;   in Loop: Header=BB2_132 Depth=1
	v_add_co_u32 v16, vcc_lo, v146, v122
	v_add_co_ci_u32_e32 v17, vcc_lo, v147, v123, vcc_lo
	global_load_b64 v[69:70], v[16:17], off
.LBB2_168:                              ;   in Loop: Header=BB2_132 Depth=1
	s_or_b32 exec_lo, exec_lo, s11
	ds_load_b64 v[16:17], v101
	ds_load_b64 v[71:72], v108 offset:256
	v_cmp_ne_u32_e32 vcc_lo, 1, v29
	v_add_co_u32 v85, s1, v142, v122
	s_delay_alu instid0(VALU_DEP_1)
	v_add_co_ci_u32_e64 v86, s1, v143, v123, s1
	s_and_b32 vcc_lo, exec_lo, vcc_lo
	s_waitcnt vmcnt(0) lgkmcnt(1)
	v_dual_mul_f32 v18, v66, v17 :: v_dual_mul_f32 v21, v64, v16
	v_dual_mul_f32 v19, v66, v16 :: v_dual_mul_f32 v20, v64, v17
	v_dual_mul_f32 v22, v68, v17 :: v_dual_mul_f32 v73, v70, v16
	v_mul_f32_e32 v23, v68, v16
	s_delay_alu instid0(VALU_DEP_4) | instskip(NEXT) | instid1(VALU_DEP_4)
	v_dual_mul_f32 v79, v70, v17 :: v_dual_fmac_f32 v18, v65, v16
	v_fma_f32 v19, v65, v17, -v19
	v_fmac_f32_e32 v20, v63, v16
	v_fma_f32 v21, v63, v17, -v21
	v_fmac_f32_e32 v22, v67, v16
	;; [unrolled: 2-line block ×3, first 2 shown]
	v_fma_f32 v80, v69, v17, -v73
	ds_store_b64 v109, v[18:19]
	ds_load_b64 v[77:78], v108 offset:264
	ds_store_b64 v109, v[20:21] offset:536
	ds_load_b64 v[75:76], v108 offset:272
	ds_store_b64 v109, v[22:23] offset:1072
	;; [unrolled: 2-line block ×3, first 2 shown]
	s_waitcnt lgkmcnt(0)
	s_barrier
	buffer_gl0_inv
	ds_load_2addr_b64 v[20:23], v104 offset1:1
	ds_load_2addr_b64 v[16:19], v104 offset0:2 offset1:3
	s_waitcnt lgkmcnt(0)
	s_barrier
	buffer_gl0_inv
	s_cbranch_vccnz .LBB2_176
; %bb.169:                              ;   in Loop: Header=BB2_132 Depth=1
	v_dual_mov_b32 v81, 0 :: v_dual_mov_b32 v80, 0
	v_mov_b32_e32 v79, 0
	s_mov_b32 s1, exec_lo
	v_cmpx_gt_i32_e64 s10, v118
	s_cbranch_execz .LBB2_171
; %bb.170:                              ;   in Loop: Header=BB2_132 Depth=1
	global_load_b64 v[79:80], v[85:86], off
.LBB2_171:                              ;   in Loop: Header=BB2_132 Depth=1
	s_or_b32 exec_lo, exec_lo, s1
	v_mov_b32_e32 v82, 0
	s_mov_b32 s1, exec_lo
	v_cmpx_gt_i32_e64 s10, v119
	s_cbranch_execz .LBB2_173
; %bb.172:                              ;   in Loop: Header=BB2_132 Depth=1
	v_add_co_u32 v81, vcc_lo, v138, v122
	v_add_co_ci_u32_e32 v82, vcc_lo, v139, v123, vcc_lo
	global_load_b64 v[81:82], v[81:82], off
.LBB2_173:                              ;   in Loop: Header=BB2_132 Depth=1
	s_or_b32 exec_lo, exec_lo, s1
	v_dual_mov_b32 v83, 0 :: v_dual_mov_b32 v84, 0
	s_mov_b32 s12, 0
	s_mov_b32 s1, exec_lo
	v_cmpx_gt_i32_e64 s10, v120
	s_cbranch_execz .LBB2_175
; %bb.174:                              ;   in Loop: Header=BB2_132 Depth=1
	v_add_co_u32 v83, vcc_lo, v134, v122
	v_add_co_ci_u32_e32 v84, vcc_lo, v135, v123, vcc_lo
	global_load_b64 v[83:84], v[83:84], off
.LBB2_175:                              ;   in Loop: Header=BB2_132 Depth=1
	s_or_b32 exec_lo, exec_lo, s1
	v_cmp_gt_i32_e64 s1, s10, v121
	s_mov_b32 s11, 0
	s_and_b32 vcc_lo, exec_lo, s12
	s_cbranch_vccnz .LBB2_177
	s_branch .LBB2_178
.LBB2_176:                              ;   in Loop: Header=BB2_132 Depth=1
	s_mov_b32 s1, 0
                                        ; implicit-def: $vgpr80
                                        ; implicit-def: $vgpr82
                                        ; implicit-def: $vgpr84
                                        ; implicit-def: $sgpr11
	s_cbranch_execz .LBB2_178
.LBB2_177:                              ;   in Loop: Header=BB2_132 Depth=1
	s_waitcnt vmcnt(0)
	v_add_co_u32 v81, vcc_lo, v138, v122
	v_add_co_ci_u32_e32 v82, vcc_lo, v139, v123, vcc_lo
	v_add_co_u32 v83, vcc_lo, v130, v122
	v_add_co_ci_u32_e32 v84, vcc_lo, v131, v123, vcc_lo
	global_load_b64 v[79:80], v[85:86], off
	global_load_b64 v[81:82], v[81:82], off
	global_load_b64 v[83:84], v[83:84], off offset:-4
	s_or_b32 s1, s1, exec_lo
                                        ; implicit-def: $sgpr11
.LBB2_178:                              ;   in Loop: Header=BB2_132 Depth=1
	v_dual_mov_b32 v85, s11 :: v_dual_mov_b32 v86, s11
	s_and_saveexec_b32 s11, s1
	s_cbranch_execz .LBB2_180
; %bb.179:                              ;   in Loop: Header=BB2_132 Depth=1
	v_add_co_u32 v85, vcc_lo, v126, v122
	v_add_co_ci_u32_e32 v86, vcc_lo, v127, v123, vcc_lo
	global_load_b64 v[85:86], v[85:86], off
.LBB2_180:                              ;   in Loop: Header=BB2_132 Depth=1
	s_or_b32 exec_lo, exec_lo, s11
	ds_load_b64 v[89:90], v101
	ds_load_b64 v[87:88], v108 offset:384
	v_cmp_gt_i32_e32 vcc_lo, s10, v25
	v_add_f32_e32 v20, 0, v20
	v_add_f32_e32 v12, 0, v12
	;; [unrolled: 1-line block ×3, first 2 shown]
	s_or_b32 s1, s5, vcc_lo
	s_delay_alu instid0(SALU_CYCLE_1) | instskip(NEXT) | instid1(VALU_DEP_2)
	s_and_b32 s5, s0, s1
	v_add_f32_e32 v12, v12, v14
	s_delay_alu instid0(VALU_DEP_2) | instskip(NEXT) | instid1(VALU_DEP_2)
	v_add_f32_e32 v4, v4, v6
	v_dual_add_f32 v8, v12, v8 :: v_dual_add_f32 v5, 0, v5
	s_waitcnt vmcnt(0) lgkmcnt(1)
	v_mul_f32_e32 v29, v80, v89
	v_dual_mul_f32 v91, v80, v90 :: v_dual_mul_f32 v170, v86, v89
	v_dual_mul_f32 v165, v82, v90 :: v_dual_mul_f32 v94, v84, v89
	v_mul_f32_e32 v93, v82, v89
	v_mul_f32_e32 v167, v84, v90
	v_fma_f32 v92, v79, v90, -v29
	v_add_f32_e32 v29, v20, v22
	v_mul_f32_e32 v169, v86, v90
	v_fmac_f32_e32 v91, v79, v89
	v_fmac_f32_e32 v165, v81, v89
	v_fma_f32 v166, v81, v90, -v93
	v_fmac_f32_e32 v167, v83, v89
	v_fma_f32 v168, v83, v90, -v94
	v_fma_f32 v170, v85, v90, -v170
	v_add_f32_e32 v6, v29, v16
	v_fmac_f32_e32 v169, v85, v89
	ds_store_b64 v109, v[91:92]
	ds_load_b64 v[93:94], v108 offset:392
	ds_store_b64 v109, v[165:166] offset:536
	ds_load_b64 v[91:92], v108 offset:400
	ds_store_b64 v109, v[167:168] offset:1072
	;; [unrolled: 2-line block ×3, first 2 shown]
	s_waitcnt lgkmcnt(0)
	s_barrier
	buffer_gl0_inv
	ds_load_2addr_b64 v[165:168], v104 offset1:1
	v_add_f32_e32 v21, 0, v21
	v_add_f32_e32 v13, 0, v13
	s_delay_alu instid0(VALU_DEP_2)
	v_add_f32_e32 v169, v21, v23
	ds_load_2addr_b64 v[20:23], v104 offset0:2 offset1:3
	v_add_f32_e32 v13, v13, v15
	s_waitcnt lgkmcnt(0)
	s_barrier
	buffer_gl0_inv
	v_add_f32_e32 v9, v13, v9
	v_add_f32_e32 v13, v4, v0
	v_dual_add_f32 v4, v8, v10 :: v_dual_add_f32 v5, v5, v7
	v_add_f32_e32 v0, v6, v18
	s_delay_alu instid0(VALU_DEP_3) | instskip(SKIP_1) | instid1(VALU_DEP_4)
	v_add_f32_e32 v2, v13, v2
	v_add_f32_e32 v12, 0, v165
	v_dual_add_f32 v14, 0, v166 :: v_dual_add_f32 v15, v5, v1
	s_delay_alu instid0(VALU_DEP_1) | instskip(NEXT) | instid1(VALU_DEP_1)
	v_dual_add_f32 v5, v12, v167 :: v_dual_add_f32 v12, v14, v168
	v_dual_add_f32 v3, v15, v3 :: v_dual_add_f32 v6, v5, v20
	s_delay_alu instid0(VALU_DEP_1) | instskip(SKIP_1) | instid1(VALU_DEP_1)
	v_dual_add_f32 v5, v9, v11 :: v_dual_add_f32 v6, v6, v22
	v_add_f32_e32 v7, v169, v17
	v_add_f32_e32 v1, v7, v19
	;; [unrolled: 1-line block ×3, first 2 shown]
	s_delay_alu instid0(VALU_DEP_1)
	v_add_f32_e32 v7, v7, v23
	ds_store_2addr_b64 v164, v[2:3], v[4:5] offset1:16
	ds_store_2addr_b64 v164, v[0:1], v[6:7] offset0:32 offset1:48
	s_waitcnt lgkmcnt(0)
	s_barrier
	buffer_gl0_inv
	s_and_saveexec_b32 s1, s5
	s_cbranch_execz .LBB2_182
; %bb.181:                              ;   in Loop: Header=BB2_132 Depth=1
	ds_load_b64 v[11:12], v102
	ds_load_2addr_b64 v[0:3], v102 offset0:1 offset1:2
	ds_load_2addr_b64 v[4:7], v102 offset0:3 offset1:4
	v_ashrrev_i32_e32 v29, 31, v28
	s_waitcnt lgkmcnt(1)
	v_dual_add_f32 v0, v0, v11 :: v_dual_add_f32 v1, v1, v12
	ds_load_2addr_b64 v[8:11], v102 offset0:5 offset1:6
	v_add_f32_e32 v0, v0, v2
	v_add_f32_e32 v12, v1, v3
	s_waitcnt lgkmcnt(1)
	s_delay_alu instid0(VALU_DEP_2) | instskip(SKIP_3) | instid1(VALU_DEP_2)
	v_add_f32_e32 v4, v0, v4
	ds_load_2addr_b64 v[0:3], v102 offset0:7 offset1:8
	v_add_f32_e32 v5, v12, v5
	v_add_f32_e32 v4, v4, v6
	;; [unrolled: 1-line block ×3, first 2 shown]
	s_waitcnt lgkmcnt(1)
	s_delay_alu instid0(VALU_DEP_2) | instskip(SKIP_3) | instid1(VALU_DEP_2)
	v_add_f32_e32 v8, v4, v8
	ds_load_2addr_b64 v[4:7], v102 offset0:9 offset1:10
	v_add_f32_e32 v9, v12, v9
	v_add_f32_e32 v8, v8, v10
	;; [unrolled: 1-line block ×3, first 2 shown]
	s_waitcnt lgkmcnt(1)
	s_delay_alu instid0(VALU_DEP_2) | instskip(SKIP_4) | instid1(VALU_DEP_1)
	v_add_f32_e32 v0, v8, v0
	ds_load_2addr_b64 v[8:11], v102 offset0:11 offset1:12
	v_add_f32_e32 v1, v12, v1
	v_add_f32_e32 v12, v0, v2
	s_waitcnt lgkmcnt(1)
	v_add_f32_e32 v4, v12, v4
	s_delay_alu instid0(VALU_DEP_1) | instskip(SKIP_1) | instid1(VALU_DEP_1)
	v_add_f32_e32 v6, v4, v6
	s_waitcnt lgkmcnt(0)
	v_add_f32_e32 v6, v6, v8
	s_delay_alu instid0(VALU_DEP_1) | instskip(SKIP_2) | instid1(VALU_DEP_1)
	v_dual_add_f32 v6, v6, v10 :: v_dual_add_f32 v13, v1, v3
	ds_load_2addr_b64 v[0:3], v102 offset0:13 offset1:14
	v_add_f32_e32 v5, v13, v5
	v_add_f32_e32 v7, v5, v7
	ds_load_b64 v[4:5], v103
	v_add_f32_e32 v7, v7, v9
	s_waitcnt lgkmcnt(1)
	s_delay_alu instid0(VALU_DEP_1) | instskip(NEXT) | instid1(VALU_DEP_1)
	v_dual_add_f32 v7, v7, v11 :: v_dual_add_f32 v0, v6, v0
	v_dual_add_f32 v1, v7, v1 :: v_dual_add_f32 v2, v0, v2
	s_delay_alu instid0(VALU_DEP_1) | instskip(SKIP_2) | instid1(VALU_DEP_2)
	v_add_f32_e32 v3, v1, v3
	v_lshlrev_b64 v[0:1], 3, v[28:29]
	s_waitcnt lgkmcnt(0)
	v_dual_add_f32 v2, v2, v4 :: v_dual_add_f32 v3, v3, v5
	s_delay_alu instid0(VALU_DEP_2) | instskip(NEXT) | instid1(VALU_DEP_3)
	v_add_co_u32 v0, vcc_lo, s3, v0
	v_add_co_ci_u32_e32 v1, vcc_lo, s9, v1, vcc_lo
	global_store_b64 v[0:1], v[2:3], off
.LBB2_182:                              ;   in Loop: Header=BB2_132 Depth=1
	s_or_b32 exec_lo, exec_lo, s1
	v_dual_mul_f32 v0, v32, v40 :: v_dual_mul_f32 v3, v33, v46
	v_dual_mul_f32 v1, v31, v40 :: v_dual_mul_f32 v2, v34, v46
	;; [unrolled: 1-line block ×3, first 2 shown]
	s_delay_alu instid0(VALU_DEP_3) | instskip(SKIP_1) | instid1(VALU_DEP_4)
	v_fma_f32 v0, v31, v39, -v0
	v_dual_mul_f32 v5, v35, v44 :: v_dual_mul_f32 v6, v38, v42
	v_fma_f32 v2, v33, v45, -v2
	s_delay_alu instid0(VALU_DEP_3) | instskip(SKIP_2) | instid1(VALU_DEP_3)
	v_dual_fmac_f32 v1, v32, v39 :: v_dual_add_f32 v0, v26, v0
	v_mul_f32_e32 v9, v49, v56
	v_fma_f32 v4, v35, v43, -v4
	v_dual_mul_f32 v8, v50, v56 :: v_dual_add_f32 v1, v27, v1
	s_delay_alu instid0(VALU_DEP_4) | instskip(SKIP_3) | instid1(VALU_DEP_4)
	v_add_f32_e32 v0, v0, v2
	v_dual_mul_f32 v2, v48, v62 :: v_dual_fmac_f32 v3, v34, v45
	v_fma_f32 v6, v37, v41, -v6
	v_fmac_f32_e32 v5, v36, v43
	v_add_f32_e32 v0, v0, v4
	s_delay_alu instid0(VALU_DEP_4) | instskip(SKIP_1) | instid1(VALU_DEP_3)
	v_dual_mul_f32 v4, v47, v62 :: v_dual_add_f32 v1, v1, v3
	v_fma_f32 v3, v49, v55, -v8
	v_dual_fmac_f32 v7, v38, v41 :: v_dual_add_f32 v0, v0, v6
	s_delay_alu instid0(VALU_DEP_3) | instskip(SKIP_2) | instid1(VALU_DEP_4)
	v_dual_mul_f32 v6, v52, v60 :: v_dual_add_f32 v1, v1, v5
	v_fma_f32 v2, v47, v61, -v2
	v_fmac_f32_e32 v4, v48, v61
	v_dual_add_f32 v0, v0, v3 :: v_dual_mul_f32 v3, v54, v58
	v_fmac_f32_e32 v9, v50, v55
	v_add_f32_e32 v1, v1, v7
	v_fma_f32 v5, v51, v59, -v6
	s_delay_alu instid0(VALU_DEP_4) | instskip(SKIP_4) | instid1(VALU_DEP_4)
	v_add_f32_e32 v0, v0, v2
	v_mul_f32_e32 v2, v51, v60
	v_fma_f32 v3, v53, v57, -v3
	v_add_f32_e32 v1, v1, v9
	v_add_co_u32 v124, vcc_lo, v124, s6
	v_fmac_f32_e32 v2, v52, v59
	v_dual_add_f32 v0, v0, v5 :: v_dual_mul_f32 v5, v66, v72
	s_delay_alu instid0(VALU_DEP_4) | instskip(SKIP_2) | instid1(VALU_DEP_3)
	v_add_f32_e32 v1, v1, v4
	v_mul_f32_e32 v4, v53, v58
	v_add_co_ci_u32_e32 v125, vcc_lo, s7, v125, vcc_lo
	v_dual_add_f32 v0, v0, v3 :: v_dual_add_f32 v1, v1, v2
	v_fma_f32 v3, v65, v71, -v5
	v_mul_f32_e32 v5, v64, v78
	v_add_co_u32 v126, vcc_lo, v126, s6
	v_add_co_ci_u32_e32 v127, vcc_lo, s7, v127, vcc_lo
	s_delay_alu instid0(VALU_DEP_4) | instskip(NEXT) | instid1(VALU_DEP_4)
	v_add_f32_e32 v0, v0, v3
	v_fma_f32 v3, v63, v77, -v5
	v_dual_mul_f32 v5, v68, v76 :: v_dual_fmac_f32 v4, v54, v57
	v_add_co_u32 v128, vcc_lo, v128, s6
	v_add_co_ci_u32_e32 v129, vcc_lo, s7, v129, vcc_lo
	s_delay_alu instid0(VALU_DEP_3)
	v_add_f32_e32 v1, v1, v4
	v_mul_f32_e32 v2, v65, v72
	v_add_f32_e32 v0, v0, v3
	v_fma_f32 v3, v67, v75, -v5
	v_mul_f32_e32 v5, v70, v74
	v_add_co_u32 v130, vcc_lo, v130, s6
	v_add_co_ci_u32_e32 v131, vcc_lo, s7, v131, vcc_lo
	v_add_co_u32 v132, vcc_lo, v132, s6
	v_add_f32_e32 v0, v0, v3
	v_fma_f32 v3, v69, v73, -v5
	v_mul_f32_e32 v5, v69, v74
	v_mul_f32_e32 v4, v63, v78
	v_add_co_ci_u32_e32 v133, vcc_lo, s7, v133, vcc_lo
	v_add_co_u32 v134, vcc_lo, v134, s6
	s_delay_alu instid0(VALU_DEP_4)
	v_fmac_f32_e32 v5, v70, v73
	v_add_co_ci_u32_e32 v135, vcc_lo, s7, v135, vcc_lo
	v_add_co_u32 v136, vcc_lo, v136, s6
	v_fmac_f32_e32 v4, v64, v77
	v_fmac_f32_e32 v2, v66, v71
	v_add_co_ci_u32_e32 v137, vcc_lo, s7, v137, vcc_lo
	v_add_co_u32 v138, vcc_lo, v138, s6
	v_add_co_ci_u32_e32 v139, vcc_lo, s7, v139, vcc_lo
	s_delay_alu instid0(VALU_DEP_4) | instskip(SKIP_3) | instid1(VALU_DEP_4)
	v_dual_add_f32 v1, v1, v2 :: v_dual_mul_f32 v2, v67, v76
	v_add_co_u32 v140, vcc_lo, v140, s6
	v_add_co_ci_u32_e32 v141, vcc_lo, s7, v141, vcc_lo
	v_add_co_u32 v142, vcc_lo, v142, s6
	v_add_f32_e32 v1, v1, v4
	v_mul_f32_e32 v4, v80, v88
	v_dual_add_f32 v0, v0, v3 :: v_dual_mul_f32 v3, v82, v94
	v_fmac_f32_e32 v2, v68, v75
	v_add_co_ci_u32_e32 v143, vcc_lo, s7, v143, vcc_lo
	v_add_co_u32 v144, vcc_lo, v144, s6
	v_add_co_ci_u32_e32 v145, vcc_lo, s7, v145, vcc_lo
	v_add_co_u32 v146, vcc_lo, v146, s6
	v_add_f32_e32 v1, v1, v2
	v_fma_f32 v2, v79, v87, -v4
	v_mul_f32_e32 v4, v79, v88
	v_add_co_ci_u32_e32 v147, vcc_lo, s7, v147, vcc_lo
	v_add_co_u32 v148, vcc_lo, v148, s6
	v_add_co_ci_u32_e32 v149, vcc_lo, s7, v149, vcc_lo
	s_delay_alu instid0(VALU_DEP_4)
	v_dual_add_f32 v1, v1, v5 :: v_dual_fmac_f32 v4, v80, v87
	v_add_f32_e32 v0, v0, v2
	v_fma_f32 v2, v81, v93, -v3
	v_mul_f32_e32 v3, v81, v94
	v_dual_mul_f32 v5, v84, v92 :: v_dual_mul_f32 v6, v85, v90
	v_add_co_u32 v150, vcc_lo, v150, s6
	v_add_co_ci_u32_e32 v151, vcc_lo, s7, v151, vcc_lo
	v_add_co_u32 v152, vcc_lo, v152, s6
	v_fmac_f32_e32 v3, v82, v93
	v_dual_add_f32 v1, v1, v4 :: v_dual_add_f32 v0, v0, v2
	v_fmac_f32_e32 v6, v86, v89
	v_mul_f32_e32 v2, v83, v92
	v_add_co_ci_u32_e32 v153, vcc_lo, s7, v153, vcc_lo
	v_add_co_u32 v154, vcc_lo, v154, s6
	v_add_co_ci_u32_e32 v155, vcc_lo, s7, v155, vcc_lo
	v_add_co_u32 v156, vcc_lo, v156, s6
	v_fma_f32 v4, v83, v91, -v5
	v_dual_mul_f32 v5, v86, v90 :: v_dual_fmac_f32 v2, v84, v91
	v_add_f32_e32 v1, v1, v3
	v_add_co_ci_u32_e32 v157, vcc_lo, s7, v157, vcc_lo
	v_add_co_u32 v158, vcc_lo, v158, s6
	v_add_co_ci_u32_e32 v159, vcc_lo, s7, v159, vcc_lo
	v_add_f32_e32 v0, v0, v4
	v_fma_f32 v3, v85, v89, -v5
	v_add_f32_e32 v1, v1, v2
	v_add_co_u32 v160, vcc_lo, v160, s6
	v_add_co_ci_u32_e32 v161, vcc_lo, s7, v161, vcc_lo
	s_delay_alu instid0(VALU_DEP_3)
	v_add_f32_e32 v27, v1, v6
	v_add_co_u32 v162, vcc_lo, v162, s6
	v_add_f32_e32 v26, v0, v3
	v_add_nc_u32_e32 v28, 64, v28
	v_add_co_ci_u32_e32 v163, vcc_lo, s7, v163, vcc_lo
	s_add_i32 s5, s14, 2
	s_add_i32 s1, s14, 1
	;; [unrolled: 1-line block ×3, first 2 shown]
	s_cmp_ge_u32 s5, s26
	s_waitcnt_vscnt null, 0x0
	s_barrier
	buffer_gl0_inv
	s_cbranch_scc1 .LBB2_184
; %bb.183:                              ;   in Loop: Header=BB2_132 Depth=1
	s_mov_b32 s14, s1
	s_delay_alu instid0(SALU_CYCLE_1)
	s_cmp_eq_u32 s15, s14
	s_cselect_b32 s10, s27, 0
	s_and_saveexec_b32 s1, s2
	s_cbranch_execnz .LBB2_128
	s_branch .LBB2_132
.LBB2_184:
	v_cmp_gt_i32_e32 vcc_lo, s8, v25
	v_mad_u32_u24 v0, 0x218, v95, v96
	s_or_b32 s0, s28, vcc_lo
	ds_store_b64 v0, v[26:27]
	s_and_b32 s0, s2, s0
	s_waitcnt lgkmcnt(0)
	s_barrier
	buffer_gl0_inv
	s_and_saveexec_b32 s1, s0
	s_cbranch_execz .LBB2_186
; %bb.185:
	ds_load_2addr_b64 v[0:3], v96 offset1:67
	ds_load_2addr_b64 v[4:7], v96 offset0:134 offset1:201
	v_ashrrev_i32_e32 v25, 31, v24
	s_waitcnt lgkmcnt(1)
	v_dual_add_f32 v0, v2, v0 :: v_dual_add_f32 v1, v3, v1
	s_waitcnt lgkmcnt(0)
	s_delay_alu instid0(VALU_DEP_1) | instskip(SKIP_1) | instid1(VALU_DEP_2)
	v_dual_add_f32 v2, v0, v4 :: v_dual_add_f32 v3, v1, v5
	v_lshlrev_b64 v[0:1], 3, v[24:25]
	v_dual_add_f32 v2, v2, v6 :: v_dual_add_f32 v3, v3, v7
	s_delay_alu instid0(VALU_DEP_2) | instskip(NEXT) | instid1(VALU_DEP_3)
	v_add_co_u32 v0, vcc_lo, s3, v0
	v_add_co_ci_u32_e32 v1, vcc_lo, s9, v1, vcc_lo
	global_store_b64 v[0:1], v[2:3], off
.LBB2_186:
	s_nop 0
	s_sendmsg sendmsg(MSG_DEALLOC_VGPRS)
	s_endpgm
	.section	.rodata,"a",@progbits
	.p2align	6, 0x0
	.amdhsa_kernel _ZL26rocblas_hemvn_kernel_upperILb1ELi64ELi4ELi33ELi32ELi16EiPK19rocblas_complex_numIfES3_PS1_EviT6_lT7_lT5_lS6_lS7_lS5_lT8_i
		.amdhsa_group_segment_fixed_size 9600
		.amdhsa_private_segment_fixed_size 0
		.amdhsa_kernarg_size 376
		.amdhsa_user_sgpr_count 14
		.amdhsa_user_sgpr_dispatch_ptr 0
		.amdhsa_user_sgpr_queue_ptr 0
		.amdhsa_user_sgpr_kernarg_segment_ptr 1
		.amdhsa_user_sgpr_dispatch_id 0
		.amdhsa_user_sgpr_private_segment_size 0
		.amdhsa_wavefront_size32 1
		.amdhsa_uses_dynamic_stack 0
		.amdhsa_enable_private_segment 0
		.amdhsa_system_sgpr_workgroup_id_x 1
		.amdhsa_system_sgpr_workgroup_id_y 0
		.amdhsa_system_sgpr_workgroup_id_z 1
		.amdhsa_system_sgpr_workgroup_info 0
		.amdhsa_system_vgpr_workitem_id 1
		.amdhsa_next_free_vgpr 171
		.amdhsa_next_free_sgpr 35
		.amdhsa_reserve_vcc 1
		.amdhsa_float_round_mode_32 0
		.amdhsa_float_round_mode_16_64 0
		.amdhsa_float_denorm_mode_32 3
		.amdhsa_float_denorm_mode_16_64 3
		.amdhsa_dx10_clamp 1
		.amdhsa_ieee_mode 1
		.amdhsa_fp16_overflow 0
		.amdhsa_workgroup_processor_mode 1
		.amdhsa_memory_ordered 1
		.amdhsa_forward_progress 0
		.amdhsa_shared_vgpr_count 0
		.amdhsa_exception_fp_ieee_invalid_op 0
		.amdhsa_exception_fp_denorm_src 0
		.amdhsa_exception_fp_ieee_div_zero 0
		.amdhsa_exception_fp_ieee_overflow 0
		.amdhsa_exception_fp_ieee_underflow 0
		.amdhsa_exception_fp_ieee_inexact 0
		.amdhsa_exception_int_div_zero 0
	.end_amdhsa_kernel
	.section	.text._ZL26rocblas_hemvn_kernel_upperILb1ELi64ELi4ELi33ELi32ELi16EiPK19rocblas_complex_numIfES3_PS1_EviT6_lT7_lT5_lS6_lS7_lS5_lT8_i,"axG",@progbits,_ZL26rocblas_hemvn_kernel_upperILb1ELi64ELi4ELi33ELi32ELi16EiPK19rocblas_complex_numIfES3_PS1_EviT6_lT7_lT5_lS6_lS7_lS5_lT8_i,comdat
.Lfunc_end2:
	.size	_ZL26rocblas_hemvn_kernel_upperILb1ELi64ELi4ELi33ELi32ELi16EiPK19rocblas_complex_numIfES3_PS1_EviT6_lT7_lT5_lS6_lS7_lS5_lT8_i, .Lfunc_end2-_ZL26rocblas_hemvn_kernel_upperILb1ELi64ELi4ELi33ELi32ELi16EiPK19rocblas_complex_numIfES3_PS1_EviT6_lT7_lT5_lS6_lS7_lS5_lT8_i
                                        ; -- End function
	.section	.AMDGPU.csdata,"",@progbits
; Kernel info:
; codeLenInByte = 10756
; NumSgprs: 37
; NumVgprs: 171
; ScratchSize: 0
; MemoryBound: 1
; FloatMode: 240
; IeeeMode: 1
; LDSByteSize: 9600 bytes/workgroup (compile time only)
; SGPRBlocks: 4
; VGPRBlocks: 21
; NumSGPRsForWavesPerEU: 37
; NumVGPRsForWavesPerEU: 171
; Occupancy: 8
; WaveLimiterHint : 1
; COMPUTE_PGM_RSRC2:SCRATCH_EN: 0
; COMPUTE_PGM_RSRC2:USER_SGPR: 14
; COMPUTE_PGM_RSRC2:TRAP_HANDLER: 0
; COMPUTE_PGM_RSRC2:TGID_X_EN: 1
; COMPUTE_PGM_RSRC2:TGID_Y_EN: 0
; COMPUTE_PGM_RSRC2:TGID_Z_EN: 1
; COMPUTE_PGM_RSRC2:TIDIG_COMP_CNT: 1
	.section	.text._ZL36rocblas_hemvn_kernel_upper_block_sumILi64EiPK19rocblas_complex_numIfEPS1_S1_EviT1_lS5_lT2_lT0_lPT3_i,"axG",@progbits,_ZL36rocblas_hemvn_kernel_upper_block_sumILi64EiPK19rocblas_complex_numIfEPS1_S1_EviT1_lS5_lT2_lT0_lPT3_i,comdat
	.globl	_ZL36rocblas_hemvn_kernel_upper_block_sumILi64EiPK19rocblas_complex_numIfEPS1_S1_EviT1_lS5_lT2_lT0_lPT3_i ; -- Begin function _ZL36rocblas_hemvn_kernel_upper_block_sumILi64EiPK19rocblas_complex_numIfEPS1_S1_EviT1_lS5_lT2_lT0_lPT3_i
	.p2align	8
	.type	_ZL36rocblas_hemvn_kernel_upper_block_sumILi64EiPK19rocblas_complex_numIfEPS1_S1_EviT1_lS5_lT2_lT0_lPT3_i,@function
_ZL36rocblas_hemvn_kernel_upper_block_sumILi64EiPK19rocblas_complex_numIfEPS1_S1_EviT1_lS5_lT2_lT0_lPT3_i: ; @_ZL36rocblas_hemvn_kernel_upper_block_sumILi64EiPK19rocblas_complex_numIfEPS1_S1_EviT1_lS5_lT2_lT0_lPT3_i
; %bb.0:
	s_load_b256 s[16:23], s[0:1], 0x8
	s_waitcnt lgkmcnt(0)
	s_mul_i32 s3, s15, s19
	s_mul_hi_u32 s4, s15, s18
	s_mul_i32 s2, s15, s18
	s_add_i32 s3, s4, s3
	s_mul_i32 s4, s15, s23
	s_lshl_b64 s[2:3], s[2:3], 3
	s_delay_alu instid0(SALU_CYCLE_1)
	s_add_u32 s2, s16, s2
	s_addc_u32 s3, s17, s3
	s_load_b64 s[10:11], s[2:3], 0x0
	s_mul_hi_u32 s3, s15, s22
	s_mul_i32 s2, s15, s22
	s_add_i32 s3, s3, s4
	s_delay_alu instid0(SALU_CYCLE_1) | instskip(NEXT) | instid1(SALU_CYCLE_1)
	s_lshl_b64 s[2:3], s[2:3], 3
	s_add_u32 s2, s20, s2
	s_addc_u32 s3, s21, s3
	s_load_b64 s[8:9], s[2:3], 0x0
	s_waitcnt lgkmcnt(0)
	s_or_b32 s2, s10, s11
	s_delay_alu instid0(SALU_CYCLE_1) | instskip(NEXT) | instid1(SALU_CYCLE_1)
	s_bitset0_b32 s2, 31
	s_cmp_eq_u32 s2, 0
	s_cselect_b32 s13, -1, 0
	s_cmp_lg_u32 s2, 0
	s_mov_b32 s2, -1
	s_cbranch_scc1 .LBB3_2
; %bb.1:
	v_cmp_neq_f32_e64 s2, s8, 1.0
	v_cmp_neq_f32_e64 s3, s9, 0
	s_delay_alu instid0(VALU_DEP_1)
	s_or_b32 s2, s2, s3
.LBB3_2:
	s_delay_alu instid0(SALU_CYCLE_1)
	s_and_not1_b32 vcc_lo, exec_lo, s2
	s_cbranch_vccnz .LBB3_19
; %bb.3:
	s_clause 0x3
	s_load_b128 s[4:7], s[0:1], 0x40
	s_load_b128 s[20:23], s[0:1], 0x28
	s_load_b32 s16, s[0:1], 0x38
	s_load_b32 s12, s[0:1], 0x0
	v_lshl_or_b32 v0, s14, 6, v0
	s_waitcnt lgkmcnt(0)
	s_mul_i32 s3, s15, s5
	s_mul_hi_u32 s5, s15, s4
	s_mul_i32 s2, s15, s4
	s_add_i32 s3, s5, s3
	s_delay_alu instid0(SALU_CYCLE_1) | instskip(NEXT) | instid1(SALU_CYCLE_1)
	s_lshl_b64 s[2:3], s[2:3], 3
	s_add_u32 s17, s20, s2
	s_addc_u32 s18, s21, s3
	s_lshl_b64 s[4:5], s[22:23], 3
	v_cmp_gt_i32_e64 s2, s12, v0
	s_add_u32 s3, s17, s4
	s_addc_u32 s4, s18, s5
	s_and_not1_b32 vcc_lo, exec_lo, s13
	s_mov_b32 s5, -1
	s_cbranch_vccnz .LBB3_9
; %bb.4:
	s_and_saveexec_b32 s5, s2
	s_cbranch_execz .LBB3_8
; %bb.5:
	v_mul_lo_u32 v1, v0, s16
	v_cmp_neq_f32_e64 s2, s8, 0
	v_cmp_neq_f32_e64 s13, s9, 0
	v_dual_mov_b32 v3, 0 :: v_dual_mov_b32 v4, 0
	s_delay_alu instid0(VALU_DEP_2) | instskip(NEXT) | instid1(VALU_DEP_4)
	s_or_b32 s2, s2, s13
	v_ashrrev_i32_e32 v2, 31, v1
	s_and_not1_b32 vcc_lo, exec_lo, s2
	s_delay_alu instid0(VALU_DEP_1)
	v_lshlrev_b64 v[1:2], 3, v[1:2]
	s_cbranch_vccnz .LBB3_7
; %bb.6:
	s_delay_alu instid0(VALU_DEP_1) | instskip(NEXT) | instid1(VALU_DEP_2)
	v_add_co_u32 v3, vcc_lo, s3, v1
	v_add_co_ci_u32_e32 v4, vcc_lo, s4, v2, vcc_lo
	global_load_b64 v[5:6], v[3:4], off
	s_waitcnt vmcnt(0)
	v_mul_f32_e32 v4, s8, v6
	s_delay_alu instid0(VALU_DEP_1) | instskip(NEXT) | instid1(VALU_DEP_1)
	v_dual_mul_f32 v3, s9, v6 :: v_dual_fmac_f32 v4, s9, v5
	v_fma_f32 v3, v5, s8, -v3
.LBB3_7:
	s_delay_alu instid0(VALU_DEP_1) | instskip(NEXT) | instid1(VALU_DEP_2)
	v_add_co_u32 v1, vcc_lo, s3, v1
	v_add_co_ci_u32_e32 v2, vcc_lo, s4, v2, vcc_lo
	global_store_b64 v[1:2], v[3:4], off
.LBB3_8:
	s_or_b32 exec_lo, exec_lo, s5
	s_mov_b32 s5, 0
.LBB3_9:
	s_delay_alu instid0(SALU_CYCLE_1)
	s_and_not1_b32 vcc_lo, exec_lo, s5
	s_cbranch_vccnz .LBB3_19
; %bb.10:
	s_mov_b32 s2, exec_lo
	v_cmpx_gt_i32_e64 s12, v0
	s_cbranch_execz .LBB3_19
; %bb.11:
	v_dual_mov_b32 v1, 0 :: v_dual_mov_b32 v4, 0
	s_cmp_lt_i32 s14, 0
	s_cbranch_scc1 .LBB3_14
; %bb.12:
	s_load_b32 s0, s[0:1], 0x58
	s_ashr_i32 s13, s12, 31
	s_mul_hi_u32 s1, s12, s15
	s_mul_i32 s2, s13, s15
	v_mov_b32_e32 v1, 0
	s_add_i32 s1, s1, s2
	s_mul_i32 s2, s12, s15
	s_delay_alu instid0(VALU_DEP_1)
	v_lshlrev_b64 v[2:3], 3, v[0:1]
	v_mov_b32_e32 v4, v1
	s_waitcnt lgkmcnt(0)
	s_mul_i32 s1, s1, s0
	s_mul_hi_u32 s5, s2, s0
	s_mul_i32 s0, s2, s0
	s_add_i32 s1, s5, s1
	s_add_i32 s2, s14, 1
	s_lshl_b64 s[0:1], s[0:1], 3
	s_delay_alu instid0(SALU_CYCLE_1) | instskip(SKIP_4) | instid1(VALU_DEP_2)
	s_add_u32 s0, s6, s0
	s_addc_u32 s1, s7, s1
	v_add_co_u32 v2, vcc_lo, s0, v2
	v_add_co_ci_u32_e32 v3, vcc_lo, s1, v3, vcc_lo
	s_lshl_b64 s[0:1], s[12:13], 3
	v_add_co_u32 v2, vcc_lo, v2, 4
	s_delay_alu instid0(VALU_DEP_2)
	v_add_co_ci_u32_e32 v3, vcc_lo, 0, v3, vcc_lo
.LBB3_13:                               ; =>This Inner Loop Header: Depth=1
	global_load_b64 v[5:6], v[2:3], off offset:-4
	v_add_co_u32 v2, vcc_lo, v2, s0
	v_add_co_ci_u32_e32 v3, vcc_lo, s1, v3, vcc_lo
	s_add_i32 s2, s2, -1
	s_delay_alu instid0(SALU_CYCLE_1)
	s_cmp_eq_u32 s2, 0
	s_waitcnt vmcnt(0)
	v_dual_add_f32 v4, v4, v5 :: v_dual_add_f32 v1, v1, v6
	s_cbranch_scc0 .LBB3_13
.LBB3_14:
	v_mul_lo_u32 v2, v0, s16
	s_delay_alu instid0(VALU_DEP_2) | instskip(SKIP_3) | instid1(VALU_DEP_3)
	v_mul_f32_e32 v0, s11, v1
	v_mul_f32_e32 v1, s10, v1
	v_cmp_neq_f32_e64 s0, s8, 0
	v_cmp_neq_f32_e64 s1, s9, 0
	v_fmac_f32_e32 v1, s11, v4
	v_fma_f32 v0, v4, s10, -v0
	v_ashrrev_i32_e32 v3, 31, v2
	s_delay_alu instid0(VALU_DEP_4) | instskip(NEXT) | instid1(SALU_CYCLE_1)
	s_or_b32 s0, s0, s1
	s_and_not1_b32 vcc_lo, exec_lo, s0
	s_mov_b32 s0, 0
	s_cbranch_vccnz .LBB3_16
; %bb.15:
	s_mov_b32 s0, -1
.LBB3_16:
	s_delay_alu instid0(SALU_CYCLE_1)
	s_and_not1_b32 vcc_lo, exec_lo, s0
	s_cbranch_vccnz .LBB3_18
; %bb.17:
	v_lshlrev_b64 v[4:5], 3, v[2:3]
	s_delay_alu instid0(VALU_DEP_1) | instskip(NEXT) | instid1(VALU_DEP_2)
	v_add_co_u32 v4, vcc_lo, s3, v4
	v_add_co_ci_u32_e32 v5, vcc_lo, s4, v5, vcc_lo
	global_load_b64 v[4:5], v[4:5], off
	s_waitcnt vmcnt(0)
	v_mul_f32_e32 v6, s9, v5
	v_mul_f32_e32 v5, s8, v5
	s_delay_alu instid0(VALU_DEP_1) | instskip(NEXT) | instid1(VALU_DEP_3)
	v_fmac_f32_e32 v5, s9, v4
	v_fma_f32 v6, v4, s8, -v6
	s_delay_alu instid0(VALU_DEP_1)
	v_dual_add_f32 v1, v1, v5 :: v_dual_add_f32 v0, v0, v6
.LBB3_18:
	v_lshlrev_b64 v[2:3], 3, v[2:3]
	s_delay_alu instid0(VALU_DEP_1) | instskip(NEXT) | instid1(VALU_DEP_2)
	v_add_co_u32 v2, vcc_lo, s3, v2
	v_add_co_ci_u32_e32 v3, vcc_lo, s4, v3, vcc_lo
	global_store_b64 v[2:3], v[0:1], off
.LBB3_19:
	s_nop 0
	s_sendmsg sendmsg(MSG_DEALLOC_VGPRS)
	s_endpgm
	.section	.rodata,"a",@progbits
	.p2align	6, 0x0
	.amdhsa_kernel _ZL36rocblas_hemvn_kernel_upper_block_sumILi64EiPK19rocblas_complex_numIfEPS1_S1_EviT1_lS5_lT2_lT0_lPT3_i
		.amdhsa_group_segment_fixed_size 0
		.amdhsa_private_segment_fixed_size 0
		.amdhsa_kernarg_size 344
		.amdhsa_user_sgpr_count 14
		.amdhsa_user_sgpr_dispatch_ptr 0
		.amdhsa_user_sgpr_queue_ptr 0
		.amdhsa_user_sgpr_kernarg_segment_ptr 1
		.amdhsa_user_sgpr_dispatch_id 0
		.amdhsa_user_sgpr_private_segment_size 0
		.amdhsa_wavefront_size32 1
		.amdhsa_uses_dynamic_stack 0
		.amdhsa_enable_private_segment 0
		.amdhsa_system_sgpr_workgroup_id_x 1
		.amdhsa_system_sgpr_workgroup_id_y 0
		.amdhsa_system_sgpr_workgroup_id_z 1
		.amdhsa_system_sgpr_workgroup_info 0
		.amdhsa_system_vgpr_workitem_id 0
		.amdhsa_next_free_vgpr 7
		.amdhsa_next_free_sgpr 24
		.amdhsa_reserve_vcc 1
		.amdhsa_float_round_mode_32 0
		.amdhsa_float_round_mode_16_64 0
		.amdhsa_float_denorm_mode_32 3
		.amdhsa_float_denorm_mode_16_64 3
		.amdhsa_dx10_clamp 1
		.amdhsa_ieee_mode 1
		.amdhsa_fp16_overflow 0
		.amdhsa_workgroup_processor_mode 1
		.amdhsa_memory_ordered 1
		.amdhsa_forward_progress 0
		.amdhsa_shared_vgpr_count 0
		.amdhsa_exception_fp_ieee_invalid_op 0
		.amdhsa_exception_fp_denorm_src 0
		.amdhsa_exception_fp_ieee_div_zero 0
		.amdhsa_exception_fp_ieee_overflow 0
		.amdhsa_exception_fp_ieee_underflow 0
		.amdhsa_exception_fp_ieee_inexact 0
		.amdhsa_exception_int_div_zero 0
	.end_amdhsa_kernel
	.section	.text._ZL36rocblas_hemvn_kernel_upper_block_sumILi64EiPK19rocblas_complex_numIfEPS1_S1_EviT1_lS5_lT2_lT0_lPT3_i,"axG",@progbits,_ZL36rocblas_hemvn_kernel_upper_block_sumILi64EiPK19rocblas_complex_numIfEPS1_S1_EviT1_lS5_lT2_lT0_lPT3_i,comdat
.Lfunc_end3:
	.size	_ZL36rocblas_hemvn_kernel_upper_block_sumILi64EiPK19rocblas_complex_numIfEPS1_S1_EviT1_lS5_lT2_lT0_lPT3_i, .Lfunc_end3-_ZL36rocblas_hemvn_kernel_upper_block_sumILi64EiPK19rocblas_complex_numIfEPS1_S1_EviT1_lS5_lT2_lT0_lPT3_i
                                        ; -- End function
	.section	.AMDGPU.csdata,"",@progbits
; Kernel info:
; codeLenInByte = 848
; NumSgprs: 26
; NumVgprs: 7
; ScratchSize: 0
; MemoryBound: 0
; FloatMode: 240
; IeeeMode: 1
; LDSByteSize: 0 bytes/workgroup (compile time only)
; SGPRBlocks: 3
; VGPRBlocks: 0
; NumSGPRsForWavesPerEU: 26
; NumVGPRsForWavesPerEU: 7
; Occupancy: 16
; WaveLimiterHint : 0
; COMPUTE_PGM_RSRC2:SCRATCH_EN: 0
; COMPUTE_PGM_RSRC2:USER_SGPR: 14
; COMPUTE_PGM_RSRC2:TRAP_HANDLER: 0
; COMPUTE_PGM_RSRC2:TGID_X_EN: 1
; COMPUTE_PGM_RSRC2:TGID_Y_EN: 0
; COMPUTE_PGM_RSRC2:TGID_Z_EN: 1
; COMPUTE_PGM_RSRC2:TIDIG_COMP_CNT: 0
	.section	.text._ZL26rocblas_hemvn_kernel_upperILb1ELi64ELi4ELi33ELi32ELi16El19rocblas_complex_numIfEPKS1_PS1_EviT6_lT7_lT5_lS6_lS7_lS5_lT8_i,"axG",@progbits,_ZL26rocblas_hemvn_kernel_upperILb1ELi64ELi4ELi33ELi32ELi16El19rocblas_complex_numIfEPKS1_PS1_EviT6_lT7_lT5_lS6_lS7_lS5_lT8_i,comdat
	.globl	_ZL26rocblas_hemvn_kernel_upperILb1ELi64ELi4ELi33ELi32ELi16El19rocblas_complex_numIfEPKS1_PS1_EviT6_lT7_lT5_lS6_lS7_lS5_lT8_i ; -- Begin function _ZL26rocblas_hemvn_kernel_upperILb1ELi64ELi4ELi33ELi32ELi16El19rocblas_complex_numIfEPKS1_PS1_EviT6_lT7_lT5_lS6_lS7_lS5_lT8_i
	.p2align	8
	.type	_ZL26rocblas_hemvn_kernel_upperILb1ELi64ELi4ELi33ELi32ELi16El19rocblas_complex_numIfEPKS1_PS1_EviT6_lT7_lT5_lS6_lS7_lS5_lT8_i,@function
_ZL26rocblas_hemvn_kernel_upperILb1ELi64ELi4ELi33ELi32ELi16El19rocblas_complex_numIfEPKS1_PS1_EviT6_lT7_lT5_lS6_lS7_lS5_lT8_i: ; @_ZL26rocblas_hemvn_kernel_upperILb1ELi64ELi4ELi33ELi32ELi16El19rocblas_complex_numIfEPKS1_PS1_EviT6_lT7_lT5_lS6_lS7_lS5_lT8_i
; %bb.0:
	s_load_b64 s[4:5], s[0:1], 0x84
	s_add_u32 s2, s0, 0x78
	s_addc_u32 s3, s1, 0
	s_waitcnt lgkmcnt(0)
	s_lshr_b32 s6, s4, 16
	s_and_b32 s4, s4, 0xffff
	s_and_b32 s5, s5, 0xffff
	s_mul_i32 s4, s6, s4
	s_delay_alu instid0(SALU_CYCLE_1) | instskip(NEXT) | instid1(SALU_CYCLE_1)
	s_mul_i32 s4, s4, s5
	s_cmpk_lg_i32 s4, 0x100
	s_cbranch_scc1 .LBB4_186
; %bb.1:
	s_load_b64 s[4:5], s[0:1], 0x4
	s_waitcnt lgkmcnt(0)
	s_or_b32 s4, s4, s5
	s_mov_b32 s5, -1
	s_bitset0_b32 s4, 31
	s_delay_alu instid0(SALU_CYCLE_1) | instskip(SKIP_1) | instid1(SALU_CYCLE_1)
	s_cmp_lg_u32 s4, 0
	s_cselect_b32 s4, -1, 0
	s_and_b32 vcc_lo, exec_lo, s4
	s_cbranch_vccnz .LBB4_3
; %bb.2:
	s_load_b64 s[6:7], s[0:1], 0x58
	s_waitcnt lgkmcnt(0)
	v_cmp_neq_f32_e64 s5, s6, 1.0
	v_cmp_neq_f32_e64 s6, s7, 0
	s_delay_alu instid0(VALU_DEP_1)
	s_or_b32 s5, s5, s6
.LBB4_3:
	s_delay_alu instid0(SALU_CYCLE_1)
	s_and_not1_b32 vcc_lo, exec_lo, s5
	s_cbranch_vccnz .LBB4_186
; %bb.4:
	s_and_not1_b32 vcc_lo, exec_lo, s4
	s_cbranch_vccnz .LBB4_186
; %bb.5:
	s_load_b512 s[16:31], s[0:1], 0x18
	v_and_b32_e32 v93, 0x3ff, v0
	s_load_b32 s9, s[2:3], 0x0
	v_bfe_u32 v94, v0, 10, 10
	s_waitcnt lgkmcnt(0)
	s_mul_i32 s5, s15, s31
	s_mul_hi_u32 s6, s15, s30
	s_mul_i32 s4, s15, s30
	s_add_i32 s5, s6, s5
	s_load_b32 s30, s[0:1], 0x0
	s_lshl_b64 s[4:5], s[4:5], 3
	s_delay_alu instid0(SALU_CYCLE_1) | instskip(SKIP_2) | instid1(SALU_CYCLE_1)
	s_add_u32 s6, s24, s4
	s_addc_u32 s7, s25, s5
	s_lshl_b64 s[4:5], s[26:27], 3
	s_add_u32 s4, s6, s4
	s_addc_u32 s5, s7, s5
	s_lshl_b32 s12, s14, 6
	s_add_i32 s3, s9, -1
	v_add_nc_u32_e32 v24, s12, v93
	s_delay_alu instid0(VALU_DEP_1)
	v_ashrrev_i32_e32 v25, 31, v24
	v_mul_lo_u32 v3, v24, s29
	v_mad_u64_u32 v[1:2], null, v24, s28, 0
	s_waitcnt lgkmcnt(0)
	s_ashr_i32 s25, s30, 31
	v_mul_lo_u32 v4, v25, s28
	s_lshr_b32 s2, s25, 26
	s_delay_alu instid0(SALU_CYCLE_1) | instskip(NEXT) | instid1(SALU_CYCLE_1)
	s_add_i32 s2, s30, s2
	s_and_not1_b32 s2, s2, 63
	s_delay_alu instid0(SALU_CYCLE_1) | instskip(NEXT) | instid1(VALU_DEP_1)
	s_sub_i32 s24, s30, s2
	v_add3_u32 v2, v2, v3, v4
	v_cmp_eq_u32_e64 s2, 0, v94
	s_cmp_eq_u32 s14, s3
	s_cselect_b32 s10, s24, 0
	s_delay_alu instid0(VALU_DEP_2) | instskip(NEXT) | instid1(VALU_DEP_1)
	v_lshlrev_b64 v[1:2], 3, v[1:2]
	v_add_co_u32 v14, vcc_lo, s4, v1
	s_delay_alu instid0(VALU_DEP_2)
	v_add_co_ci_u32_e32 v15, vcc_lo, s5, v2, vcc_lo
	s_mov_b32 s4, -1
	s_and_saveexec_b32 s3, s2
	s_cbranch_execz .LBB4_10
; %bb.6:
	v_cmp_le_i32_e32 vcc_lo, s10, v93
	s_cmp_lg_u32 s10, 0
	v_lshl_add_u32 v0, v93, 3, 0x2380
	s_cselect_b32 s5, -1, 0
	s_delay_alu instid0(SALU_CYCLE_1) | instskip(NEXT) | instid1(SALU_CYCLE_1)
	s_and_b32 s5, s5, vcc_lo
	s_and_saveexec_b32 s6, s5
	s_delay_alu instid0(SALU_CYCLE_1)
	s_xor_b32 s5, exec_lo, s6
	s_cbranch_execz .LBB4_8
; %bb.7:
	v_mov_b32_e32 v1, 0
	s_delay_alu instid0(VALU_DEP_1)
	v_mov_b32_e32 v2, v1
	ds_store_b64 v0, v[1:2]
                                        ; implicit-def: $vgpr0
.LBB4_8:
	s_and_not1_saveexec_b32 s5, s5
	s_cbranch_execz .LBB4_10
; %bb.9:
	global_load_b64 v[1:2], v[14:15], off
	s_waitcnt vmcnt(0)
	ds_store_b64 v0, v[1:2]
.LBB4_10:
	s_or_b32 exec_lo, exec_lo, s3
	v_lshl_add_u32 v22, v94, 6, v93
	v_dual_mov_b32 v1, 0 :: v_dual_and_b32 v0, 31, v93
	s_mul_i32 s3, s15, s23
	s_mul_hi_u32 s5, s15, s22
	s_delay_alu instid0(VALU_DEP_2)
	v_lshrrev_b32_e32 v7, 5, v22
	s_add_i32 s7, s5, s3
	s_mul_i32 s6, s15, s22
	v_lshlrev_b32_e32 v9, 3, v0
	s_lshl_b64 s[6:7], s[6:7], 3
	v_mad_u64_u32 v[2:3], null, v7, s20, v[0:1]
	s_add_u32 s3, s16, s6
	s_addc_u32 s5, s17, s7
	s_lshl_b64 s[6:7], s[18:19], 3
	v_mul_u32_u24_e32 v8, 33, v7
	s_add_u32 s3, s3, s6
	s_addc_u32 s5, s5, s7
	s_delay_alu instid0(VALU_DEP_2) | instskip(SKIP_1) | instid1(SALU_CYCLE_1)
	v_mov_b32_e32 v1, v3
	s_ashr_i32 s13, s12, 31
	s_lshl_b64 s[6:7], s[12:13], 3
	s_delay_alu instid0(SALU_CYCLE_1) | instskip(NEXT) | instid1(VALU_DEP_1)
	s_add_u32 s3, s3, s6
	v_mad_u64_u32 v[3:4], null, v7, s21, v[1:2]
	s_addc_u32 s5, s5, s7
	s_mul_i32 s6, s12, s21
	s_mul_hi_u32 s7, s12, s20
	s_delay_alu instid0(SALU_CYCLE_1) | instskip(SKIP_1) | instid1(VALU_DEP_1)
	s_add_i32 s6, s7, s6
	s_mul_i32 s7, s13, s20
	v_lshlrev_b64 v[12:13], 3, v[2:3]
	s_add_i32 s7, s6, s7
	s_mul_i32 s6, s12, s20
	s_delay_alu instid0(SALU_CYCLE_1) | instskip(NEXT) | instid1(SALU_CYCLE_1)
	s_lshl_b64 s[6:7], s[6:7], 3
	s_add_u32 s3, s6, s3
	s_addc_u32 s5, s7, s5
	s_cmp_eq_u32 s10, 0
	v_add_co_u32 v3, s3, s3, v12
	s_cselect_b32 s18, -1, 0
	s_cmp_lg_u32 s10, 0
	v_add_co_ci_u32_e64 v4, s3, s5, v13, s3
	v_cmp_gt_i32_e64 s3, s10, v0
	s_cselect_b32 s19, -1, 0
	s_delay_alu instid0(SALU_CYCLE_1)
	s_and_b32 vcc_lo, exec_lo, s19
	s_cbranch_vccz .LBB4_28
; %bb.11:
	v_sub_co_u32 v1, vcc_lo, v3, v9
	s_ashr_i32 s11, s10, 31
	v_subrev_co_ci_u32_e32 v2, vcc_lo, 0, v4, vcc_lo
	s_lshl_b64 s[4:5], s[10:11], 3
	v_add_lshl_u32 v5, v8, v0, 3
	v_add_co_u32 v1, vcc_lo, v1, s4
	s_delay_alu instid0(VALU_DEP_3) | instskip(SKIP_1) | instid1(VALU_DEP_2)
	v_add_co_ci_u32_e32 v2, vcc_lo, s5, v2, vcc_lo
	s_mov_b32 s6, exec_lo
	v_add_co_u32 v1, vcc_lo, v1, -8
	s_delay_alu instid0(VALU_DEP_2) | instskip(NEXT) | instid1(VALU_DEP_2)
	v_add_co_ci_u32_e32 v2, vcc_lo, -1, v2, vcc_lo
	v_cndmask_b32_e64 v1, v1, v3, s3
	s_delay_alu instid0(VALU_DEP_2)
	v_cndmask_b32_e64 v2, v2, v4, s3
	v_cmpx_le_i32_e64 s10, v7
	s_xor_b32 s6, exec_lo, s6
	s_cbranch_execz .LBB4_13
; %bb.12:
	v_mov_b32_e32 v10, 0
	s_delay_alu instid0(VALU_DEP_1)
	v_mov_b32_e32 v11, v10
	ds_store_b64 v5, v[10:11]
.LBB4_13:
	s_and_not1_saveexec_b32 s6, s6
	s_cbranch_execz .LBB4_15
; %bb.14:
	global_load_b64 v[10:11], v[1:2], off
	s_waitcnt vmcnt(0)
	ds_store_b64 v5, v[10:11]
.LBB4_15:
	s_or_b32 exec_lo, exec_lo, s6
	v_add_nc_u32_e32 v6, 8, v7
	s_mov_b32 s6, exec_lo
	s_delay_alu instid0(VALU_DEP_1)
	v_cmpx_le_i32_e64 s10, v6
	s_xor_b32 s6, exec_lo, s6
	s_cbranch_execz .LBB4_17
; %bb.16:
	v_mul_u32_u24_e32 v6, 33, v6
	v_mov_b32_e32 v10, 0
	s_delay_alu instid0(VALU_DEP_2) | instskip(NEXT) | instid1(VALU_DEP_2)
	v_add_lshl_u32 v6, v6, v0, 3
	v_mov_b32_e32 v11, v10
	ds_store_b64 v6, v[10:11]
.LBB4_17:
	s_and_not1_saveexec_b32 s6, s6
	s_cbranch_execz .LBB4_19
; %bb.18:
	s_lshl_b64 s[16:17], s[20:21], 6
	s_delay_alu instid0(SALU_CYCLE_1)
	v_add_co_u32 v10, vcc_lo, v1, s16
	v_add_co_ci_u32_e32 v11, vcc_lo, s17, v2, vcc_lo
	global_load_b64 v[10:11], v[10:11], off
	s_waitcnt vmcnt(0)
	ds_store_b64 v5, v[10:11] offset:2112
.LBB4_19:
	s_or_b32 exec_lo, exec_lo, s6
	v_add_nc_u32_e32 v6, 16, v7
	s_mov_b32 s6, exec_lo
	s_delay_alu instid0(VALU_DEP_1)
	v_cmpx_le_i32_e64 s10, v6
	s_xor_b32 s6, exec_lo, s6
	s_cbranch_execz .LBB4_21
; %bb.20:
	v_mov_b32_e32 v10, 0
	s_delay_alu instid0(VALU_DEP_1)
	v_mov_b32_e32 v11, v10
	ds_store_b64 v5, v[10:11] offset:4224
.LBB4_21:
	s_and_not1_saveexec_b32 s6, s6
	s_cbranch_execz .LBB4_23
; %bb.22:
	s_lshl_b64 s[16:17], s[20:21], 7
	s_delay_alu instid0(SALU_CYCLE_1)
	v_add_co_u32 v10, vcc_lo, v1, s16
	v_add_co_ci_u32_e32 v11, vcc_lo, s17, v2, vcc_lo
	global_load_b64 v[10:11], v[10:11], off
	s_waitcnt vmcnt(0)
	ds_store_b64 v5, v[10:11] offset:4224
.LBB4_23:
	s_or_b32 exec_lo, exec_lo, s6
	v_add_nc_u32_e32 v6, 24, v7
	s_mov_b32 s6, exec_lo
	s_delay_alu instid0(VALU_DEP_1)
	v_cmpx_le_i32_e64 s10, v6
	s_xor_b32 s6, exec_lo, s6
	s_cbranch_execz .LBB4_25
; %bb.24:
	v_mov_b32_e32 v10, 0
	s_delay_alu instid0(VALU_DEP_1)
	v_mov_b32_e32 v11, v10
	ds_store_b64 v5, v[10:11] offset:6336
                                        ; implicit-def: $vgpr5
.LBB4_25:
	s_and_not1_saveexec_b32 s6, s6
	s_cbranch_execz .LBB4_27
; %bb.26:
	v_mad_u64_u32 v[10:11], null, 0xc0, s20, v[1:2]
	s_delay_alu instid0(VALU_DEP_1) | instskip(NEXT) | instid1(VALU_DEP_1)
	v_mov_b32_e32 v6, v11
	v_mad_u64_u32 v[16:17], null, 0xc0, s21, v[6:7]
	s_delay_alu instid0(VALU_DEP_1)
	v_mov_b32_e32 v11, v16
	global_load_b64 v[10:11], v[10:11], off
	s_waitcnt vmcnt(0)
	ds_store_b64 v5, v[10:11] offset:6336
.LBB4_27:
	s_or_b32 exec_lo, exec_lo, s6
	v_add_co_u32 v1, vcc_lo, v1, v9
	v_add_co_ci_u32_e32 v2, vcc_lo, 0, v2, vcc_lo
	s_delay_alu instid0(VALU_DEP_2) | instskip(NEXT) | instid1(VALU_DEP_2)
	v_sub_co_u32 v1, vcc_lo, v1, s4
	v_subrev_co_ci_u32_e32 v2, vcc_lo, s5, v2, vcc_lo
	s_delay_alu instid0(VALU_DEP_2) | instskip(NEXT) | instid1(VALU_DEP_2)
	v_add_co_u32 v1, vcc_lo, v1, 8
	v_add_co_ci_u32_e32 v2, vcc_lo, 0, v2, vcc_lo
	s_delay_alu instid0(VALU_DEP_2) | instskip(NEXT) | instid1(VALU_DEP_2)
	v_cndmask_b32_e64 v1, v1, v3, s3
	v_cndmask_b32_e64 v2, v2, v4, s3
	s_branch .LBB4_30
.LBB4_28:
                                        ; implicit-def: $vgpr1_vgpr2
	s_and_b32 vcc_lo, exec_lo, s4
	s_cbranch_vccz .LBB4_30
; %bb.29:
	v_mad_u64_u32 v[1:2], null, 0xc0, s20, v[3:4]
	s_lshl_b64 s[4:5], s[20:21], 6
	v_add_lshl_u32 v20, v8, v0, 3
	v_add_co_u32 v10, vcc_lo, v3, s4
	v_add_co_ci_u32_e32 v11, vcc_lo, s5, v4, vcc_lo
	s_delay_alu instid0(VALU_DEP_4) | instskip(NEXT) | instid1(VALU_DEP_3)
	v_mad_u64_u32 v[5:6], null, 0xc0, s21, v[2:3]
	v_add_co_u32 v16, vcc_lo, v10, s4
	s_delay_alu instid0(VALU_DEP_3) | instskip(NEXT) | instid1(VALU_DEP_3)
	v_add_co_ci_u32_e32 v17, vcc_lo, s5, v11, vcc_lo
	v_mov_b32_e32 v2, v5
	s_clause 0x1
	global_load_b64 v[5:6], v[3:4], off
	global_load_b64 v[10:11], v[10:11], off
	;; [unrolled: 1-line block ×4, first 2 shown]
	v_dual_mov_b32 v1, v3 :: v_dual_mov_b32 v2, v4
	s_waitcnt vmcnt(3)
	ds_store_b64 v20, v[5:6]
	s_waitcnt vmcnt(2)
	ds_store_b64 v20, v[10:11] offset:2112
	s_waitcnt vmcnt(1)
	ds_store_b64 v20, v[16:17] offset:4224
	s_waitcnt vmcnt(0)
	ds_store_b64 v20, v[18:19] offset:6336
.LBB4_30:
	v_lshlrev_b32_e32 v19, 2, v7
	s_waitcnt lgkmcnt(0)
	s_barrier
	buffer_gl0_inv
	v_cmp_le_u32_e64 s4, v19, v0
	s_delay_alu instid0(VALU_DEP_1) | instskip(NEXT) | instid1(SALU_CYCLE_1)
	s_and_saveexec_b32 s3, s4
	s_xor_b32 s3, exec_lo, s3
	s_cbranch_execz .LBB4_34
; %bb.31:
	s_mov_b32 s5, exec_lo
	v_cmpx_eq_u32_e64 v19, v0
	s_cbranch_execz .LBB4_33
; %bb.32:
	v_mul_u32_u24_e32 v3, 34, v0
	s_delay_alu instid0(VALU_DEP_1)
	v_dual_mov_b32 v4, 0 :: v_dual_lshlrev_b32 v3, 3, v3
	ds_store_b32 v3, v4 offset:4
.LBB4_33:
	s_or_b32 exec_lo, exec_lo, s5
.LBB4_34:
	s_or_saveexec_b32 s3, s3
	v_mul_u32_u24_e32 v10, 33, v0
	v_mul_u32_u24_e32 v3, 0x84, v7
	s_delay_alu instid0(VALU_DEP_2)
	v_add_lshl_u32 v16, v19, v10, 3
	s_xor_b32 exec_lo, exec_lo, s3
	s_cbranch_execz .LBB4_36
; %bb.35:
	s_delay_alu instid0(VALU_DEP_2)
	v_add_lshl_u32 v4, v3, v0, 3
	ds_load_b64 v[4:5], v4
	s_waitcnt lgkmcnt(0)
	v_xor_b32_e32 v5, 0x80000000, v5
	ds_store_b64 v16, v[4:5]
.LBB4_36:
	s_or_b32 exec_lo, exec_lo, s3
	v_or_b32_e32 v17, 1, v19
	v_cmp_ge_u32_e64 s5, v19, v0
	s_delay_alu instid0(VALU_DEP_2) | instskip(NEXT) | instid1(VALU_DEP_2)
	v_mul_u32_u24_e32 v4, 33, v17
	s_and_saveexec_b32 s3, s5
	s_delay_alu instid0(SALU_CYCLE_1)
	s_xor_b32 s3, exec_lo, s3
	s_cbranch_execz .LBB4_38
; %bb.37:
	s_delay_alu instid0(VALU_DEP_1)
	v_add_lshl_u32 v5, v4, v0, 3
	ds_load_b64 v[5:6], v5
	s_waitcnt lgkmcnt(0)
	v_xor_b32_e32 v6, 0x80000000, v6
	ds_store_b64 v16, v[5:6] offset:8
.LBB4_38:
	s_and_not1_saveexec_b32 s3, s3
	s_cbranch_execz .LBB4_42
; %bb.39:
	s_mov_b32 s6, exec_lo
	v_cmpx_eq_u32_e64 v17, v0
	s_cbranch_execz .LBB4_41
; %bb.40:
	v_mul_u32_u24_e32 v5, 34, v0
	s_delay_alu instid0(VALU_DEP_1)
	v_dual_mov_b32 v6, 0 :: v_dual_lshlrev_b32 v5, 3, v5
	ds_store_b32 v5, v6 offset:4
.LBB4_41:
	s_or_b32 exec_lo, exec_lo, s6
.LBB4_42:
	s_delay_alu instid0(SALU_CYCLE_1) | instskip(SKIP_1) | instid1(VALU_DEP_1)
	s_or_b32 exec_lo, exec_lo, s3
	v_or_b32_e32 v20, 2, v19
	v_cmp_le_u32_e64 s6, v20, v0
	s_delay_alu instid0(VALU_DEP_1) | instskip(NEXT) | instid1(SALU_CYCLE_1)
	s_and_saveexec_b32 s3, s6
	s_xor_b32 s3, exec_lo, s3
	s_cbranch_execz .LBB4_46
; %bb.43:
	s_mov_b32 s7, exec_lo
	v_cmpx_eq_u32_e64 v20, v0
	s_cbranch_execz .LBB4_45
; %bb.44:
	v_mul_u32_u24_e32 v5, 34, v0
	s_delay_alu instid0(VALU_DEP_1)
	v_dual_mov_b32 v6, 0 :: v_dual_lshlrev_b32 v5, 3, v5
	ds_store_b32 v5, v6 offset:4
.LBB4_45:
	s_or_b32 exec_lo, exec_lo, s7
.LBB4_46:
	s_and_not1_saveexec_b32 s3, s3
	s_cbranch_execz .LBB4_48
; %bb.47:
	v_mul_u32_u24_e32 v5, 33, v20
	s_delay_alu instid0(VALU_DEP_1)
	v_add_lshl_u32 v5, v5, v0, 3
	ds_load_b64 v[5:6], v5
	s_waitcnt lgkmcnt(0)
	v_xor_b32_e32 v6, 0x80000000, v6
	ds_store_b64 v16, v[5:6] offset:16
.LBB4_48:
	s_or_b32 exec_lo, exec_lo, s3
	v_or_b32_e32 v21, 3, v19
	s_delay_alu instid0(VALU_DEP_1) | instskip(NEXT) | instid1(VALU_DEP_1)
	v_cmp_le_u32_e64 s7, v21, v0
	s_and_saveexec_b32 s3, s7
	s_delay_alu instid0(SALU_CYCLE_1)
	s_xor_b32 s3, exec_lo, s3
	s_cbranch_execz .LBB4_52
; %bb.49:
	s_mov_b32 s8, exec_lo
	v_cmpx_eq_u32_e64 v21, v0
	s_cbranch_execz .LBB4_51
; %bb.50:
	v_mul_u32_u24_e32 v5, 34, v0
	s_delay_alu instid0(VALU_DEP_1)
	v_dual_mov_b32 v6, 0 :: v_dual_lshlrev_b32 v5, 3, v5
	ds_store_b32 v5, v6 offset:4
.LBB4_51:
	s_or_b32 exec_lo, exec_lo, s8
.LBB4_52:
	s_and_not1_saveexec_b32 s3, s3
	s_cbranch_execz .LBB4_54
; %bb.53:
	v_mul_u32_u24_e32 v5, 33, v21
	s_delay_alu instid0(VALU_DEP_1)
	v_add_lshl_u32 v5, v5, v0, 3
	ds_load_b64 v[5:6], v5
	s_waitcnt lgkmcnt(0)
	v_xor_b32_e32 v6, 0x80000000, v6
	ds_store_b64 v16, v[5:6] offset:24
.LBB4_54:
	s_or_b32 exec_lo, exec_lo, s3
	v_add_lshl_u32 v11, v3, v0, 3
	v_lshlrev_b32_e32 v29, 3, v19
	v_add_lshl_u32 v18, v4, v0, 3
	s_waitcnt lgkmcnt(0)
	s_barrier
	buffer_gl0_inv
	ds_load_b64 v[26:27], v11
	ds_load_b128 v[3:6], v29 offset:9088
	ds_load_2addr_b64 v[30:33], v18 offset1:33
	ds_load_b128 v[34:37], v29 offset:9104
	ds_load_b64 v[38:39], v18 offset:528
	v_cmp_gt_u32_e64 s3, 32, v22
	s_waitcnt lgkmcnt(0)
	s_barrier
	buffer_gl0_inv
	v_mul_f32_e32 v23, v4, v27
	v_mul_f32_e32 v27, v3, v27
	;; [unrolled: 1-line block ×3, first 2 shown]
	v_dual_mul_f32 v31, v5, v31 :: v_dual_mul_f32 v40, v35, v33
	s_delay_alu instid0(VALU_DEP_4) | instskip(NEXT) | instid1(VALU_DEP_4)
	v_fma_f32 v3, v3, v26, -v23
	v_fmac_f32_e32 v27, v4, v26
	v_dual_mul_f32 v33, v34, v33 :: v_dual_mul_f32 v4, v37, v39
	v_fma_f32 v5, v5, v30, -v28
	s_delay_alu instid0(VALU_DEP_3)
	v_dual_fmac_f32 v31, v6, v30 :: v_dual_add_f32 v6, 0, v27
	v_add_f32_e32 v3, 0, v3
	v_mul_f32_e32 v27, v36, v39
	v_fma_f32 v23, v34, v32, -v40
	v_fma_f32 v4, v36, v38, -v4
	v_add_lshl_u32 v28, v7, v10, 3
	v_add_f32_e32 v3, v3, v5
	v_add_f32_e32 v5, v6, v31
	v_fmac_f32_e32 v27, v37, v38
	v_dual_fmac_f32 v33, v35, v32 :: v_dual_mov_b32 v26, 0
	s_delay_alu instid0(VALU_DEP_4) | instskip(SKIP_1) | instid1(VALU_DEP_3)
	v_add_f32_e32 v3, v3, v23
	v_lshlrev_b32_e32 v23, 3, v10
	v_add_f32_e32 v5, v5, v33
	s_delay_alu instid0(VALU_DEP_1)
	v_dual_add_f32 v3, v3, v4 :: v_dual_add_f32 v4, v5, v27
	v_mov_b32_e32 v27, 0
	ds_store_b64 v28, v[3:4]
	s_waitcnt lgkmcnt(0)
	s_barrier
	buffer_gl0_inv
	s_and_saveexec_b32 s8, s3
	s_cbranch_execz .LBB4_56
; %bb.55:
	ds_load_2addr_b64 v[3:6], v23 offset1:7
	ds_load_2addr_b64 v[30:33], v23 offset0:1 offset1:2
	ds_load_2addr_b64 v[34:37], v23 offset0:3 offset1:4
	;; [unrolled: 1-line block ×3, first 2 shown]
	s_waitcnt lgkmcnt(2)
	v_dual_add_f32 v3, v30, v3 :: v_dual_add_f32 v4, v31, v4
	s_delay_alu instid0(VALU_DEP_1) | instskip(SKIP_1) | instid1(VALU_DEP_1)
	v_dual_add_f32 v3, v3, v32 :: v_dual_add_f32 v4, v4, v33
	s_waitcnt lgkmcnt(1)
	v_dual_add_f32 v3, v3, v34 :: v_dual_add_f32 v4, v4, v35
	s_delay_alu instid0(VALU_DEP_1) | instskip(SKIP_1) | instid1(VALU_DEP_1)
	v_dual_add_f32 v3, v3, v36 :: v_dual_add_f32 v4, v4, v37
	s_waitcnt lgkmcnt(0)
	v_dual_add_f32 v3, v3, v38 :: v_dual_add_f32 v4, v4, v39
	s_delay_alu instid0(VALU_DEP_1) | instskip(NEXT) | instid1(VALU_DEP_1)
	v_dual_add_f32 v3, v3, v40 :: v_dual_add_f32 v4, v4, v41
	v_dual_add_f32 v26, v3, v5 :: v_dual_add_f32 v27, v4, v6
.LBB4_56:
	s_or_b32 exec_lo, exec_lo, s8
	s_lshl_b64 s[16:17], s[20:21], 8
	s_delay_alu instid0(SALU_CYCLE_1) | instskip(SKIP_2) | instid1(VALU_DEP_2)
	v_add_co_u32 v5, vcc_lo, v1, s16
	v_add_co_ci_u32_e32 v6, vcc_lo, s17, v2, vcc_lo
	s_barrier
	v_add_co_u32 v3, vcc_lo, 0x100, v5
	s_delay_alu instid0(VALU_DEP_2)
	v_add_co_ci_u32_e32 v4, vcc_lo, 0, v6, vcc_lo
	s_and_b32 vcc_lo, exec_lo, s19
	buffer_gl0_inv
	s_cbranch_vccz .LBB4_74
; %bb.57:
	v_sub_co_u32 v1, vcc_lo, v3, v9
	s_ashr_i32 s11, s10, 31
	v_subrev_co_ci_u32_e32 v2, vcc_lo, 0, v4, vcc_lo
	s_lshl_b64 s[16:17], s[10:11], 3
	v_or_b32_e32 v30, 32, v0
	v_add_co_u32 v1, vcc_lo, v1, s16
	s_delay_alu instid0(VALU_DEP_3) | instskip(SKIP_1) | instid1(VALU_DEP_2)
	v_add_co_ci_u32_e32 v2, vcc_lo, s17, v2, vcc_lo
	s_sub_i32 s11, s10, 32
	v_add_co_u32 v1, vcc_lo, 0xfffffef8, v1
	s_delay_alu instid0(VALU_DEP_2) | instskip(SKIP_3) | instid1(VALU_DEP_4)
	v_add_co_ci_u32_e32 v2, vcc_lo, -1, v2, vcc_lo
	v_cmp_gt_i32_e32 vcc_lo, s10, v30
	v_cmp_le_i32_e64 s8, s11, v7
	v_add_lshl_u32 v30, v8, v0, 3
	v_dual_cndmask_b32 v2, v2, v4 :: v_dual_cndmask_b32 v1, v1, v3
	s_delay_alu instid0(VALU_DEP_3) | instskip(NEXT) | instid1(SALU_CYCLE_1)
	s_and_saveexec_b32 s22, s8
	s_xor_b32 s8, exec_lo, s22
	s_cbranch_execz .LBB4_59
; %bb.58:
	v_mov_b32_e32 v31, 0
	s_delay_alu instid0(VALU_DEP_1)
	v_mov_b32_e32 v32, v31
	ds_store_b64 v30, v[31:32]
.LBB4_59:
	s_and_not1_saveexec_b32 s8, s8
	s_cbranch_execz .LBB4_61
; %bb.60:
	global_load_b64 v[31:32], v[1:2], off
	s_waitcnt vmcnt(0)
	ds_store_b64 v30, v[31:32]
.LBB4_61:
	s_or_b32 exec_lo, exec_lo, s8
	v_add_nc_u32_e32 v31, 8, v7
	s_delay_alu instid0(VALU_DEP_1) | instskip(NEXT) | instid1(VALU_DEP_1)
	v_cmp_le_i32_e64 s8, s11, v31
	s_and_saveexec_b32 s22, s8
	s_delay_alu instid0(SALU_CYCLE_1)
	s_xor_b32 s8, exec_lo, s22
	s_cbranch_execz .LBB4_63
; %bb.62:
	v_mul_u32_u24_e32 v32, 33, v31
	v_mov_b32_e32 v31, 0
	s_delay_alu instid0(VALU_DEP_2) | instskip(NEXT) | instid1(VALU_DEP_2)
	v_add_lshl_u32 v33, v32, v0, 3
	v_mov_b32_e32 v32, v31
	ds_store_b64 v33, v[31:32]
.LBB4_63:
	s_and_not1_saveexec_b32 s22, s8
	s_cbranch_execz .LBB4_65
; %bb.64:
	s_lshl_b64 s[26:27], s[20:21], 6
	s_delay_alu instid0(SALU_CYCLE_1) | instskip(NEXT) | instid1(VALU_DEP_1)
	v_add_co_u32 v31, s8, v1, s26
	v_add_co_ci_u32_e64 v32, s8, s27, v2, s8
	global_load_b64 v[31:32], v[31:32], off
	s_waitcnt vmcnt(0)
	ds_store_b64 v30, v[31:32] offset:2112
.LBB4_65:
	s_or_b32 exec_lo, exec_lo, s22
	v_add_nc_u32_e32 v31, 16, v7
	s_delay_alu instid0(VALU_DEP_1) | instskip(NEXT) | instid1(VALU_DEP_1)
	v_cmp_le_i32_e64 s8, s11, v31
	s_and_saveexec_b32 s22, s8
	s_delay_alu instid0(SALU_CYCLE_1)
	s_xor_b32 s8, exec_lo, s22
	s_cbranch_execz .LBB4_67
; %bb.66:
	v_mov_b32_e32 v31, 0
	s_delay_alu instid0(VALU_DEP_1)
	v_mov_b32_e32 v32, v31
	ds_store_b64 v30, v[31:32] offset:4224
.LBB4_67:
	s_and_not1_saveexec_b32 s22, s8
	s_cbranch_execz .LBB4_69
; %bb.68:
	s_lshl_b64 s[26:27], s[20:21], 7
	s_delay_alu instid0(SALU_CYCLE_1) | instskip(NEXT) | instid1(VALU_DEP_1)
	v_add_co_u32 v31, s8, v1, s26
	v_add_co_ci_u32_e64 v32, s8, s27, v2, s8
	global_load_b64 v[31:32], v[31:32], off
	s_waitcnt vmcnt(0)
	ds_store_b64 v30, v[31:32] offset:4224
.LBB4_69:
	s_or_b32 exec_lo, exec_lo, s22
	v_add_nc_u32_e32 v31, 24, v7
	s_delay_alu instid0(VALU_DEP_1) | instskip(NEXT) | instid1(VALU_DEP_1)
	v_cmp_le_i32_e64 s8, s11, v31
	s_and_saveexec_b32 s11, s8
	s_delay_alu instid0(SALU_CYCLE_1)
	s_xor_b32 s8, exec_lo, s11
	s_cbranch_execz .LBB4_71
; %bb.70:
	v_mov_b32_e32 v31, 0
	s_delay_alu instid0(VALU_DEP_1)
	v_mov_b32_e32 v32, v31
	ds_store_b64 v30, v[31:32] offset:6336
                                        ; implicit-def: $vgpr30
.LBB4_71:
	s_and_not1_saveexec_b32 s8, s8
	s_cbranch_execz .LBB4_73
; %bb.72:
	v_mad_u64_u32 v[31:32], null, 0xc0, s20, v[1:2]
	s_delay_alu instid0(VALU_DEP_1) | instskip(NEXT) | instid1(VALU_DEP_1)
	v_mad_u64_u32 v[33:34], null, 0xc0, s21, v[32:33]
	v_mov_b32_e32 v32, v33
	global_load_b64 v[31:32], v[31:32], off
	s_waitcnt vmcnt(0)
	ds_store_b64 v30, v[31:32] offset:6336
.LBB4_73:
	s_or_b32 exec_lo, exec_lo, s8
	v_add_co_u32 v1, s8, v1, v9
	s_delay_alu instid0(VALU_DEP_1) | instskip(NEXT) | instid1(VALU_DEP_2)
	v_add_co_ci_u32_e64 v2, s8, 0, v2, s8
	v_sub_co_u32 v1, s8, v1, s16
	s_delay_alu instid0(VALU_DEP_1) | instskip(NEXT) | instid1(VALU_DEP_2)
	v_subrev_co_ci_u32_e64 v2, s8, s17, v2, s8
	v_add_co_u32 v1, s8, 0x108, v1
	s_delay_alu instid0(VALU_DEP_1) | instskip(NEXT) | instid1(VALU_DEP_1)
	v_add_co_ci_u32_e64 v2, s8, 0, v2, s8
	v_dual_cndmask_b32 v1, v1, v3 :: v_dual_cndmask_b32 v2, v2, v4
	s_branch .LBB4_76
.LBB4_74:
                                        ; implicit-def: $vgpr1_vgpr2
	s_cbranch_execz .LBB4_76
; %bb.75:
	v_mad_u64_u32 v[1:2], null, 0xc0, s20, v[5:6]
	s_lshl_b64 s[16:17], s[20:21], 6
	v_add_lshl_u32 v36, v8, v0, 3
	s_delay_alu instid0(VALU_DEP_2) | instskip(SKIP_2) | instid1(VALU_DEP_2)
	v_mad_u64_u32 v[30:31], null, 0xc0, s21, v[2:3]
	v_add_co_u32 v31, vcc_lo, v5, s16
	v_add_co_ci_u32_e32 v32, vcc_lo, s17, v6, vcc_lo
	v_add_co_u32 v33, vcc_lo, v31, s16
	s_delay_alu instid0(VALU_DEP_2)
	v_add_co_ci_u32_e32 v34, vcc_lo, s17, v32, vcc_lo
	v_mov_b32_e32 v2, v30
	s_clause 0x3
	global_load_b64 v[5:6], v[5:6], off offset:256
	global_load_b64 v[30:31], v[31:32], off offset:256
	global_load_b64 v[32:33], v[33:34], off offset:256
	global_load_b64 v[34:35], v[1:2], off offset:256
	v_dual_mov_b32 v1, v3 :: v_dual_mov_b32 v2, v4
	s_waitcnt vmcnt(3)
	ds_store_b64 v36, v[5:6]
	s_waitcnt vmcnt(2)
	ds_store_b64 v36, v[30:31] offset:2112
	s_waitcnt vmcnt(1)
	ds_store_b64 v36, v[32:33] offset:4224
	;; [unrolled: 2-line block ×3, first 2 shown]
.LBB4_76:
	s_waitcnt lgkmcnt(0)
	s_barrier
	buffer_gl0_inv
	s_and_saveexec_b32 s8, s4
	s_delay_alu instid0(SALU_CYCLE_1)
	s_xor_b32 s4, exec_lo, s8
	s_cbranch_execnz .LBB4_105
; %bb.77:
	s_and_not1_saveexec_b32 s4, s4
	s_cbranch_execnz .LBB4_108
.LBB4_78:
	s_or_b32 exec_lo, exec_lo, s4
	s_and_saveexec_b32 s4, s5
	s_delay_alu instid0(SALU_CYCLE_1)
	s_xor_b32 s4, exec_lo, s4
	s_cbranch_execnz .LBB4_109
.LBB4_79:
	s_and_not1_saveexec_b32 s4, s4
	s_cbranch_execnz .LBB4_110
.LBB4_80:
	s_or_b32 exec_lo, exec_lo, s4
	s_and_saveexec_b32 s4, s6
	s_delay_alu instid0(SALU_CYCLE_1)
	s_xor_b32 s4, exec_lo, s4
	s_cbranch_execnz .LBB4_113
.LBB4_81:
	s_and_not1_saveexec_b32 s4, s4
	s_cbranch_execnz .LBB4_116
.LBB4_82:
	s_or_b32 exec_lo, exec_lo, s4
	s_and_saveexec_b32 s4, s7
	s_delay_alu instid0(SALU_CYCLE_1)
	s_xor_b32 s4, exec_lo, s4
	s_cbranch_execnz .LBB4_117
.LBB4_83:
	s_or_saveexec_b32 s4, s4
	v_add_nc_u32_e32 v19, 0x2380, v29
	s_xor_b32 exec_lo, exec_lo, s4
	s_cbranch_execz .LBB4_85
.LBB4_84:
	ds_load_b64 v[3:4], v18 offset:528
	s_waitcnt lgkmcnt(0)
	v_xor_b32_e32 v4, 0x80000000, v4
	ds_store_b64 v16, v[3:4] offset:24
.LBB4_85:
	s_or_b32 exec_lo, exec_lo, s4
	s_waitcnt lgkmcnt(0)
	s_barrier
	buffer_gl0_inv
	ds_load_b64 v[16:17], v11
	ds_load_b128 v[3:6], v19 offset:256
	ds_load_2addr_b64 v[29:32], v18 offset1:33
	ds_load_b128 v[33:36], v19 offset:272
	ds_load_b64 v[20:21], v18 offset:528
	v_cmp_eq_u32_e64 s4, 1, v7
	s_waitcnt lgkmcnt(0)
	s_barrier
	buffer_gl0_inv
	v_dual_mul_f32 v37, v4, v17 :: v_dual_mul_f32 v38, v6, v30
	v_dual_mul_f32 v17, v3, v17 :: v_dual_mul_f32 v30, v5, v30
	v_mul_f32_e32 v39, v34, v32
	s_delay_alu instid0(VALU_DEP_3) | instskip(SKIP_1) | instid1(VALU_DEP_4)
	v_fma_f32 v3, v3, v16, -v37
	v_mul_f32_e32 v32, v33, v32
	v_dual_fmac_f32 v17, v4, v16 :: v_dual_fmac_f32 v30, v6, v29
	v_fma_f32 v5, v5, v29, -v38
	s_delay_alu instid0(VALU_DEP_4) | instskip(NEXT) | instid1(VALU_DEP_4)
	v_add_f32_e32 v3, 0, v3
	v_fmac_f32_e32 v32, v34, v31
	v_mul_f32_e32 v4, v36, v21
	s_delay_alu instid0(VALU_DEP_3) | instskip(SKIP_4) | instid1(VALU_DEP_3)
	v_add_f32_e32 v3, v3, v5
	v_add_f32_e32 v6, 0, v17
	v_mul_f32_e32 v16, v35, v21
	v_fma_f32 v17, v33, v31, -v39
	v_fma_f32 v4, v35, v20, -v4
	v_dual_add_f32 v5, v6, v30 :: v_dual_fmac_f32 v16, v36, v20
	s_delay_alu instid0(VALU_DEP_3) | instskip(NEXT) | instid1(VALU_DEP_2)
	v_add_f32_e32 v3, v3, v17
	v_add_f32_e32 v5, v5, v32
	s_delay_alu instid0(VALU_DEP_2) | instskip(NEXT) | instid1(VALU_DEP_2)
	v_add_f32_e32 v3, v3, v4
	v_add_f32_e32 v4, v5, v16
	ds_store_b64 v28, v[3:4]
	s_waitcnt lgkmcnt(0)
	s_barrier
	buffer_gl0_inv
	s_and_saveexec_b32 s5, s4
	s_cbranch_execz .LBB4_87
; %bb.86:
	ds_load_2addr_b64 v[3:6], v23 offset1:7
	ds_load_2addr_b64 v[29:32], v23 offset0:1 offset1:2
	ds_load_2addr_b64 v[33:36], v23 offset0:3 offset1:4
	;; [unrolled: 1-line block ×3, first 2 shown]
	s_waitcnt lgkmcnt(2)
	v_dual_add_f32 v3, v29, v3 :: v_dual_add_f32 v4, v30, v4
	s_delay_alu instid0(VALU_DEP_1) | instskip(SKIP_1) | instid1(VALU_DEP_1)
	v_dual_add_f32 v3, v3, v31 :: v_dual_add_f32 v4, v4, v32
	s_waitcnt lgkmcnt(1)
	v_dual_add_f32 v3, v3, v33 :: v_dual_add_f32 v4, v4, v34
	s_delay_alu instid0(VALU_DEP_1) | instskip(SKIP_1) | instid1(VALU_DEP_1)
	v_dual_add_f32 v3, v3, v35 :: v_dual_add_f32 v4, v4, v36
	s_waitcnt lgkmcnt(0)
	v_dual_add_f32 v3, v3, v37 :: v_dual_add_f32 v4, v4, v38
	s_delay_alu instid0(VALU_DEP_1) | instskip(NEXT) | instid1(VALU_DEP_1)
	v_dual_add_f32 v3, v3, v39 :: v_dual_add_f32 v4, v4, v40
	v_dual_add_f32 v26, v3, v5 :: v_dual_add_f32 v27, v4, v6
.LBB4_87:
	s_or_b32 exec_lo, exec_lo, s5
	v_add_co_u32 v3, vcc_lo, 0xffffff00, v1
	v_add_co_ci_u32_e32 v4, vcc_lo, -1, v2, vcc_lo
	s_and_b32 vcc_lo, exec_lo, s19
	s_barrier
	buffer_gl0_inv
	s_cbranch_vccz .LBB4_120
; %bb.88:
	v_sub_co_u32 v5, vcc_lo, v1, v9
	s_ashr_i32 s11, s10, 31
	v_subrev_co_ci_u32_e32 v6, vcc_lo, 0, v2, vcc_lo
	s_lshl_b64 s[6:7], s[10:11], 3
	s_sub_i32 s8, s10, 32
	v_add_co_u32 v5, vcc_lo, v5, s6
	s_delay_alu instid0(VALU_DEP_2) | instskip(SKIP_1) | instid1(VALU_DEP_3)
	v_add_co_ci_u32_e32 v6, vcc_lo, s7, v6, vcc_lo
	v_cmp_le_i32_e64 s5, s8, v7
	v_add_co_u32 v5, vcc_lo, 0xfffffef8, v5
	s_delay_alu instid0(VALU_DEP_3) | instskip(SKIP_2) | instid1(VALU_DEP_3)
	v_add_co_ci_u32_e32 v6, vcc_lo, -1, v6, vcc_lo
	v_cmp_gt_i32_e32 vcc_lo, s10, v0
	v_add_lshl_u32 v16, v8, v0, 3
	v_dual_cndmask_b32 v6, v6, v4 :: v_dual_cndmask_b32 v5, v5, v3
	s_and_saveexec_b32 s11, s5
	s_delay_alu instid0(SALU_CYCLE_1)
	s_xor_b32 s5, exec_lo, s11
	s_cbranch_execz .LBB4_90
; %bb.89:
	v_mov_b32_e32 v20, 0
	s_delay_alu instid0(VALU_DEP_1)
	v_mov_b32_e32 v21, v20
	ds_store_b64 v16, v[20:21]
.LBB4_90:
	s_and_not1_saveexec_b32 s5, s5
	s_cbranch_execz .LBB4_92
; %bb.91:
	global_load_b64 v[20:21], v[5:6], off
	s_waitcnt vmcnt(0)
	ds_store_b64 v16, v[20:21]
.LBB4_92:
	s_or_b32 exec_lo, exec_lo, s5
	v_add_nc_u32_e32 v20, 8, v7
	s_delay_alu instid0(VALU_DEP_1) | instskip(NEXT) | instid1(VALU_DEP_1)
	v_cmp_le_i32_e64 s5, s8, v20
	s_and_saveexec_b32 s11, s5
	s_delay_alu instid0(SALU_CYCLE_1)
	s_xor_b32 s5, exec_lo, s11
	s_cbranch_execz .LBB4_94
; %bb.93:
	v_mul_u32_u24_e32 v17, 33, v20
	v_mov_b32_e32 v29, 0
	s_delay_alu instid0(VALU_DEP_2) | instskip(NEXT) | instid1(VALU_DEP_2)
	v_add_lshl_u32 v17, v17, v0, 3
	v_mov_b32_e32 v30, v29
	ds_store_b64 v17, v[29:30]
.LBB4_94:
	s_and_not1_saveexec_b32 s11, s5
	s_cbranch_execz .LBB4_96
; %bb.95:
	s_lshl_b64 s[16:17], s[20:21], 6
	s_delay_alu instid0(SALU_CYCLE_1) | instskip(NEXT) | instid1(VALU_DEP_1)
	v_add_co_u32 v29, s5, v5, s16
	v_add_co_ci_u32_e64 v30, s5, s17, v6, s5
	global_load_b64 v[29:30], v[29:30], off
	s_waitcnt vmcnt(0)
	ds_store_b64 v16, v[29:30] offset:2112
.LBB4_96:
	s_or_b32 exec_lo, exec_lo, s11
	v_add_nc_u32_e32 v21, 16, v7
	s_delay_alu instid0(VALU_DEP_1) | instskip(NEXT) | instid1(VALU_DEP_1)
	v_cmp_le_i32_e64 s5, s8, v21
	s_and_saveexec_b32 s11, s5
	s_delay_alu instid0(SALU_CYCLE_1)
	s_xor_b32 s5, exec_lo, s11
	s_cbranch_execz .LBB4_98
; %bb.97:
	v_mov_b32_e32 v29, 0
	s_delay_alu instid0(VALU_DEP_1)
	v_mov_b32_e32 v30, v29
	ds_store_b64 v16, v[29:30] offset:4224
.LBB4_98:
	s_and_not1_saveexec_b32 s11, s5
	s_cbranch_execz .LBB4_100
; %bb.99:
	s_lshl_b64 s[16:17], s[20:21], 7
	s_delay_alu instid0(SALU_CYCLE_1) | instskip(NEXT) | instid1(VALU_DEP_1)
	v_add_co_u32 v29, s5, v5, s16
	v_add_co_ci_u32_e64 v30, s5, s17, v6, s5
	global_load_b64 v[29:30], v[29:30], off
	s_waitcnt vmcnt(0)
	ds_store_b64 v16, v[29:30] offset:4224
.LBB4_100:
	s_or_b32 exec_lo, exec_lo, s11
	v_add_nc_u32_e32 v29, 24, v7
	s_delay_alu instid0(VALU_DEP_1) | instskip(NEXT) | instid1(VALU_DEP_1)
	v_cmp_le_i32_e64 s5, s8, v29
	s_and_saveexec_b32 s8, s5
	s_delay_alu instid0(SALU_CYCLE_1)
	s_xor_b32 s5, exec_lo, s8
	s_cbranch_execz .LBB4_102
; %bb.101:
	v_mov_b32_e32 v30, 0
	s_delay_alu instid0(VALU_DEP_1)
	v_mov_b32_e32 v31, v30
	ds_store_b64 v16, v[30:31] offset:6336
                                        ; implicit-def: $vgpr16
.LBB4_102:
	s_and_not1_saveexec_b32 s5, s5
	s_cbranch_execz .LBB4_104
; %bb.103:
	v_mad_u64_u32 v[30:31], null, 0xc0, s20, v[5:6]
	s_delay_alu instid0(VALU_DEP_1) | instskip(NEXT) | instid1(VALU_DEP_1)
	v_mov_b32_e32 v17, v31
	v_mad_u64_u32 v[31:32], null, 0xc0, s21, v[17:18]
	global_load_b64 v[30:31], v[30:31], off
	s_waitcnt vmcnt(0)
	ds_store_b64 v16, v[30:31] offset:6336
.LBB4_104:
	s_or_b32 exec_lo, exec_lo, s5
	v_add_co_u32 v5, s5, v5, v9
	s_delay_alu instid0(VALU_DEP_1) | instskip(NEXT) | instid1(VALU_DEP_2)
	v_add_co_ci_u32_e64 v6, s5, 0, v6, s5
	v_sub_co_u32 v5, s5, v5, s6
	s_delay_alu instid0(VALU_DEP_1) | instskip(NEXT) | instid1(VALU_DEP_2)
	v_subrev_co_ci_u32_e64 v6, s5, s7, v6, s5
	v_add_co_u32 v5, s5, v5, 8
	s_delay_alu instid0(VALU_DEP_1) | instskip(NEXT) | instid1(VALU_DEP_1)
	v_add_co_ci_u32_e64 v6, s5, 0, v6, s5
	v_dual_cndmask_b32 v16, v5, v3 :: v_dual_cndmask_b32 v17, v6, v4
	s_branch .LBB4_122
.LBB4_105:
	s_mov_b32 s8, exec_lo
	v_cmpx_eq_u32_e64 v19, v0
	s_cbranch_execz .LBB4_107
; %bb.106:
	v_mul_u32_u24_e32 v3, 34, v0
	s_delay_alu instid0(VALU_DEP_1)
	v_dual_mov_b32 v4, 0 :: v_dual_lshlrev_b32 v3, 3, v3
	ds_store_b32 v3, v4 offset:4
.LBB4_107:
	s_or_b32 exec_lo, exec_lo, s8
	s_and_not1_saveexec_b32 s4, s4
	s_cbranch_execz .LBB4_78
.LBB4_108:
	ds_load_b64 v[3:4], v11
	s_waitcnt lgkmcnt(0)
	v_xor_b32_e32 v4, 0x80000000, v4
	ds_store_b64 v16, v[3:4]
	s_or_b32 exec_lo, exec_lo, s4
	s_and_saveexec_b32 s4, s5
	s_delay_alu instid0(SALU_CYCLE_1)
	s_xor_b32 s4, exec_lo, s4
	s_cbranch_execz .LBB4_79
.LBB4_109:
	ds_load_b64 v[3:4], v18
                                        ; implicit-def: $vgpr17
	s_waitcnt lgkmcnt(0)
	v_xor_b32_e32 v4, 0x80000000, v4
	ds_store_b64 v16, v[3:4] offset:8
	s_and_not1_saveexec_b32 s4, s4
	s_cbranch_execz .LBB4_80
.LBB4_110:
	s_mov_b32 s5, exec_lo
	v_cmpx_eq_u32_e64 v17, v0
	s_cbranch_execz .LBB4_112
; %bb.111:
	v_mul_u32_u24_e32 v3, 34, v0
	s_delay_alu instid0(VALU_DEP_1)
	v_dual_mov_b32 v4, 0 :: v_dual_lshlrev_b32 v3, 3, v3
	ds_store_b32 v3, v4 offset:4
.LBB4_112:
	s_or_b32 exec_lo, exec_lo, s5
	s_delay_alu instid0(SALU_CYCLE_1) | instskip(SKIP_1) | instid1(SALU_CYCLE_1)
	s_or_b32 exec_lo, exec_lo, s4
	s_and_saveexec_b32 s4, s6
	s_xor_b32 s4, exec_lo, s4
	s_cbranch_execz .LBB4_81
.LBB4_113:
	s_mov_b32 s5, exec_lo
	v_cmpx_eq_u32_e64 v20, v0
	s_cbranch_execz .LBB4_115
; %bb.114:
	v_mul_u32_u24_e32 v3, 34, v0
	s_delay_alu instid0(VALU_DEP_1)
	v_dual_mov_b32 v4, 0 :: v_dual_lshlrev_b32 v3, 3, v3
	ds_store_b32 v3, v4 offset:4
.LBB4_115:
	s_or_b32 exec_lo, exec_lo, s5
	s_and_not1_saveexec_b32 s4, s4
	s_cbranch_execz .LBB4_82
.LBB4_116:
	ds_load_b64 v[3:4], v18 offset:264
	s_waitcnt lgkmcnt(0)
	v_xor_b32_e32 v4, 0x80000000, v4
	ds_store_b64 v16, v[3:4] offset:16
	s_or_b32 exec_lo, exec_lo, s4
	s_and_saveexec_b32 s4, s7
	s_delay_alu instid0(SALU_CYCLE_1)
	s_xor_b32 s4, exec_lo, s4
	s_cbranch_execz .LBB4_83
.LBB4_117:
	s_mov_b32 s5, exec_lo
	v_cmpx_eq_u32_e64 v21, v0
	s_cbranch_execz .LBB4_119
; %bb.118:
	v_mul_u32_u24_e32 v3, 34, v0
	s_delay_alu instid0(VALU_DEP_1)
	v_dual_mov_b32 v4, 0 :: v_dual_lshlrev_b32 v3, 3, v3
	ds_store_b32 v3, v4 offset:4
.LBB4_119:
	s_or_b32 exec_lo, exec_lo, s5
                                        ; implicit-def: $vgpr16
	s_or_saveexec_b32 s4, s4
	v_add_nc_u32_e32 v19, 0x2380, v29
	s_xor_b32 exec_lo, exec_lo, s4
	s_cbranch_execnz .LBB4_84
	s_branch .LBB4_85
.LBB4_120:
                                        ; implicit-def: $vgpr16_vgpr17
                                        ; implicit-def: $vgpr20
                                        ; implicit-def: $vgpr21
                                        ; implicit-def: $vgpr29
	s_cbranch_execz .LBB4_122
; %bb.121:
	v_mad_u64_u32 v[5:6], null, 0xc0, s20, v[1:2]
	s_lshl_b64 s[6:7], s[20:21], 6
	v_add_lshl_u32 v0, v8, v0, 3
	v_add_co_u32 v20, vcc_lo, v1, s6
	v_add_co_ci_u32_e32 v21, vcc_lo, s7, v2, vcc_lo
	s_delay_alu instid0(VALU_DEP_4) | instskip(NEXT) | instid1(VALU_DEP_3)
	v_mad_u64_u32 v[16:17], null, 0xc0, s21, v[6:7]
	v_add_co_u32 v29, vcc_lo, v20, s6
	s_delay_alu instid0(VALU_DEP_3) | instskip(NEXT) | instid1(VALU_DEP_3)
	v_add_co_ci_u32_e32 v30, vcc_lo, s7, v21, vcc_lo
	v_mov_b32_e32 v6, v16
	s_clause 0x3
	global_load_b64 v[1:2], v[1:2], off offset:-256
	global_load_b64 v[31:32], v[20:21], off offset:-256
	;; [unrolled: 1-line block ×4, first 2 shown]
	v_add_nc_u32_e32 v21, 16, v7
	v_dual_mov_b32 v17, v4 :: v_dual_add_nc_u32 v20, 8, v7
	v_dual_mov_b32 v16, v3 :: v_dual_add_nc_u32 v29, 24, v7
	s_waitcnt vmcnt(3)
	ds_store_b64 v0, v[1:2]
	s_waitcnt vmcnt(2)
	ds_store_b64 v0, v[31:32] offset:2112
	s_waitcnt vmcnt(1)
	ds_store_b64 v0, v[33:34] offset:4224
	;; [unrolled: 2-line block ×3, first 2 shown]
.LBB4_122:
	v_lshlrev_b32_e32 v0, 3, v7
	v_add_lshl_u32 v1, v20, v10, 3
	v_lshlrev_b32_e32 v2, 3, v20
	s_waitcnt lgkmcnt(0)
	s_barrier
	buffer_gl0_inv
	ds_load_b64 v[30:31], v28
	ds_load_b64 v[32:33], v0 offset:9088
	ds_load_b64 v[34:35], v1
	ds_load_b64 v[36:37], v2 offset:9088
	v_add_lshl_u32 v3, v21, v10, 3
	v_add_lshl_u32 v0, v29, v10, 3
	v_lshlrev_b32_e32 v4, 3, v21
	s_waitcnt lgkmcnt(0)
	v_mul_f32_e32 v46, v35, v37
	v_lshlrev_b32_e32 v1, 3, v29
	v_mul_f32_e32 v29, v31, v33
	v_mul_f32_e32 v31, v31, v32
	s_delay_alu instid0(VALU_DEP_2)
	v_fmac_f32_e32 v29, v30, v32
	v_fmac_f32_e32 v46, v34, v36
	ds_load_b64 v[38:39], v3
	ds_load_b64 v[40:41], v4 offset:9088
	ds_load_b64 v[42:43], v0
	ds_load_b64 v[44:45], v1 offset:9088
	ds_load_b64 v[20:21], v11
	ds_load_b128 v[8:11], v19 offset:256
	ds_load_2addr_b64 v[4:7], v18 offset1:33
	ds_load_b128 v[0:3], v19 offset:272
	ds_load_b64 v[18:19], v18 offset:528
	v_fma_f32 v30, v30, v33, -v31
	v_mul_f32_e32 v35, v35, v36
	s_waitcnt lgkmcnt(0)
	s_barrier
	buffer_gl0_inv
	v_add_f32_e32 v30, 0, v30
	v_fma_f32 v32, v34, v37, -v35
	s_delay_alu instid0(VALU_DEP_1) | instskip(SKIP_3) | instid1(VALU_DEP_4)
	v_dual_add_f32 v30, v30, v32 :: v_dual_mul_f32 v47, v39, v41
	v_mul_f32_e32 v39, v39, v40
	v_mul_f32_e32 v31, v43, v45
	;; [unrolled: 1-line block ×3, first 2 shown]
	v_fmac_f32_e32 v47, v38, v40
	s_delay_alu instid0(VALU_DEP_4) | instskip(NEXT) | instid1(VALU_DEP_4)
	v_fma_f32 v34, v38, v41, -v39
	v_fmac_f32_e32 v31, v42, v44
	s_delay_alu instid0(VALU_DEP_4) | instskip(NEXT) | instid1(VALU_DEP_3)
	v_fma_f32 v32, v42, v45, -v33
	v_dual_add_f32 v30, v30, v34 :: v_dual_add_f32 v29, 0, v29
	s_delay_alu instid0(VALU_DEP_1) | instskip(NEXT) | instid1(VALU_DEP_1)
	v_dual_add_f32 v30, v30, v32 :: v_dual_add_f32 v29, v29, v46
	v_add_f32_e32 v29, v29, v47
	s_delay_alu instid0(VALU_DEP_1)
	v_add_f32_e32 v29, v29, v31
	ds_store_b64 v28, v[29:30]
	s_waitcnt lgkmcnt(0)
	s_barrier
	buffer_gl0_inv
	s_and_saveexec_b32 s5, s4
	s_cbranch_execz .LBB4_124
; %bb.123:
	ds_load_2addr_b64 v[29:32], v23 offset1:1
	ds_load_2addr_b64 v[33:36], v23 offset0:2 offset1:3
	ds_load_2addr_b64 v[37:40], v23 offset0:4 offset1:5
	s_waitcnt lgkmcnt(2)
	v_dual_add_f32 v26, v26, v29 :: v_dual_add_f32 v27, v27, v30
	s_delay_alu instid0(VALU_DEP_1) | instskip(SKIP_3) | instid1(VALU_DEP_1)
	v_dual_add_f32 v26, v26, v31 :: v_dual_add_f32 v27, v27, v32
	ds_load_2addr_b64 v[29:32], v23 offset0:6 offset1:7
	s_waitcnt lgkmcnt(2)
	v_dual_add_f32 v26, v26, v33 :: v_dual_add_f32 v27, v27, v34
	v_dual_add_f32 v26, v26, v35 :: v_dual_add_f32 v27, v27, v36
	s_waitcnt lgkmcnt(1)
	s_delay_alu instid0(VALU_DEP_1) | instskip(NEXT) | instid1(VALU_DEP_1)
	v_dual_add_f32 v26, v26, v37 :: v_dual_add_f32 v27, v27, v38
	v_dual_add_f32 v26, v26, v39 :: v_dual_add_f32 v27, v27, v40
	s_waitcnt lgkmcnt(0)
	s_delay_alu instid0(VALU_DEP_1) | instskip(NEXT) | instid1(VALU_DEP_1)
	v_dual_add_f32 v26, v26, v29 :: v_dual_add_f32 v27, v27, v30
	v_dual_add_f32 v26, v26, v31 :: v_dual_add_f32 v27, v27, v32
.LBB4_124:
	s_or_b32 exec_lo, exec_lo, s5
	v_mul_f32_e32 v29, v9, v21
	v_mul_f32_e32 v21, v8, v21
	v_dual_mul_f32 v30, v11, v5 :: v_dual_mul_f32 v31, v1, v7
	s_delay_alu instid0(VALU_DEP_3) | instskip(NEXT) | instid1(VALU_DEP_3)
	v_fma_f32 v8, v8, v20, -v29
	v_fmac_f32_e32 v21, v9, v20
	v_mul_f32_e32 v7, v0, v7
	s_delay_alu instid0(VALU_DEP_4)
	v_fma_f32 v0, v0, v6, -v31
	s_barrier
	v_dual_add_f32 v8, 0, v8 :: v_dual_mul_f32 v5, v10, v5
	v_fma_f32 v10, v10, v4, -v30
	buffer_gl0_inv
	v_dual_add_f32 v8, v8, v10 :: v_dual_mul_f32 v9, v3, v19
	v_fmac_f32_e32 v5, v11, v4
	s_delay_alu instid0(VALU_DEP_2) | instskip(NEXT) | instid1(VALU_DEP_3)
	v_dual_mul_f32 v11, v2, v19 :: v_dual_add_f32 v0, v8, v0
	v_fma_f32 v2, v2, v18, -v9
	s_delay_alu instid0(VALU_DEP_2) | instskip(NEXT) | instid1(VALU_DEP_2)
	v_fmac_f32_e32 v11, v3, v18
	v_add_f32_e32 v0, v0, v2
	v_dual_add_f32 v4, 0, v21 :: v_dual_fmac_f32 v7, v1, v6
	s_delay_alu instid0(VALU_DEP_1) | instskip(NEXT) | instid1(VALU_DEP_1)
	v_add_f32_e32 v1, v4, v5
	v_add_f32_e32 v1, v1, v7
	s_delay_alu instid0(VALU_DEP_1)
	v_add_f32_e32 v1, v1, v11
	ds_store_b64 v28, v[0:1]
	s_waitcnt lgkmcnt(0)
	s_barrier
	buffer_gl0_inv
	s_and_saveexec_b32 s4, s3
	s_cbranch_execz .LBB4_126
; %bb.125:
	ds_load_2addr_b64 v[0:3], v23 offset1:1
	ds_load_2addr_b64 v[4:7], v23 offset0:2 offset1:3
	ds_load_2addr_b64 v[8:11], v23 offset0:4 offset1:5
	s_waitcnt lgkmcnt(2)
	v_dual_add_f32 v0, v26, v0 :: v_dual_add_f32 v1, v27, v1
	s_delay_alu instid0(VALU_DEP_1) | instskip(SKIP_3) | instid1(VALU_DEP_1)
	v_dual_add_f32 v18, v0, v2 :: v_dual_add_f32 v19, v1, v3
	ds_load_2addr_b64 v[0:3], v23 offset0:6 offset1:7
	s_waitcnt lgkmcnt(2)
	v_dual_add_f32 v4, v18, v4 :: v_dual_add_f32 v5, v19, v5
	v_dual_add_f32 v4, v4, v6 :: v_dual_add_f32 v5, v5, v7
	s_waitcnt lgkmcnt(1)
	s_delay_alu instid0(VALU_DEP_1) | instskip(NEXT) | instid1(VALU_DEP_1)
	v_dual_add_f32 v4, v4, v8 :: v_dual_add_f32 v5, v5, v9
	v_dual_add_f32 v4, v4, v10 :: v_dual_add_f32 v5, v5, v11
	s_waitcnt lgkmcnt(0)
	s_delay_alu instid0(VALU_DEP_1) | instskip(NEXT) | instid1(VALU_DEP_1)
	v_dual_add_f32 v0, v4, v0 :: v_dual_add_f32 v1, v5, v1
	v_dual_add_f32 v26, v0, v2 :: v_dual_add_f32 v27, v1, v3
.LBB4_126:
	s_or_b32 exec_lo, exec_lo, s4
	s_load_b64 s[0:1], s[0:1], 0x68
	s_mul_hi_u32 s3, s30, s15
	s_mul_i32 s25, s25, s15
	s_mul_i32 s4, s30, s15
	s_add_i32 s3, s3, s25
	s_mul_hi_u32 s5, s4, s9
	s_mul_i32 s3, s3, s9
	s_mul_i32 s4, s4, s9
	s_add_i32 s5, s5, s3
	s_mul_hi_i32 s7, s30, s14
	s_lshl_b64 s[4:5], s[4:5], 3
	s_mul_i32 s6, s30, s14
	v_lshlrev_b32_e32 v95, 3, v93
	s_waitcnt lgkmcnt(0)
	s_barrier
	buffer_gl0_inv
	s_add_u32 s3, s0, s4
	s_addc_u32 s4, s1, s5
	s_lshl_b64 s[0:1], s[6:7], 3
	s_delay_alu instid0(SALU_CYCLE_1) | instskip(SKIP_2) | instid1(SALU_CYCLE_1)
	s_add_u32 s3, s3, s0
	s_addc_u32 s6, s4, s1
	s_add_i32 s0, s14, 1
	s_cmp_ge_u32 s0, s9
	s_cbranch_scc1 .LBB4_184
; %bb.127:
	v_dual_mov_b32 v28, 0 :: v_dual_and_b32 v5, 48, v93
	v_lshlrev_b32_e32 v9, 5, v94
	v_and_b32_e32 v6, 15, v93
	v_or_b32_e32 v1, 0x78, v95
	s_delay_alu instid0(VALU_DEP_4)
	v_lshlrev_b32_e32 v0, 3, v5
	v_lshrrev_b32_e32 v7, 4, v22
	v_add_nc_u32_e32 v4, 0x100, v9
	s_mul_i32 s0, s12, s29
	v_mad_u32_u24 v102, 0x218, v6, v1
	v_mad_u32_u24 v101, 0x218, v6, v0
	v_lshlrev_b32_e32 v2, 5, v7
	v_mad_u64_u32 v[0:1], null, s20, v4, 0
	s_mul_hi_u32 s1, s12, s28
	v_add_nc_u32_e32 v8, 0x298, v9
	s_mul_i32 s4, s13, s28
	s_add_i32 s0, s1, s0
	v_mad_u32_u24 v103, 0x218, v6, v2
	s_add_i32 s1, s0, s4
	s_mul_i32 s0, s12, s28
	v_mad_u64_u32 v[2:3], null, s21, v4, v[1:2]
	v_mad_u64_u32 v[3:4], null, s20, v8, 0
	s_lshl_b64 s[0:1], s[0:1], 3
	v_mul_i32_i24_e32 v10, 0xffffffe8, v7
	v_sub_co_u32 v97, vcc_lo, v14, s0
	v_subrev_co_ci_u32_e32 v98, vcc_lo, s1, v15, vcc_lo
	v_sub_co_u32 v7, vcc_lo, v0, v12
	v_dual_mov_b32 v1, v4 :: v_dual_lshlrev_b32 v96, 2, v94
	v_sub_co_ci_u32_e32 v2, vcc_lo, v2, v13, vcc_lo
	v_or_b32_e32 v121, v5, v6
	v_add_nc_u32_e32 v6, 0x110, v9
	v_add_nc_u32_e32 v11, 0x290, v9
	s_delay_alu instid0(VALU_DEP_4) | instskip(SKIP_3) | instid1(VALU_DEP_3)
	v_mad_u64_u32 v[4:5], null, s21, v8, v[1:2]
	v_add_co_u32 v5, vcc_lo, v16, v7
	v_add_co_ci_u32_e32 v2, vcc_lo, v17, v2, vcc_lo
	v_add_nc_u32_e32 v99, 0x2180, v95
	v_add_co_u32 v122, vcc_lo, v5, 4
	v_mad_u64_u32 v[0:1], null, s20, v6, 0
	s_delay_alu instid0(VALU_DEP_4) | instskip(SKIP_4) | instid1(VALU_DEP_4)
	v_add_co_ci_u32_e32 v123, vcc_lo, 0, v2, vcc_lo
	v_mov_b32_e32 v2, v4
	v_mad_u64_u32 v[4:5], null, s20, v11, 0
	v_add_nc_u32_e32 v14, 0x108, v9
	v_sub_co_u32 v7, vcc_lo, v3, v12
	v_sub_co_ci_u32_e32 v8, vcc_lo, v2, v13, vcc_lo
	v_mad_u64_u32 v[2:3], null, s21, v6, v[1:2]
	v_mov_b32_e32 v1, v5
	v_mad_u64_u32 v[5:6], null, s20, v14, 0
	v_add_co_u32 v124, vcc_lo, v16, v7
	v_add_co_ci_u32_e32 v125, vcc_lo, v17, v8, vcc_lo
	s_delay_alu instid0(VALU_DEP_4) | instskip(NEXT) | instid1(VALU_DEP_4)
	v_mad_u64_u32 v[7:8], null, s21, v11, v[1:2]
	v_mov_b32_e32 v1, v6
	v_sub_co_u32 v6, vcc_lo, v0, v12
	v_add_nc_u32_e32 v11, 0x288, v9
	v_sub_co_ci_u32_e32 v8, vcc_lo, v2, v13, vcc_lo
	s_delay_alu instid0(VALU_DEP_4) | instskip(NEXT) | instid1(VALU_DEP_3)
	v_mad_u64_u32 v[2:3], null, s21, v14, v[1:2]
	v_mad_u64_u32 v[0:1], null, s20, v11, 0
	v_add_co_u32 v126, vcc_lo, v16, v6
	s_delay_alu instid0(VALU_DEP_4)
	v_add_co_ci_u32_e32 v127, vcc_lo, v17, v8, vcc_lo
	v_sub_co_u32 v6, vcc_lo, v4, v12
	v_add_nc_u32_e32 v8, 0x118, v9
	v_sub_co_ci_u32_e32 v7, vcc_lo, v7, v13, vcc_lo
	v_sub_co_u32 v5, vcc_lo, v5, v12
	v_sub_co_ci_u32_e32 v14, vcc_lo, v2, v13, vcc_lo
	v_mad_u64_u32 v[2:3], null, s21, v11, v[1:2]
	v_mad_u64_u32 v[3:4], null, s20, v8, 0
	v_add_co_u32 v128, vcc_lo, v16, v6
	v_add_co_ci_u32_e32 v129, vcc_lo, v17, v7, vcc_lo
	v_add_co_u32 v7, vcc_lo, v16, v5
	v_add_co_ci_u32_e32 v11, vcc_lo, v17, v14, vcc_lo
	v_sub_co_u32 v14, vcc_lo, v0, v12
	v_dual_mov_b32 v1, v4 :: v_dual_add_nc_u32 v100, 0x2380, v95
	v_sub_co_ci_u32_e32 v2, vcc_lo, v2, v13, vcc_lo
	v_add_nc_u32_e32 v18, 0x180, v9
	v_add_co_u32 v130, vcc_lo, v7, 4
	s_delay_alu instid0(VALU_DEP_3) | instskip(NEXT) | instid1(VALU_DEP_3)
	v_mad_u64_u32 v[4:5], null, s21, v8, v[1:2]
	v_mad_u64_u32 v[5:6], null, s20, v18, 0
	v_add_co_ci_u32_e32 v131, vcc_lo, 0, v11, vcc_lo
	v_add_co_u32 v132, vcc_lo, v16, v14
	v_add_co_ci_u32_e32 v133, vcc_lo, v17, v2, vcc_lo
	s_delay_alu instid0(VALU_DEP_4) | instskip(SKIP_2) | instid1(VALU_DEP_3)
	v_dual_mov_b32 v2, v6 :: v_dual_add_nc_u32 v15, 0x280, v9
	v_sub_co_u32 v8, vcc_lo, v3, v12
	v_sub_co_ci_u32_e32 v11, vcc_lo, v4, v13, vcc_lo
	v_mad_u64_u32 v[0:1], null, s20, v15, 0
	v_add_nc_u32_e32 v14, 0x190, v9
	v_add_nc_u32_e32 v19, 0x198, v9
	v_cmp_gt_u32_e64 s0, 64, v22
	v_or_b32_e32 v104, 1, v96
	v_or_b32_e32 v105, 2, v96
	;; [unrolled: 1-line block ×3, first 2 shown]
	v_mad_u64_u32 v[3:4], null, s21, v15, v[1:2]
	v_add_co_u32 v1, vcc_lo, v16, v8
	v_add_nc_u32_e32 v4, 0x218, v9
	v_mad_u32_u24 v108, 0x860, v94, v95
	v_add_nc_u32_e32 v112, 19, v96
	v_add_nc_u32_e32 v114, 33, v96
	v_mad_u64_u32 v[6:7], null, s21, v18, v[2:3]
	v_add_co_ci_u32_e32 v2, vcc_lo, v17, v11, vcc_lo
	v_add_co_u32 v134, vcc_lo, v1, 4
	v_add_nc_u32_e32 v116, 35, v96
	s_delay_alu instid0(VALU_DEP_3)
	v_add_co_ci_u32_e32 v135, vcc_lo, 0, v2, vcc_lo
	v_mad_u64_u32 v[1:2], null, s20, v4, 0
	v_sub_co_u32 v7, vcc_lo, v0, v12
	v_sub_co_ci_u32_e32 v8, vcc_lo, v3, v13, vcc_lo
	v_sub_co_u32 v3, vcc_lo, v5, v12
	v_sub_co_ci_u32_e32 v5, vcc_lo, v6, v13, vcc_lo
	v_dual_mov_b32 v0, v2 :: v_dual_add_nc_u32 v107, 0x2180, v9
	s_delay_alu instid0(VALU_DEP_3) | instskip(SKIP_1) | instid1(VALU_DEP_4)
	v_add_co_u32 v11, vcc_lo, v16, v3
	v_add_nc_u32_e32 v6, 0x188, v9
	v_add_co_ci_u32_e32 v5, vcc_lo, v17, v5, vcc_lo
	s_delay_alu instid0(VALU_DEP_4)
	v_mad_u64_u32 v[2:3], null, s21, v4, v[0:1]
	v_add_co_u32 v136, vcc_lo, v16, v7
	v_add_co_ci_u32_e32 v137, vcc_lo, v17, v8, vcc_lo
	v_mad_u64_u32 v[3:4], null, s20, v6, 0
	v_add_co_u32 v138, vcc_lo, v11, 4
	v_add_nc_u32_e32 v11, 0x210, v9
	v_add_co_ci_u32_e32 v139, vcc_lo, 0, v5, vcc_lo
	v_sub_co_u32 v7, vcc_lo, v1, v12
	v_sub_co_ci_u32_e32 v8, vcc_lo, v2, v13, vcc_lo
	s_delay_alu instid0(VALU_DEP_4) | instskip(SKIP_4) | instid1(VALU_DEP_4)
	v_mad_u64_u32 v[1:2], null, s20, v11, 0
	v_dual_mov_b32 v0, v4 :: v_dual_add_nc_u32 v109, 16, v96
	v_add_nc_u32_e32 v111, 18, v96
	v_add_co_u32 v140, vcc_lo, v16, v7
	v_add_co_ci_u32_e32 v141, vcc_lo, v17, v8, vcc_lo
	v_mad_u64_u32 v[4:5], null, s21, v6, v[0:1]
	v_mov_b32_e32 v0, v2
	v_mad_u64_u32 v[5:6], null, s20, v14, 0
	v_add_nc_u32_e32 v113, 32, v96
	v_sub_co_u32 v3, vcc_lo, v3, v12
	v_dual_mov_b32 v2, v4 :: v_dual_add_nc_u32 v115, 34, v96
	v_mad_u64_u32 v[7:8], null, s21, v11, v[0:1]
	v_mov_b32_e32 v0, v6
	s_delay_alu instid0(VALU_DEP_3) | instskip(SKIP_2) | instid1(VALU_DEP_3)
	v_sub_co_ci_u32_e32 v2, vcc_lo, v2, v13, vcc_lo
	v_add_nc_u32_e32 v11, 0x208, v9
	v_add_co_u32 v6, vcc_lo, v16, v3
	v_add_co_ci_u32_e32 v8, vcc_lo, v17, v2, vcc_lo
	v_mad_u64_u32 v[2:3], null, s21, v14, v[0:1]
	s_delay_alu instid0(VALU_DEP_4) | instskip(NEXT) | instid1(VALU_DEP_4)
	v_mad_u64_u32 v[3:4], null, s20, v11, 0
	v_add_co_u32 v142, vcc_lo, v6, 4
	s_delay_alu instid0(VALU_DEP_4)
	v_add_co_ci_u32_e32 v143, vcc_lo, 0, v8, vcc_lo
	v_add_nc_u32_e32 v117, 48, v96
	v_sub_co_u32 v8, vcc_lo, v1, v12
	v_dual_mov_b32 v0, v4 :: v_dual_mov_b32 v1, v2
	v_add_nc_u32_e32 v9, 0x200, v9
	v_sub_co_ci_u32_e32 v14, vcc_lo, v7, v13, vcc_lo
	v_sub_co_u32 v15, vcc_lo, v5, v12
	s_delay_alu instid0(VALU_DEP_4)
	v_sub_co_ci_u32_e32 v18, vcc_lo, v1, v13, vcc_lo
	v_mad_u64_u32 v[1:2], null, s21, v11, v[0:1]
	v_mad_u64_u32 v[4:5], null, s20, v19, 0
	;; [unrolled: 1-line block ×3, first 2 shown]
	v_add_co_u32 v144, vcc_lo, v16, v8
	v_add_co_ci_u32_e32 v145, vcc_lo, v17, v14, vcc_lo
	v_dual_mov_b32 v2, v1 :: v_dual_add_nc_u32 v119, 50, v96
	v_add_co_u32 v11, vcc_lo, v16, v15
	v_dual_mov_b32 v0, v5 :: v_dual_mov_b32 v1, v7
	v_add_co_ci_u32_e32 v14, vcc_lo, v17, v18, vcc_lo
	v_sub_co_u32 v5, vcc_lo, v3, v12
	v_sub_co_ci_u32_e32 v15, vcc_lo, v2, v13, vcc_lo
	s_delay_alu instid0(VALU_DEP_4) | instskip(SKIP_3) | instid1(VALU_DEP_4)
	v_mad_u64_u32 v[2:3], null, s21, v19, v[0:1]
	v_add_co_u32 v146, vcc_lo, v11, 4
	v_add_co_ci_u32_e32 v147, vcc_lo, 0, v14, vcc_lo
	v_add_co_u32 v148, vcc_lo, v16, v5
	v_mad_u64_u32 v[7:8], null, s21, v9, v[1:2]
	v_mov_b32_e32 v0, v2
	v_add_co_ci_u32_e32 v149, vcc_lo, v17, v15, vcc_lo
	v_add_nc_u32_e32 v110, 17, v96
	v_sub_co_u32 v2, vcc_lo, v4, v12
	v_mov_b32_e32 v1, v7
	v_sub_co_ci_u32_e32 v0, vcc_lo, v0, v13, vcc_lo
	v_sub_co_u32 v3, vcc_lo, v6, v12
	s_delay_alu instid0(VALU_DEP_3) | instskip(SKIP_1) | instid1(VALU_DEP_4)
	v_sub_co_ci_u32_e32 v1, vcc_lo, v1, v13, vcc_lo
	v_add_co_u32 v2, vcc_lo, v16, v2
	v_add_co_ci_u32_e32 v0, vcc_lo, v17, v0, vcc_lo
	s_delay_alu instid0(VALU_DEP_4) | instskip(NEXT) | instid1(VALU_DEP_4)
	v_add_co_u32 v3, vcc_lo, v16, v3
	v_add_co_ci_u32_e32 v1, vcc_lo, v17, v1, vcc_lo
	s_delay_alu instid0(VALU_DEP_4) | instskip(NEXT) | instid1(VALU_DEP_4)
	v_add_co_u32 v150, vcc_lo, v2, 4
	v_add_co_ci_u32_e32 v151, vcc_lo, 0, v0, vcc_lo
	s_delay_alu instid0(VALU_DEP_4)
	v_add_co_u32 v152, vcc_lo, v3, 4
	v_add_nc_u32_e32 v118, 49, v96
	v_add_nc_u32_e32 v120, 51, v96
	v_add_co_ci_u32_e32 v153, vcc_lo, 0, v1, vcc_lo
	v_add_nc_u32_e32 v154, v103, v10
	s_add_i32 s7, s9, -2
	s_add_i32 s8, s12, 64
	s_lshl_b64 s[4:5], s[20:21], 9
	s_cmp_eq_u32 s7, s14
	s_cselect_b32 s11, s24, 0
	s_and_saveexec_b32 s1, s2
	s_cbranch_execz .LBB4_132
.LBB4_128:
	v_cmp_le_i32_e32 vcc_lo, s11, v93
	s_cmp_lg_u32 s11, 0
	s_cselect_b32 s12, -1, 0
	s_delay_alu instid0(SALU_CYCLE_1) | instskip(NEXT) | instid1(SALU_CYCLE_1)
	s_and_b32 s12, s12, vcc_lo
	s_and_saveexec_b32 s13, s12
	s_delay_alu instid0(SALU_CYCLE_1)
	s_xor_b32 s12, exec_lo, s13
	s_cbranch_execz .LBB4_130
; %bb.129:
	v_mov_b32_e32 v29, v28
	ds_store_b64 v99, v[28:29]
.LBB4_130:
	s_and_not1_saveexec_b32 s12, s12
	s_cbranch_execz .LBB4_132
; %bb.131:
	s_mul_i32 s12, s8, s29
	s_mul_hi_u32 s13, s8, s28
	s_ashr_i32 s15, s8, 31
	s_add_i32 s12, s13, s12
	s_mul_i32 s15, s15, s28
	s_delay_alu instid0(SALU_CYCLE_1) | instskip(SKIP_1) | instid1(SALU_CYCLE_1)
	s_add_i32 s13, s12, s15
	s_mul_i32 s12, s8, s28
	s_lshl_b64 s[12:13], s[12:13], 3
	s_delay_alu instid0(SALU_CYCLE_1)
	v_add_co_u32 v0, vcc_lo, v97, s12
	v_add_co_ci_u32_e32 v1, vcc_lo, s13, v98, vcc_lo
	global_load_b64 v[0:1], v[0:1], off
	s_waitcnt vmcnt(0)
	ds_store_b64 v99, v[0:1]
.LBB4_132:                              ; =>This Inner Loop Header: Depth=1
	s_or_b32 exec_lo, exec_lo, s1
	s_cmp_eq_u32 s11, 0
	v_add_co_u32 v0, vcc_lo, v122, v95
	s_cselect_b32 s12, -1, 0
	s_cmp_lg_u32 s11, 0
	v_add_co_ci_u32_e32 v1, vcc_lo, 0, v123, vcc_lo
	s_cselect_b32 s1, -1, 0
	s_waitcnt lgkmcnt(0)
	s_and_b32 vcc_lo, exec_lo, s1
	s_barrier
	buffer_gl0_inv
	s_cbranch_vccz .LBB4_140
; %bb.133:                              ;   in Loop: Header=BB4_132 Depth=1
	v_dual_mov_b32 v31, 0 :: v_dual_mov_b32 v30, 0
	v_mov_b32_e32 v29, 0
	s_mov_b32 s13, exec_lo
	v_cmpx_gt_i32_e64 s11, v96
	s_cbranch_execz .LBB4_135
; %bb.134:                              ;   in Loop: Header=BB4_132 Depth=1
	global_load_b64 v[29:30], v[0:1], off offset:-4
.LBB4_135:                              ;   in Loop: Header=BB4_132 Depth=1
	s_or_b32 exec_lo, exec_lo, s13
	v_mov_b32_e32 v32, 0
	s_mov_b32 s13, exec_lo
	v_cmpx_gt_i32_e64 s11, v104
	s_cbranch_execz .LBB4_137
; %bb.136:                              ;   in Loop: Header=BB4_132 Depth=1
	v_add_co_u32 v2, vcc_lo, v130, v95
	v_add_co_ci_u32_e32 v3, vcc_lo, 0, v131, vcc_lo
	global_load_b64 v[31:32], v[2:3], off offset:-4
.LBB4_137:                              ;   in Loop: Header=BB4_132 Depth=1
	s_or_b32 exec_lo, exec_lo, s13
	v_dual_mov_b32 v33, 0 :: v_dual_mov_b32 v34, 0
	s_mov_b32 s16, 0
	s_mov_b32 s13, exec_lo
	v_cmpx_gt_i32_e64 s11, v105
	s_cbranch_execz .LBB4_139
; %bb.138:                              ;   in Loop: Header=BB4_132 Depth=1
	v_add_co_u32 v2, vcc_lo, v126, v95
	v_add_co_ci_u32_e32 v3, vcc_lo, 0, v127, vcc_lo
	global_load_b64 v[33:34], v[2:3], off
.LBB4_139:                              ;   in Loop: Header=BB4_132 Depth=1
	s_or_b32 exec_lo, exec_lo, s13
	v_cmp_gt_i32_e64 s13, s11, v106
	s_mov_b32 s15, 0
	s_and_b32 vcc_lo, exec_lo, s16
	s_cbranch_vccnz .LBB4_141
	s_branch .LBB4_142
.LBB4_140:                              ;   in Loop: Header=BB4_132 Depth=1
	s_mov_b32 s13, 0
                                        ; implicit-def: $vgpr30
                                        ; implicit-def: $vgpr32
                                        ; implicit-def: $vgpr34
                                        ; implicit-def: $sgpr15
	s_cbranch_execz .LBB4_142
.LBB4_141:                              ;   in Loop: Header=BB4_132 Depth=1
	v_add_co_u32 v2, vcc_lo, v130, v95
	v_add_co_ci_u32_e32 v3, vcc_lo, 0, v131, vcc_lo
	v_add_co_u32 v4, vcc_lo, v126, v95
	v_add_co_ci_u32_e32 v5, vcc_lo, 0, v127, vcc_lo
	global_load_b64 v[29:30], v[0:1], off offset:-4
	global_load_b64 v[31:32], v[2:3], off offset:-4
	global_load_b64 v[33:34], v[4:5], off
	s_or_b32 s13, s13, exec_lo
                                        ; implicit-def: $sgpr15
.LBB4_142:                              ;   in Loop: Header=BB4_132 Depth=1
	v_dual_mov_b32 v35, s15 :: v_dual_mov_b32 v36, s15
	s_and_saveexec_b32 s15, s13
	s_cbranch_execz .LBB4_144
; %bb.143:                              ;   in Loop: Header=BB4_132 Depth=1
	v_add_co_u32 v0, vcc_lo, v134, v95
	v_add_co_ci_u32_e32 v1, vcc_lo, 0, v135, vcc_lo
	global_load_b64 v[35:36], v[0:1], off offset:-4
.LBB4_144:                              ;   in Loop: Header=BB4_132 Depth=1
	s_or_b32 exec_lo, exec_lo, s15
	ds_load_b64 v[0:1], v100
	ds_load_b64 v[37:38], v107
	v_cndmask_b32_e64 v77, 0, 1, s1
	s_waitcnt vmcnt(0) lgkmcnt(1)
	v_dual_mul_f32 v2, v30, v1 :: v_dual_mul_f32 v5, v32, v0
	v_dual_mul_f32 v3, v30, v0 :: v_dual_mul_f32 v4, v32, v1
	;; [unrolled: 1-line block ×4, first 2 shown]
	s_delay_alu instid0(VALU_DEP_4) | instskip(NEXT) | instid1(VALU_DEP_4)
	v_fmac_f32_e32 v2, v29, v0
	v_fma_f32 v3, v29, v1, -v3
	v_fmac_f32_e32 v4, v31, v0
	v_fma_f32 v5, v31, v1, -v5
	;; [unrolled: 2-line block ×4, first 2 shown]
	ds_store_b64 v108, v[2:3]
	ds_load_b64 v[43:44], v107 offset:8
	ds_store_b64 v108, v[4:5] offset:536
	ds_load_b64 v[41:42], v107 offset:16
	ds_store_b64 v108, v[6:7] offset:1072
	;; [unrolled: 2-line block ×3, first 2 shown]
	s_waitcnt lgkmcnt(0)
	s_barrier
	buffer_gl0_inv
	ds_load_2addr_b64 v[4:7], v103 offset1:1
	ds_load_2addr_b64 v[0:3], v103 offset0:2 offset1:3
	v_add_co_u32 v8, vcc_lo, v138, v95
	v_add_co_ci_u32_e32 v9, vcc_lo, 0, v139, vcc_lo
	s_and_not1_b32 vcc_lo, exec_lo, s1
	s_waitcnt lgkmcnt(0)
	s_barrier
	buffer_gl0_inv
	s_cbranch_vccnz .LBB4_152
; %bb.145:                              ;   in Loop: Header=BB4_132 Depth=1
	v_dual_mov_b32 v45, 0 :: v_dual_mov_b32 v48, 0
	v_mov_b32_e32 v47, 0
	s_mov_b32 s1, exec_lo
	v_cmpx_gt_i32_e64 s11, v109
	s_cbranch_execz .LBB4_147
; %bb.146:                              ;   in Loop: Header=BB4_132 Depth=1
	global_load_b64 v[47:48], v[8:9], off offset:-4
.LBB4_147:                              ;   in Loop: Header=BB4_132 Depth=1
	s_or_b32 exec_lo, exec_lo, s1
	v_mov_b32_e32 v46, 0
	s_mov_b32 s1, exec_lo
	v_cmpx_gt_i32_e64 s11, v110
	s_cbranch_execz .LBB4_149
; %bb.148:                              ;   in Loop: Header=BB4_132 Depth=1
	v_add_co_u32 v10, vcc_lo, v142, v95
	v_add_co_ci_u32_e32 v11, vcc_lo, 0, v143, vcc_lo
	global_load_b64 v[45:46], v[10:11], off offset:-4
.LBB4_149:                              ;   in Loop: Header=BB4_132 Depth=1
	s_or_b32 exec_lo, exec_lo, s1
	v_dual_mov_b32 v49, 0 :: v_dual_mov_b32 v50, 0
	s_mov_b32 s15, 0
	s_mov_b32 s1, exec_lo
	v_cmpx_gt_i32_e64 s11, v111
	s_cbranch_execz .LBB4_151
; %bb.150:                              ;   in Loop: Header=BB4_132 Depth=1
	v_add_co_u32 v10, vcc_lo, v146, v95
	v_add_co_ci_u32_e32 v11, vcc_lo, 0, v147, vcc_lo
	global_load_b64 v[49:50], v[10:11], off offset:-4
.LBB4_151:                              ;   in Loop: Header=BB4_132 Depth=1
	s_or_b32 exec_lo, exec_lo, s1
	v_cmp_gt_i32_e64 s1, s11, v112
	s_mov_b32 s13, 0
	s_and_b32 vcc_lo, exec_lo, s15
	s_cbranch_vccnz .LBB4_153
	s_branch .LBB4_154
.LBB4_152:                              ;   in Loop: Header=BB4_132 Depth=1
	s_mov_b32 s1, 0
                                        ; implicit-def: $vgpr48
                                        ; implicit-def: $vgpr46
                                        ; implicit-def: $vgpr50
                                        ; implicit-def: $sgpr13
	s_cbranch_execz .LBB4_154
.LBB4_153:                              ;   in Loop: Header=BB4_132 Depth=1
	v_add_co_u32 v10, vcc_lo, v142, v95
	v_add_co_ci_u32_e32 v11, vcc_lo, 0, v143, vcc_lo
	v_add_co_u32 v12, vcc_lo, v146, v95
	v_add_co_ci_u32_e32 v13, vcc_lo, 0, v147, vcc_lo
	global_load_b64 v[47:48], v[8:9], off offset:-4
	global_load_b64 v[45:46], v[10:11], off offset:-4
	;; [unrolled: 1-line block ×3, first 2 shown]
	s_or_b32 s1, s1, exec_lo
                                        ; implicit-def: $sgpr13
.LBB4_154:                              ;   in Loop: Header=BB4_132 Depth=1
	v_dual_mov_b32 v51, s13 :: v_dual_mov_b32 v52, s13
	s_and_saveexec_b32 s13, s1
	s_cbranch_execz .LBB4_156
; %bb.155:                              ;   in Loop: Header=BB4_132 Depth=1
	v_add_co_u32 v8, vcc_lo, v150, v95
	v_add_co_ci_u32_e32 v9, vcc_lo, 0, v151, vcc_lo
	global_load_b64 v[51:52], v[8:9], off offset:-4
.LBB4_156:                              ;   in Loop: Header=BB4_132 Depth=1
	s_or_b32 exec_lo, exec_lo, s13
	ds_load_b64 v[8:9], v100
	ds_load_b64 v[53:54], v107 offset:128
	v_cmp_ne_u32_e32 vcc_lo, 1, v77
	s_and_b32 vcc_lo, exec_lo, vcc_lo
	s_waitcnt vmcnt(0) lgkmcnt(1)
	v_dual_mul_f32 v10, v48, v9 :: v_dual_mul_f32 v13, v46, v8
	v_dual_mul_f32 v11, v48, v8 :: v_dual_mul_f32 v12, v46, v9
	;; [unrolled: 1-line block ×4, first 2 shown]
	s_delay_alu instid0(VALU_DEP_4) | instskip(NEXT) | instid1(VALU_DEP_4)
	v_fmac_f32_e32 v10, v47, v8
	v_fma_f32 v11, v47, v9, -v11
	v_fmac_f32_e32 v12, v45, v8
	v_fma_f32 v13, v45, v9, -v13
	;; [unrolled: 2-line block ×4, first 2 shown]
	ds_store_b64 v108, v[10:11]
	ds_load_b64 v[59:60], v107 offset:136
	ds_store_b64 v108, v[12:13] offset:536
	ds_load_b64 v[57:58], v107 offset:144
	ds_store_b64 v108, v[14:15] offset:1072
	;; [unrolled: 2-line block ×3, first 2 shown]
	s_waitcnt lgkmcnt(0)
	s_barrier
	buffer_gl0_inv
	ds_load_2addr_b64 v[12:15], v103 offset1:1
	ds_load_2addr_b64 v[8:11], v103 offset0:2 offset1:3
	v_add_co_u32 v16, s1, v152, v95
	s_delay_alu instid0(VALU_DEP_1)
	v_add_co_ci_u32_e64 v17, s1, 0, v153, s1
	s_waitcnt lgkmcnt(0)
	s_barrier
	buffer_gl0_inv
	s_cbranch_vccnz .LBB4_164
; %bb.157:                              ;   in Loop: Header=BB4_132 Depth=1
	v_dual_mov_b32 v61, 0 :: v_dual_mov_b32 v64, 0
	v_mov_b32_e32 v63, 0
	s_mov_b32 s1, exec_lo
	v_cmpx_gt_i32_e64 s11, v113
	s_cbranch_execz .LBB4_159
; %bb.158:                              ;   in Loop: Header=BB4_132 Depth=1
	global_load_b64 v[63:64], v[16:17], off offset:-4
.LBB4_159:                              ;   in Loop: Header=BB4_132 Depth=1
	s_or_b32 exec_lo, exec_lo, s1
	v_mov_b32_e32 v62, 0
	s_mov_b32 s1, exec_lo
	v_cmpx_gt_i32_e64 s11, v114
	s_cbranch_execz .LBB4_161
; %bb.160:                              ;   in Loop: Header=BB4_132 Depth=1
	v_add_co_u32 v18, vcc_lo, v148, v95
	v_add_co_ci_u32_e32 v19, vcc_lo, 0, v149, vcc_lo
	global_load_b64 v[61:62], v[18:19], off
.LBB4_161:                              ;   in Loop: Header=BB4_132 Depth=1
	s_or_b32 exec_lo, exec_lo, s1
	v_dual_mov_b32 v65, 0 :: v_dual_mov_b32 v66, 0
	s_mov_b32 s15, 0
	s_mov_b32 s1, exec_lo
	v_cmpx_gt_i32_e64 s11, v115
	s_cbranch_execz .LBB4_163
; %bb.162:                              ;   in Loop: Header=BB4_132 Depth=1
	v_add_co_u32 v18, vcc_lo, v144, v95
	v_add_co_ci_u32_e32 v19, vcc_lo, 0, v145, vcc_lo
	global_load_b64 v[65:66], v[18:19], off
.LBB4_163:                              ;   in Loop: Header=BB4_132 Depth=1
	s_or_b32 exec_lo, exec_lo, s1
	v_cmp_gt_i32_e64 s1, s11, v116
	s_mov_b32 s13, 0
	s_and_b32 vcc_lo, exec_lo, s15
	s_cbranch_vccnz .LBB4_165
	s_branch .LBB4_166
.LBB4_164:                              ;   in Loop: Header=BB4_132 Depth=1
	s_mov_b32 s1, 0
                                        ; implicit-def: $vgpr64
                                        ; implicit-def: $vgpr62
                                        ; implicit-def: $vgpr66
                                        ; implicit-def: $sgpr13
	s_cbranch_execz .LBB4_166
.LBB4_165:                              ;   in Loop: Header=BB4_132 Depth=1
	v_add_co_u32 v18, vcc_lo, v148, v95
	v_add_co_ci_u32_e32 v19, vcc_lo, 0, v149, vcc_lo
	v_add_co_u32 v20, vcc_lo, v144, v95
	v_add_co_ci_u32_e32 v21, vcc_lo, 0, v145, vcc_lo
	global_load_b64 v[63:64], v[16:17], off offset:-4
	global_load_b64 v[61:62], v[18:19], off
	global_load_b64 v[65:66], v[20:21], off
	s_or_b32 s1, s1, exec_lo
                                        ; implicit-def: $sgpr13
.LBB4_166:                              ;   in Loop: Header=BB4_132 Depth=1
	v_dual_mov_b32 v67, s13 :: v_dual_mov_b32 v68, s13
	s_and_saveexec_b32 s13, s1
	s_cbranch_execz .LBB4_168
; %bb.167:                              ;   in Loop: Header=BB4_132 Depth=1
	v_add_co_u32 v16, vcc_lo, v140, v95
	v_add_co_ci_u32_e32 v17, vcc_lo, 0, v141, vcc_lo
	global_load_b64 v[67:68], v[16:17], off
.LBB4_168:                              ;   in Loop: Header=BB4_132 Depth=1
	s_or_b32 exec_lo, exec_lo, s13
	ds_load_b64 v[16:17], v100
	ds_load_b64 v[69:70], v107 offset:256
	v_cmp_ne_u32_e32 vcc_lo, 1, v77
	v_add_co_u32 v83, s1, v136, v95
	s_delay_alu instid0(VALU_DEP_1)
	v_add_co_ci_u32_e64 v84, s1, 0, v137, s1
	s_and_b32 vcc_lo, exec_lo, vcc_lo
	s_waitcnt vmcnt(0) lgkmcnt(1)
	v_dual_mul_f32 v18, v64, v17 :: v_dual_mul_f32 v21, v62, v16
	v_dual_mul_f32 v19, v64, v16 :: v_dual_mul_f32 v20, v62, v17
	;; [unrolled: 1-line block ×4, first 2 shown]
	s_delay_alu instid0(VALU_DEP_4) | instskip(NEXT) | instid1(VALU_DEP_4)
	v_fmac_f32_e32 v18, v63, v16
	v_fma_f32 v19, v63, v17, -v19
	v_fmac_f32_e32 v20, v61, v16
	v_fma_f32 v21, v61, v17, -v21
	v_fmac_f32_e32 v22, v65, v16
	v_fma_f32 v23, v65, v17, -v23
	v_fmac_f32_e32 v78, v67, v16
	v_fma_f32 v79, v67, v17, -v71
	ds_store_b64 v108, v[18:19]
	ds_load_b64 v[75:76], v107 offset:264
	ds_store_b64 v108, v[20:21] offset:536
	ds_load_b64 v[73:74], v107 offset:272
	ds_store_b64 v108, v[22:23] offset:1072
	;; [unrolled: 2-line block ×3, first 2 shown]
	s_waitcnt lgkmcnt(0)
	s_barrier
	buffer_gl0_inv
	ds_load_2addr_b64 v[20:23], v103 offset1:1
	ds_load_2addr_b64 v[16:19], v103 offset0:2 offset1:3
	s_waitcnt lgkmcnt(0)
	s_barrier
	buffer_gl0_inv
	s_cbranch_vccnz .LBB4_176
; %bb.169:                              ;   in Loop: Header=BB4_132 Depth=1
	v_dual_mov_b32 v79, 0 :: v_dual_mov_b32 v78, 0
	v_mov_b32_e32 v77, 0
	s_mov_b32 s1, exec_lo
	v_cmpx_gt_i32_e64 s11, v117
	s_cbranch_execz .LBB4_171
; %bb.170:                              ;   in Loop: Header=BB4_132 Depth=1
	global_load_b64 v[77:78], v[83:84], off
.LBB4_171:                              ;   in Loop: Header=BB4_132 Depth=1
	s_or_b32 exec_lo, exec_lo, s1
	v_mov_b32_e32 v80, 0
	s_mov_b32 s1, exec_lo
	v_cmpx_gt_i32_e64 s11, v118
	s_cbranch_execz .LBB4_173
; %bb.172:                              ;   in Loop: Header=BB4_132 Depth=1
	v_add_co_u32 v79, vcc_lo, v132, v95
	v_add_co_ci_u32_e32 v80, vcc_lo, 0, v133, vcc_lo
	global_load_b64 v[79:80], v[79:80], off
.LBB4_173:                              ;   in Loop: Header=BB4_132 Depth=1
	s_or_b32 exec_lo, exec_lo, s1
	v_dual_mov_b32 v81, 0 :: v_dual_mov_b32 v82, 0
	s_mov_b32 s15, 0
	s_mov_b32 s1, exec_lo
	v_cmpx_gt_i32_e64 s11, v119
	s_cbranch_execz .LBB4_175
; %bb.174:                              ;   in Loop: Header=BB4_132 Depth=1
	v_add_co_u32 v81, vcc_lo, v128, v95
	v_add_co_ci_u32_e32 v82, vcc_lo, 0, v129, vcc_lo
	global_load_b64 v[81:82], v[81:82], off
.LBB4_175:                              ;   in Loop: Header=BB4_132 Depth=1
	s_or_b32 exec_lo, exec_lo, s1
	v_cmp_gt_i32_e64 s1, s11, v120
	s_mov_b32 s13, 0
	s_and_b32 vcc_lo, exec_lo, s15
	s_cbranch_vccnz .LBB4_177
	s_branch .LBB4_178
.LBB4_176:                              ;   in Loop: Header=BB4_132 Depth=1
	s_mov_b32 s1, 0
                                        ; implicit-def: $vgpr78
                                        ; implicit-def: $vgpr80
                                        ; implicit-def: $vgpr82
                                        ; implicit-def: $sgpr13
	s_cbranch_execz .LBB4_178
.LBB4_177:                              ;   in Loop: Header=BB4_132 Depth=1
	s_waitcnt vmcnt(0)
	v_add_co_u32 v79, vcc_lo, v132, v95
	v_add_co_ci_u32_e32 v80, vcc_lo, 0, v133, vcc_lo
	v_add_co_u32 v81, vcc_lo, v128, v95
	v_add_co_ci_u32_e32 v82, vcc_lo, 0, v129, vcc_lo
	global_load_b64 v[77:78], v[83:84], off
	global_load_b64 v[79:80], v[79:80], off
	;; [unrolled: 1-line block ×3, first 2 shown]
	s_or_b32 s1, s1, exec_lo
                                        ; implicit-def: $sgpr13
.LBB4_178:                              ;   in Loop: Header=BB4_132 Depth=1
	v_dual_mov_b32 v83, s13 :: v_dual_mov_b32 v84, s13
	s_and_saveexec_b32 s13, s1
	s_cbranch_execz .LBB4_180
; %bb.179:                              ;   in Loop: Header=BB4_132 Depth=1
	v_add_co_u32 v83, vcc_lo, v124, v95
	v_add_co_ci_u32_e32 v84, vcc_lo, 0, v125, vcc_lo
	global_load_b64 v[83:84], v[83:84], off
.LBB4_180:                              ;   in Loop: Header=BB4_132 Depth=1
	s_or_b32 exec_lo, exec_lo, s13
	ds_load_b64 v[87:88], v100
	ds_load_b64 v[85:86], v107 offset:384
	v_add_f32_e32 v21, 0, v21
	v_cmp_gt_i32_e32 vcc_lo, s11, v93
	v_add_f32_e32 v20, 0, v20
	v_add_f32_e32 v12, 0, v12
	;; [unrolled: 1-line block ×3, first 2 shown]
	s_or_b32 s1, s12, vcc_lo
	s_delay_alu instid0(SALU_CYCLE_1) | instskip(NEXT) | instid1(VALU_DEP_2)
	s_and_b32 s11, s0, s1
	v_add_f32_e32 v12, v12, v14
	s_delay_alu instid0(VALU_DEP_2) | instskip(NEXT) | instid1(VALU_DEP_2)
	v_dual_add_f32 v4, v4, v6 :: v_dual_add_f32 v13, 0, v13
	v_add_f32_e32 v8, v12, v8
	s_waitcnt vmcnt(0) lgkmcnt(1)
	v_dual_mul_f32 v89, v78, v88 :: v_dual_mul_f32 v160, v84, v87
	v_dual_mul_f32 v90, v78, v87 :: v_dual_mul_f32 v155, v80, v88
	v_mul_f32_e32 v91, v80, v87
	v_mul_f32_e32 v157, v82, v88
	v_dual_mul_f32 v92, v82, v87 :: v_dual_mul_f32 v159, v84, v88
	v_fmac_f32_e32 v89, v77, v87
	v_fma_f32 v90, v77, v88, -v90
	v_fmac_f32_e32 v155, v79, v87
	v_fma_f32 v156, v79, v88, -v91
	;; [unrolled: 2-line block ×4, first 2 shown]
	ds_store_b64 v108, v[89:90]
	ds_load_b64 v[91:92], v107 offset:392
	ds_store_b64 v108, v[155:156] offset:536
	ds_load_b64 v[89:90], v107 offset:400
	ds_store_b64 v108, v[157:158] offset:1072
	;; [unrolled: 2-line block ×3, first 2 shown]
	s_waitcnt lgkmcnt(0)
	s_barrier
	buffer_gl0_inv
	ds_load_2addr_b64 v[155:158], v103 offset1:1
	v_add_f32_e32 v159, v20, v22
	s_delay_alu instid0(VALU_DEP_1)
	v_add_f32_e32 v6, v159, v16
	v_add_f32_e32 v160, v21, v23
	ds_load_2addr_b64 v[20:23], v103 offset0:2 offset1:3
	v_add_f32_e32 v5, 0, v5
	s_waitcnt lgkmcnt(0)
	s_barrier
	buffer_gl0_inv
	v_add_f32_e32 v12, 0, v155
	v_dual_add_f32 v5, v5, v7 :: v_dual_add_f32 v14, 0, v156
	v_add_f32_e32 v13, v13, v15
	s_delay_alu instid0(VALU_DEP_2) | instskip(NEXT) | instid1(VALU_DEP_4)
	v_add_f32_e32 v15, v5, v1
	v_add_f32_e32 v5, v12, v157
	s_delay_alu instid0(VALU_DEP_4) | instskip(NEXT) | instid1(VALU_DEP_4)
	v_dual_add_f32 v7, v160, v17 :: v_dual_add_f32 v12, v14, v158
	v_add_f32_e32 v9, v13, v9
	v_dual_add_f32 v13, v4, v0 :: v_dual_add_f32 v0, v6, v18
	s_delay_alu instid0(VALU_DEP_3) | instskip(NEXT) | instid1(VALU_DEP_4)
	v_dual_add_f32 v6, v5, v20 :: v_dual_add_f32 v1, v7, v19
	v_add_f32_e32 v7, v12, v21
	s_delay_alu instid0(VALU_DEP_4) | instskip(NEXT) | instid1(VALU_DEP_3)
	v_dual_add_f32 v4, v8, v10 :: v_dual_add_f32 v5, v9, v11
	v_add_f32_e32 v6, v6, v22
	v_dual_add_f32 v2, v13, v2 :: v_dual_add_f32 v3, v15, v3
	s_delay_alu instid0(VALU_DEP_4)
	v_add_f32_e32 v7, v7, v23
	ds_store_2addr_b64 v154, v[2:3], v[4:5] offset1:16
	ds_store_2addr_b64 v154, v[0:1], v[6:7] offset0:32 offset1:48
	s_waitcnt lgkmcnt(0)
	s_barrier
	buffer_gl0_inv
	s_and_saveexec_b32 s1, s11
	s_cbranch_execz .LBB4_182
; %bb.181:                              ;   in Loop: Header=BB4_132 Depth=1
	ds_load_b64 v[11:12], v101
	ds_load_2addr_b64 v[0:3], v101 offset0:1 offset1:2
	ds_load_2addr_b64 v[4:7], v101 offset0:3 offset1:4
	s_waitcnt lgkmcnt(1)
	v_dual_add_f32 v0, v0, v11 :: v_dual_add_f32 v1, v1, v12
	ds_load_2addr_b64 v[8:11], v101 offset0:5 offset1:6
	v_add_f32_e32 v0, v0, v2
	v_add_f32_e32 v12, v1, v3
	s_waitcnt lgkmcnt(1)
	s_delay_alu instid0(VALU_DEP_2) | instskip(SKIP_3) | instid1(VALU_DEP_2)
	v_add_f32_e32 v4, v0, v4
	ds_load_2addr_b64 v[0:3], v101 offset0:7 offset1:8
	v_add_f32_e32 v5, v12, v5
	v_add_f32_e32 v4, v4, v6
	;; [unrolled: 1-line block ×3, first 2 shown]
	s_waitcnt lgkmcnt(1)
	s_delay_alu instid0(VALU_DEP_2) | instskip(SKIP_3) | instid1(VALU_DEP_2)
	v_add_f32_e32 v8, v4, v8
	ds_load_2addr_b64 v[4:7], v101 offset0:9 offset1:10
	v_add_f32_e32 v9, v12, v9
	v_add_f32_e32 v8, v8, v10
	;; [unrolled: 1-line block ×3, first 2 shown]
	s_waitcnt lgkmcnt(1)
	s_delay_alu instid0(VALU_DEP_2) | instskip(SKIP_4) | instid1(VALU_DEP_1)
	v_add_f32_e32 v0, v8, v0
	ds_load_2addr_b64 v[8:11], v101 offset0:11 offset1:12
	v_add_f32_e32 v1, v12, v1
	v_add_f32_e32 v12, v0, v2
	s_waitcnt lgkmcnt(1)
	v_add_f32_e32 v4, v12, v4
	s_delay_alu instid0(VALU_DEP_1) | instskip(SKIP_1) | instid1(VALU_DEP_1)
	v_add_f32_e32 v6, v4, v6
	s_waitcnt lgkmcnt(0)
	v_add_f32_e32 v6, v6, v8
	s_delay_alu instid0(VALU_DEP_1) | instskip(SKIP_3) | instid1(VALU_DEP_1)
	v_dual_add_f32 v8, v6, v10 :: v_dual_add_f32 v13, v1, v3
	ds_load_2addr_b64 v[0:3], v101 offset0:13 offset1:14
	v_add_nc_u32_e32 v6, s8, v121
	v_add_f32_e32 v5, v13, v5
	v_add_f32_e32 v7, v5, v7
	ds_load_b64 v[4:5], v102
	v_add_f32_e32 v7, v7, v9
	s_waitcnt lgkmcnt(1)
	s_delay_alu instid0(VALU_DEP_1) | instskip(NEXT) | instid1(VALU_DEP_1)
	v_dual_add_f32 v7, v7, v11 :: v_dual_add_f32 v0, v8, v0
	v_add_f32_e32 v1, v7, v1
	v_ashrrev_i32_e32 v7, 31, v6
	s_delay_alu instid0(VALU_DEP_2) | instskip(NEXT) | instid1(VALU_DEP_2)
	v_dual_add_f32 v2, v0, v2 :: v_dual_add_f32 v3, v1, v3
	v_lshlrev_b64 v[0:1], 3, v[6:7]
	s_waitcnt lgkmcnt(0)
	s_delay_alu instid0(VALU_DEP_2) | instskip(NEXT) | instid1(VALU_DEP_2)
	v_dual_add_f32 v2, v2, v4 :: v_dual_add_f32 v3, v3, v5
	v_add_co_u32 v0, vcc_lo, s3, v0
	s_delay_alu instid0(VALU_DEP_3)
	v_add_co_ci_u32_e32 v1, vcc_lo, s6, v1, vcc_lo
	global_store_b64 v[0:1], v[2:3], off
.LBB4_182:                              ;   in Loop: Header=BB4_132 Depth=1
	s_or_b32 exec_lo, exec_lo, s1
	v_dual_mul_f32 v0, v30, v38 :: v_dual_mul_f32 v3, v31, v44
	v_dual_mul_f32 v1, v29, v38 :: v_dual_mul_f32 v2, v32, v44
	;; [unrolled: 1-line block ×3, first 2 shown]
	s_delay_alu instid0(VALU_DEP_3) | instskip(NEXT) | instid1(VALU_DEP_3)
	v_fma_f32 v0, v29, v37, -v0
	v_dual_mul_f32 v8, v48, v54 :: v_dual_fmac_f32 v1, v30, v37
	s_delay_alu instid0(VALU_DEP_4) | instskip(SKIP_1) | instid1(VALU_DEP_4)
	v_fma_f32 v2, v31, v43, -v2
	v_dual_mul_f32 v5, v33, v42 :: v_dual_mul_f32 v6, v36, v40
	v_dual_add_f32 v0, v26, v0 :: v_dual_mul_f32 v9, v47, v54
	v_fma_f32 v4, v33, v41, -v4
	v_fmac_f32_e32 v3, v32, v43
	s_delay_alu instid0(VALU_DEP_3)
	v_dual_add_f32 v1, v27, v1 :: v_dual_add_f32 v0, v0, v2
	v_mul_f32_e32 v2, v46, v60
	v_fma_f32 v6, v35, v39, -v6
	v_fmac_f32_e32 v5, v34, v41
	v_fmac_f32_e32 v7, v36, v39
	v_dual_add_f32 v0, v0, v4 :: v_dual_add_f32 v1, v1, v3
	v_mul_f32_e32 v4, v45, v60
	v_fma_f32 v3, v47, v53, -v8
	v_fma_f32 v2, v45, v59, -v2
	s_delay_alu instid0(VALU_DEP_4) | instskip(SKIP_3) | instid1(VALU_DEP_3)
	v_add_f32_e32 v0, v0, v6
	v_dual_mul_f32 v6, v50, v58 :: v_dual_add_f32 v1, v1, v5
	v_dual_fmac_f32 v9, v48, v53 :: v_dual_fmac_f32 v4, v46, v59
	v_add_co_u32 v122, vcc_lo, v122, s4
	v_add_f32_e32 v1, v1, v7
	v_add_f32_e32 v0, v0, v3
	v_mul_f32_e32 v3, v52, v56
	v_fma_f32 v5, v49, v57, -v6
	v_add_co_ci_u32_e32 v123, vcc_lo, s5, v123, vcc_lo
	s_delay_alu instid0(VALU_DEP_4) | instskip(SKIP_3) | instid1(VALU_DEP_4)
	v_dual_add_f32 v1, v1, v9 :: v_dual_add_f32 v0, v0, v2
	v_mul_f32_e32 v2, v49, v58
	v_fma_f32 v3, v51, v55, -v3
	v_add_co_u32 v124, vcc_lo, v124, s4
	v_dual_add_f32 v0, v0, v5 :: v_dual_add_f32 v1, v1, v4
	s_delay_alu instid0(VALU_DEP_4) | instskip(SKIP_1) | instid1(VALU_DEP_3)
	v_dual_mul_f32 v5, v64, v70 :: v_dual_fmac_f32 v2, v50, v57
	v_mul_f32_e32 v4, v51, v56
	v_add_f32_e32 v0, v0, v3
	v_add_co_ci_u32_e32 v125, vcc_lo, s5, v125, vcc_lo
	s_delay_alu instid0(VALU_DEP_4) | instskip(SKIP_3) | instid1(VALU_DEP_4)
	v_fma_f32 v3, v63, v69, -v5
	v_mul_f32_e32 v5, v62, v76
	v_dual_add_f32 v1, v1, v2 :: v_dual_fmac_f32 v4, v52, v55
	v_add_co_u32 v126, vcc_lo, v126, s4
	v_add_f32_e32 v0, v0, v3
	s_delay_alu instid0(VALU_DEP_4)
	v_fma_f32 v3, v61, v75, -v5
	v_mul_f32_e32 v5, v66, v74
	v_dual_mul_f32 v2, v63, v70 :: v_dual_add_f32 v1, v1, v4
	v_mul_f32_e32 v4, v61, v76
	v_add_co_ci_u32_e32 v127, vcc_lo, s5, v127, vcc_lo
	v_add_co_u32 v128, vcc_lo, v128, s4
	s_delay_alu instid0(VALU_DEP_3) | instskip(SKIP_3) | instid1(VALU_DEP_3)
	v_fmac_f32_e32 v4, v62, v75
	v_fmac_f32_e32 v2, v64, v69
	v_add_co_ci_u32_e32 v129, vcc_lo, s5, v129, vcc_lo
	v_add_co_u32 v130, vcc_lo, v130, s4
	v_dual_add_f32 v1, v1, v2 :: v_dual_add_f32 v0, v0, v3
	v_fma_f32 v3, v65, v73, -v5
	v_dual_mul_f32 v5, v68, v72 :: v_dual_mul_f32 v2, v65, v74
	s_delay_alu instid0(VALU_DEP_3) | instskip(SKIP_1) | instid1(VALU_DEP_3)
	v_dual_add_f32 v1, v1, v4 :: v_dual_mul_f32 v4, v78, v86
	v_add_co_ci_u32_e32 v131, vcc_lo, s5, v131, vcc_lo
	v_fmac_f32_e32 v2, v66, v73
	v_add_co_u32 v132, vcc_lo, v132, s4
	v_add_co_ci_u32_e32 v133, vcc_lo, s5, v133, vcc_lo
	s_delay_alu instid0(VALU_DEP_3)
	v_dual_add_f32 v1, v1, v2 :: v_dual_add_f32 v0, v0, v3
	v_fma_f32 v3, v67, v71, -v5
	v_mul_f32_e32 v5, v67, v72
	v_fma_f32 v2, v77, v85, -v4
	v_add_co_u32 v134, vcc_lo, v134, s4
	v_add_co_ci_u32_e32 v135, vcc_lo, s5, v135, vcc_lo
	s_delay_alu instid0(VALU_DEP_4) | instskip(SKIP_2) | instid1(VALU_DEP_3)
	v_fmac_f32_e32 v5, v68, v71
	v_add_co_u32 v136, vcc_lo, v136, s4
	v_add_co_ci_u32_e32 v137, vcc_lo, s5, v137, vcc_lo
	v_dual_add_f32 v1, v1, v5 :: v_dual_add_f32 v0, v0, v3
	v_mul_f32_e32 v5, v82, v90
	v_mul_f32_e32 v3, v80, v92
	v_add_co_u32 v138, vcc_lo, v138, s4
	s_delay_alu instid0(VALU_DEP_4) | instskip(SKIP_1) | instid1(VALU_DEP_4)
	v_add_f32_e32 v0, v0, v2
	v_add_co_ci_u32_e32 v139, vcc_lo, s5, v139, vcc_lo
	v_fma_f32 v2, v79, v91, -v3
	v_dual_mul_f32 v3, v79, v92 :: v_dual_mul_f32 v4, v77, v86
	v_add_co_u32 v140, vcc_lo, v140, s4
	v_add_co_ci_u32_e32 v141, vcc_lo, s5, v141, vcc_lo
	s_delay_alu instid0(VALU_DEP_3) | instskip(SKIP_2) | instid1(VALU_DEP_3)
	v_dual_fmac_f32 v3, v80, v91 :: v_dual_fmac_f32 v4, v78, v85
	v_add_co_u32 v142, vcc_lo, v142, s4
	v_add_co_ci_u32_e32 v143, vcc_lo, s5, v143, vcc_lo
	v_dual_add_f32 v1, v1, v4 :: v_dual_add_f32 v0, v0, v2
	v_mul_f32_e32 v2, v81, v90
	v_add_co_u32 v144, vcc_lo, v144, s4
	s_delay_alu instid0(VALU_DEP_3)
	v_add_f32_e32 v1, v1, v3
	v_add_co_ci_u32_e32 v145, vcc_lo, s5, v145, vcc_lo
	v_add_co_u32 v146, vcc_lo, v146, s4
	v_fma_f32 v4, v81, v89, -v5
	v_dual_mul_f32 v5, v84, v88 :: v_dual_fmac_f32 v2, v82, v89
	v_mul_f32_e32 v6, v83, v88
	v_add_co_ci_u32_e32 v147, vcc_lo, s5, v147, vcc_lo
	v_add_co_u32 v148, vcc_lo, v148, s4
	s_delay_alu instid0(VALU_DEP_4)
	v_add_f32_e32 v1, v1, v2
	v_add_co_ci_u32_e32 v149, vcc_lo, s5, v149, vcc_lo
	v_add_f32_e32 v0, v0, v4
	v_fma_f32 v3, v83, v87, -v5
	v_fmac_f32_e32 v6, v84, v87
	v_add_co_u32 v150, vcc_lo, v150, s4
	v_add_co_ci_u32_e32 v151, vcc_lo, s5, v151, vcc_lo
	v_add_co_u32 v152, vcc_lo, v152, s4
	s_delay_alu instid0(VALU_DEP_4)
	v_dual_add_f32 v26, v0, v3 :: v_dual_add_f32 v27, v1, v6
	v_add_co_ci_u32_e32 v153, vcc_lo, s5, v153, vcc_lo
	s_add_i32 s11, s14, 2
	s_add_i32 s1, s14, 1
	;; [unrolled: 1-line block ×3, first 2 shown]
	s_cmp_ge_u32 s11, s9
	s_waitcnt_vscnt null, 0x0
	s_barrier
	buffer_gl0_inv
	s_cbranch_scc1 .LBB4_184
; %bb.183:                              ;   in Loop: Header=BB4_132 Depth=1
	s_mov_b32 s14, s1
	s_delay_alu instid0(SALU_CYCLE_1)
	s_cmp_eq_u32 s7, s14
	s_cselect_b32 s11, s24, 0
	s_and_saveexec_b32 s1, s2
	s_cbranch_execnz .LBB4_128
	s_branch .LBB4_132
.LBB4_184:
	v_cmp_gt_i32_e32 vcc_lo, s10, v93
	v_mad_u32_u24 v0, 0x218, v94, v95
	s_or_b32 s0, s18, vcc_lo
	ds_store_b64 v0, v[26:27]
	s_and_b32 s0, s2, s0
	s_waitcnt lgkmcnt(0)
	s_barrier
	buffer_gl0_inv
	s_and_saveexec_b32 s1, s0
	s_cbranch_execz .LBB4_186
; %bb.185:
	ds_load_2addr_b64 v[0:3], v95 offset1:67
	ds_load_2addr_b64 v[4:7], v95 offset0:134 offset1:201
	s_waitcnt lgkmcnt(1)
	v_dual_add_f32 v0, v2, v0 :: v_dual_add_f32 v1, v3, v1
	s_waitcnt lgkmcnt(0)
	s_delay_alu instid0(VALU_DEP_1) | instskip(SKIP_1) | instid1(VALU_DEP_2)
	v_dual_add_f32 v2, v0, v4 :: v_dual_add_f32 v3, v1, v5
	v_lshlrev_b64 v[0:1], 3, v[24:25]
	v_dual_add_f32 v2, v2, v6 :: v_dual_add_f32 v3, v3, v7
	s_delay_alu instid0(VALU_DEP_2) | instskip(NEXT) | instid1(VALU_DEP_3)
	v_add_co_u32 v0, vcc_lo, s3, v0
	v_add_co_ci_u32_e32 v1, vcc_lo, s6, v1, vcc_lo
	global_store_b64 v[0:1], v[2:3], off
.LBB4_186:
	s_nop 0
	s_sendmsg sendmsg(MSG_DEALLOC_VGPRS)
	s_endpgm
	.section	.rodata,"a",@progbits
	.p2align	6, 0x0
	.amdhsa_kernel _ZL26rocblas_hemvn_kernel_upperILb1ELi64ELi4ELi33ELi32ELi16El19rocblas_complex_numIfEPKS1_PS1_EviT6_lT7_lT5_lS6_lS7_lS5_lT8_i
		.amdhsa_group_segment_fixed_size 9600
		.amdhsa_private_segment_fixed_size 0
		.amdhsa_kernarg_size 376
		.amdhsa_user_sgpr_count 14
		.amdhsa_user_sgpr_dispatch_ptr 0
		.amdhsa_user_sgpr_queue_ptr 0
		.amdhsa_user_sgpr_kernarg_segment_ptr 1
		.amdhsa_user_sgpr_dispatch_id 0
		.amdhsa_user_sgpr_private_segment_size 0
		.amdhsa_wavefront_size32 1
		.amdhsa_uses_dynamic_stack 0
		.amdhsa_enable_private_segment 0
		.amdhsa_system_sgpr_workgroup_id_x 1
		.amdhsa_system_sgpr_workgroup_id_y 0
		.amdhsa_system_sgpr_workgroup_id_z 1
		.amdhsa_system_sgpr_workgroup_info 0
		.amdhsa_system_vgpr_workitem_id 1
		.amdhsa_next_free_vgpr 161
		.amdhsa_next_free_sgpr 32
		.amdhsa_reserve_vcc 1
		.amdhsa_float_round_mode_32 0
		.amdhsa_float_round_mode_16_64 0
		.amdhsa_float_denorm_mode_32 3
		.amdhsa_float_denorm_mode_16_64 3
		.amdhsa_dx10_clamp 1
		.amdhsa_ieee_mode 1
		.amdhsa_fp16_overflow 0
		.amdhsa_workgroup_processor_mode 1
		.amdhsa_memory_ordered 1
		.amdhsa_forward_progress 0
		.amdhsa_shared_vgpr_count 0
		.amdhsa_exception_fp_ieee_invalid_op 0
		.amdhsa_exception_fp_denorm_src 0
		.amdhsa_exception_fp_ieee_div_zero 0
		.amdhsa_exception_fp_ieee_overflow 0
		.amdhsa_exception_fp_ieee_underflow 0
		.amdhsa_exception_fp_ieee_inexact 0
		.amdhsa_exception_int_div_zero 0
	.end_amdhsa_kernel
	.section	.text._ZL26rocblas_hemvn_kernel_upperILb1ELi64ELi4ELi33ELi32ELi16El19rocblas_complex_numIfEPKS1_PS1_EviT6_lT7_lT5_lS6_lS7_lS5_lT8_i,"axG",@progbits,_ZL26rocblas_hemvn_kernel_upperILb1ELi64ELi4ELi33ELi32ELi16El19rocblas_complex_numIfEPKS1_PS1_EviT6_lT7_lT5_lS6_lS7_lS5_lT8_i,comdat
.Lfunc_end4:
	.size	_ZL26rocblas_hemvn_kernel_upperILb1ELi64ELi4ELi33ELi32ELi16El19rocblas_complex_numIfEPKS1_PS1_EviT6_lT7_lT5_lS6_lS7_lS5_lT8_i, .Lfunc_end4-_ZL26rocblas_hemvn_kernel_upperILb1ELi64ELi4ELi33ELi32ELi16El19rocblas_complex_numIfEPKS1_PS1_EviT6_lT7_lT5_lS6_lS7_lS5_lT8_i
                                        ; -- End function
	.section	.AMDGPU.csdata,"",@progbits
; Kernel info:
; codeLenInByte = 10648
; NumSgprs: 34
; NumVgprs: 161
; ScratchSize: 0
; MemoryBound: 1
; FloatMode: 240
; IeeeMode: 1
; LDSByteSize: 9600 bytes/workgroup (compile time only)
; SGPRBlocks: 4
; VGPRBlocks: 20
; NumSGPRsForWavesPerEU: 34
; NumVGPRsForWavesPerEU: 161
; Occupancy: 9
; WaveLimiterHint : 0
; COMPUTE_PGM_RSRC2:SCRATCH_EN: 0
; COMPUTE_PGM_RSRC2:USER_SGPR: 14
; COMPUTE_PGM_RSRC2:TRAP_HANDLER: 0
; COMPUTE_PGM_RSRC2:TGID_X_EN: 1
; COMPUTE_PGM_RSRC2:TGID_Y_EN: 0
; COMPUTE_PGM_RSRC2:TGID_Z_EN: 1
; COMPUTE_PGM_RSRC2:TIDIG_COMP_CNT: 1
	.section	.text._ZL36rocblas_hemvn_kernel_upper_block_sumILi64El19rocblas_complex_numIfEPS1_S1_EviT1_lS3_lT2_lT0_lPT3_i,"axG",@progbits,_ZL36rocblas_hemvn_kernel_upper_block_sumILi64El19rocblas_complex_numIfEPS1_S1_EviT1_lS3_lT2_lT0_lPT3_i,comdat
	.globl	_ZL36rocblas_hemvn_kernel_upper_block_sumILi64El19rocblas_complex_numIfEPS1_S1_EviT1_lS3_lT2_lT0_lPT3_i ; -- Begin function _ZL36rocblas_hemvn_kernel_upper_block_sumILi64El19rocblas_complex_numIfEPS1_S1_EviT1_lS3_lT2_lT0_lPT3_i
	.p2align	8
	.type	_ZL36rocblas_hemvn_kernel_upper_block_sumILi64El19rocblas_complex_numIfEPS1_S1_EviT1_lS3_lT2_lT0_lPT3_i,@function
_ZL36rocblas_hemvn_kernel_upper_block_sumILi64El19rocblas_complex_numIfEPS1_S1_EviT1_lS3_lT2_lT0_lPT3_i: ; @_ZL36rocblas_hemvn_kernel_upper_block_sumILi64El19rocblas_complex_numIfEPS1_S1_EviT1_lS3_lT2_lT0_lPT3_i
; %bb.0:
	s_clause 0x1
	s_load_b128 s[16:19], s[0:1], 0x0
	s_load_b64 s[12:13], s[0:1], 0x18
	s_waitcnt lgkmcnt(0)
	s_or_b32 s2, s17, s18
	s_delay_alu instid0(SALU_CYCLE_1) | instskip(NEXT) | instid1(SALU_CYCLE_1)
	s_bitset0_b32 s2, 31
	s_cmp_eq_u32 s2, 0
	s_cselect_b32 s19, -1, 0
	s_cmp_lg_u32 s2, 0
	s_mov_b32 s2, -1
	s_cbranch_scc1 .LBB5_2
; %bb.1:
	v_cmp_neq_f32_e64 s2, s12, 1.0
	v_cmp_neq_f32_e64 s3, s13, 0
	s_delay_alu instid0(VALU_DEP_1)
	s_or_b32 s2, s2, s3
.LBB5_2:
	s_delay_alu instid0(SALU_CYCLE_1)
	s_and_not1_b32 vcc_lo, exec_lo, s2
	s_cbranch_vccnz .LBB5_19
; %bb.3:
	s_clause 0x1
	s_load_b256 s[4:11], s[0:1], 0x30
	s_load_b64 s[2:3], s[0:1], 0x28
	v_lshl_or_b32 v0, s14, 6, v0
	s_waitcnt lgkmcnt(0)
	s_mul_i32 s9, s15, s9
	s_mul_hi_u32 s20, s15, s8
	s_mul_i32 s8, s15, s8
	s_add_i32 s9, s20, s9
	s_delay_alu instid0(SALU_CYCLE_1) | instskip(NEXT) | instid1(SALU_CYCLE_1)
	s_lshl_b64 s[8:9], s[8:9], 3
	s_add_u32 s8, s2, s8
	s_addc_u32 s9, s3, s9
	s_lshl_b64 s[4:5], s[4:5], 3
	v_cmp_gt_i32_e64 s2, s16, v0
	s_add_u32 s3, s8, s4
	s_addc_u32 s4, s9, s5
	s_and_not1_b32 vcc_lo, exec_lo, s19
	s_mov_b32 s5, -1
	s_cbranch_vccnz .LBB5_9
; %bb.4:
	s_and_saveexec_b32 s5, s2
	s_cbranch_execz .LBB5_8
; %bb.5:
	v_ashrrev_i32_e32 v1, 31, v0
	v_mul_lo_u32 v3, v0, s7
	v_cmp_neq_f32_e64 s2, s12, 0
	v_cmp_neq_f32_e64 s8, s13, 0
	s_delay_alu instid0(VALU_DEP_4) | instskip(SKIP_1) | instid1(VALU_DEP_3)
	v_mul_lo_u32 v4, v1, s6
	v_mad_u64_u32 v[1:2], null, v0, s6, 0
	s_or_b32 s2, s2, s8
	s_delay_alu instid0(SALU_CYCLE_1) | instskip(NEXT) | instid1(VALU_DEP_1)
	s_and_not1_b32 vcc_lo, exec_lo, s2
	v_add3_u32 v2, v2, v3, v4
	v_dual_mov_b32 v3, 0 :: v_dual_mov_b32 v4, 0
	s_delay_alu instid0(VALU_DEP_2)
	v_lshlrev_b64 v[1:2], 3, v[1:2]
	s_cbranch_vccnz .LBB5_7
; %bb.6:
	s_delay_alu instid0(VALU_DEP_1) | instskip(NEXT) | instid1(VALU_DEP_2)
	v_add_co_u32 v3, vcc_lo, s3, v1
	v_add_co_ci_u32_e32 v4, vcc_lo, s4, v2, vcc_lo
	global_load_b64 v[5:6], v[3:4], off
	s_waitcnt vmcnt(0)
	v_mul_f32_e32 v4, s12, v6
	s_delay_alu instid0(VALU_DEP_1) | instskip(NEXT) | instid1(VALU_DEP_1)
	v_dual_mul_f32 v3, s13, v6 :: v_dual_fmac_f32 v4, s13, v5
	v_fma_f32 v3, v5, s12, -v3
.LBB5_7:
	s_delay_alu instid0(VALU_DEP_1) | instskip(NEXT) | instid1(VALU_DEP_2)
	v_add_co_u32 v1, vcc_lo, s3, v1
	v_add_co_ci_u32_e32 v2, vcc_lo, s4, v2, vcc_lo
	global_store_b64 v[1:2], v[3:4], off
.LBB5_8:
	s_or_b32 exec_lo, exec_lo, s5
	s_mov_b32 s5, 0
.LBB5_9:
	s_delay_alu instid0(SALU_CYCLE_1)
	s_and_not1_b32 vcc_lo, exec_lo, s5
	s_cbranch_vccnz .LBB5_19
; %bb.10:
	s_mov_b32 s2, exec_lo
	v_cmpx_gt_i32_e64 s16, v0
	s_cbranch_execz .LBB5_19
; %bb.11:
	v_ashrrev_i32_e32 v1, 31, v0
	v_dual_mov_b32 v4, 0 :: v_dual_mov_b32 v5, 0
	s_cmp_lt_i32 s14, 0
	s_cbranch_scc1 .LBB5_14
; %bb.12:
	s_load_b32 s0, s[0:1], 0x58
	s_ashr_i32 s1, s16, 31
	s_mul_hi_u32 s2, s16, s15
	s_mul_i32 s5, s1, s15
	v_lshlrev_b64 v[2:3], 3, v[0:1]
	s_add_i32 s2, s2, s5
	s_mul_i32 s5, s16, s15
	v_dual_mov_b32 v4, 0 :: v_dual_mov_b32 v5, 0
	s_waitcnt lgkmcnt(0)
	s_mul_i32 s2, s2, s0
	s_mul_hi_u32 s9, s5, s0
	s_mul_i32 s8, s5, s0
	s_add_i32 s9, s9, s2
	s_add_i32 s2, s14, 1
	s_lshl_b64 s[8:9], s[8:9], 3
	s_delay_alu instid0(SALU_CYCLE_1) | instskip(SKIP_4) | instid1(VALU_DEP_2)
	s_add_u32 s0, s10, s8
	s_addc_u32 s5, s11, s9
	v_add_co_u32 v2, vcc_lo, s0, v2
	v_add_co_ci_u32_e32 v3, vcc_lo, s5, v3, vcc_lo
	s_mov_b32 s0, s16
	v_add_co_u32 v2, vcc_lo, v2, 4
	s_delay_alu instid0(VALU_DEP_2)
	v_add_co_ci_u32_e32 v3, vcc_lo, 0, v3, vcc_lo
	s_lshl_b64 s[0:1], s[0:1], 3
.LBB5_13:                               ; =>This Inner Loop Header: Depth=1
	global_load_b64 v[6:7], v[2:3], off offset:-4
	v_add_co_u32 v2, vcc_lo, v2, s0
	v_add_co_ci_u32_e32 v3, vcc_lo, s1, v3, vcc_lo
	s_add_i32 s2, s2, -1
	s_delay_alu instid0(SALU_CYCLE_1)
	s_cmp_eq_u32 s2, 0
	s_waitcnt vmcnt(0)
	v_dual_add_f32 v5, v5, v6 :: v_dual_add_f32 v4, v4, v7
	s_cbranch_scc0 .LBB5_13
.LBB5_14:
	s_delay_alu instid0(VALU_DEP_1)
	v_mul_f32_e32 v2, s17, v4
	v_mul_f32_e32 v3, s18, v4
	v_cmp_neq_f32_e64 s0, s12, 0
	v_cmp_neq_f32_e64 s1, s13, 0
	v_mul_lo_u32 v6, v1, s6
	v_fmac_f32_e32 v2, s18, v5
	v_mul_lo_u32 v7, v0, s7
	v_fma_f32 v1, v5, s17, -v3
	s_or_b32 s0, s0, s1
	s_delay_alu instid0(SALU_CYCLE_1)
	s_and_not1_b32 vcc_lo, exec_lo, s0
	s_mov_b32 s0, 0
	s_cbranch_vccz .LBB5_16
; %bb.15:
	v_mad_u64_u32 v[3:4], null, v0, s6, 0
	s_delay_alu instid0(VALU_DEP_1)
	v_add3_u32 v4, v4, v7, v6
	s_and_not1_b32 vcc_lo, exec_lo, s0
	s_cbranch_vccz .LBB5_17
	s_branch .LBB5_18
.LBB5_16:
                                        ; implicit-def: $vgpr3_vgpr4
.LBB5_17:
	v_mad_u64_u32 v[3:4], null, v0, s6, 0
	s_delay_alu instid0(VALU_DEP_1) | instskip(NEXT) | instid1(VALU_DEP_1)
	v_add3_u32 v4, v4, v7, v6
	v_lshlrev_b64 v[5:6], 3, v[3:4]
	s_delay_alu instid0(VALU_DEP_1) | instskip(NEXT) | instid1(VALU_DEP_2)
	v_add_co_u32 v5, vcc_lo, s3, v5
	v_add_co_ci_u32_e32 v6, vcc_lo, s4, v6, vcc_lo
	global_load_b64 v[5:6], v[5:6], off
	s_waitcnt vmcnt(0)
	v_mul_f32_e32 v0, s13, v6
	s_delay_alu instid0(VALU_DEP_1) | instskip(NEXT) | instid1(VALU_DEP_1)
	v_fma_f32 v0, v5, s12, -v0
	v_dual_mul_f32 v6, s12, v6 :: v_dual_add_f32 v1, v1, v0
	s_delay_alu instid0(VALU_DEP_1) | instskip(NEXT) | instid1(VALU_DEP_1)
	v_fmac_f32_e32 v6, s13, v5
	v_add_f32_e32 v2, v2, v6
.LBB5_18:
	s_delay_alu instid0(VALU_DEP_1) | instskip(NEXT) | instid1(VALU_DEP_1)
	v_lshlrev_b64 v[3:4], 3, v[3:4]
	v_add_co_u32 v3, vcc_lo, s3, v3
	s_delay_alu instid0(VALU_DEP_2)
	v_add_co_ci_u32_e32 v4, vcc_lo, s4, v4, vcc_lo
	global_store_b64 v[3:4], v[1:2], off
.LBB5_19:
	s_nop 0
	s_sendmsg sendmsg(MSG_DEALLOC_VGPRS)
	s_endpgm
	.section	.rodata,"a",@progbits
	.p2align	6, 0x0
	.amdhsa_kernel _ZL36rocblas_hemvn_kernel_upper_block_sumILi64El19rocblas_complex_numIfEPS1_S1_EviT1_lS3_lT2_lT0_lPT3_i
		.amdhsa_group_segment_fixed_size 0
		.amdhsa_private_segment_fixed_size 0
		.amdhsa_kernarg_size 344
		.amdhsa_user_sgpr_count 14
		.amdhsa_user_sgpr_dispatch_ptr 0
		.amdhsa_user_sgpr_queue_ptr 0
		.amdhsa_user_sgpr_kernarg_segment_ptr 1
		.amdhsa_user_sgpr_dispatch_id 0
		.amdhsa_user_sgpr_private_segment_size 0
		.amdhsa_wavefront_size32 1
		.amdhsa_uses_dynamic_stack 0
		.amdhsa_enable_private_segment 0
		.amdhsa_system_sgpr_workgroup_id_x 1
		.amdhsa_system_sgpr_workgroup_id_y 0
		.amdhsa_system_sgpr_workgroup_id_z 1
		.amdhsa_system_sgpr_workgroup_info 0
		.amdhsa_system_vgpr_workitem_id 0
		.amdhsa_next_free_vgpr 8
		.amdhsa_next_free_sgpr 21
		.amdhsa_reserve_vcc 1
		.amdhsa_float_round_mode_32 0
		.amdhsa_float_round_mode_16_64 0
		.amdhsa_float_denorm_mode_32 3
		.amdhsa_float_denorm_mode_16_64 3
		.amdhsa_dx10_clamp 1
		.amdhsa_ieee_mode 1
		.amdhsa_fp16_overflow 0
		.amdhsa_workgroup_processor_mode 1
		.amdhsa_memory_ordered 1
		.amdhsa_forward_progress 0
		.amdhsa_shared_vgpr_count 0
		.amdhsa_exception_fp_ieee_invalid_op 0
		.amdhsa_exception_fp_denorm_src 0
		.amdhsa_exception_fp_ieee_div_zero 0
		.amdhsa_exception_fp_ieee_overflow 0
		.amdhsa_exception_fp_ieee_underflow 0
		.amdhsa_exception_fp_ieee_inexact 0
		.amdhsa_exception_int_div_zero 0
	.end_amdhsa_kernel
	.section	.text._ZL36rocblas_hemvn_kernel_upper_block_sumILi64El19rocblas_complex_numIfEPS1_S1_EviT1_lS3_lT2_lT0_lPT3_i,"axG",@progbits,_ZL36rocblas_hemvn_kernel_upper_block_sumILi64El19rocblas_complex_numIfEPS1_S1_EviT1_lS3_lT2_lT0_lPT3_i,comdat
.Lfunc_end5:
	.size	_ZL36rocblas_hemvn_kernel_upper_block_sumILi64El19rocblas_complex_numIfEPS1_S1_EviT1_lS3_lT2_lT0_lPT3_i, .Lfunc_end5-_ZL36rocblas_hemvn_kernel_upper_block_sumILi64El19rocblas_complex_numIfEPS1_S1_EviT1_lS3_lT2_lT0_lPT3_i
                                        ; -- End function
	.section	.AMDGPU.csdata,"",@progbits
; Kernel info:
; codeLenInByte = 836
; NumSgprs: 23
; NumVgprs: 8
; ScratchSize: 0
; MemoryBound: 0
; FloatMode: 240
; IeeeMode: 1
; LDSByteSize: 0 bytes/workgroup (compile time only)
; SGPRBlocks: 2
; VGPRBlocks: 0
; NumSGPRsForWavesPerEU: 23
; NumVGPRsForWavesPerEU: 8
; Occupancy: 16
; WaveLimiterHint : 0
; COMPUTE_PGM_RSRC2:SCRATCH_EN: 0
; COMPUTE_PGM_RSRC2:USER_SGPR: 14
; COMPUTE_PGM_RSRC2:TRAP_HANDLER: 0
; COMPUTE_PGM_RSRC2:TGID_X_EN: 1
; COMPUTE_PGM_RSRC2:TGID_Y_EN: 0
; COMPUTE_PGM_RSRC2:TGID_Z_EN: 1
; COMPUTE_PGM_RSRC2:TIDIG_COMP_CNT: 0
	.section	.text._ZL26rocblas_hemvn_kernel_upperILb1ELi64ELi4ELi33ELi32ELi16Ei19rocblas_complex_numIfEPKS1_PS1_EviT6_lT7_lT5_lS6_lS7_lS5_lT8_i,"axG",@progbits,_ZL26rocblas_hemvn_kernel_upperILb1ELi64ELi4ELi33ELi32ELi16Ei19rocblas_complex_numIfEPKS1_PS1_EviT6_lT7_lT5_lS6_lS7_lS5_lT8_i,comdat
	.globl	_ZL26rocblas_hemvn_kernel_upperILb1ELi64ELi4ELi33ELi32ELi16Ei19rocblas_complex_numIfEPKS1_PS1_EviT6_lT7_lT5_lS6_lS7_lS5_lT8_i ; -- Begin function _ZL26rocblas_hemvn_kernel_upperILb1ELi64ELi4ELi33ELi32ELi16Ei19rocblas_complex_numIfEPKS1_PS1_EviT6_lT7_lT5_lS6_lS7_lS5_lT8_i
	.p2align	8
	.type	_ZL26rocblas_hemvn_kernel_upperILb1ELi64ELi4ELi33ELi32ELi16Ei19rocblas_complex_numIfEPKS1_PS1_EviT6_lT7_lT5_lS6_lS7_lS5_lT8_i,@function
_ZL26rocblas_hemvn_kernel_upperILb1ELi64ELi4ELi33ELi32ELi16Ei19rocblas_complex_numIfEPKS1_PS1_EviT6_lT7_lT5_lS6_lS7_lS5_lT8_i: ; @_ZL26rocblas_hemvn_kernel_upperILb1ELi64ELi4ELi33ELi32ELi16Ei19rocblas_complex_numIfEPKS1_PS1_EviT6_lT7_lT5_lS6_lS7_lS5_lT8_i
; %bb.0:
	s_load_b64 s[4:5], s[0:1], 0x84
	s_add_u32 s2, s0, 0x78
	s_addc_u32 s3, s1, 0
	s_waitcnt lgkmcnt(0)
	s_lshr_b32 s6, s4, 16
	s_and_b32 s4, s4, 0xffff
	s_and_b32 s5, s5, 0xffff
	s_mul_i32 s4, s6, s4
	s_delay_alu instid0(SALU_CYCLE_1) | instskip(NEXT) | instid1(SALU_CYCLE_1)
	s_mul_i32 s4, s4, s5
	s_cmpk_lg_i32 s4, 0x100
	s_cbranch_scc1 .LBB6_186
; %bb.1:
	s_load_b64 s[4:5], s[0:1], 0x4
	s_waitcnt lgkmcnt(0)
	s_or_b32 s4, s4, s5
	s_mov_b32 s5, -1
	s_bitset0_b32 s4, 31
	s_delay_alu instid0(SALU_CYCLE_1) | instskip(SKIP_1) | instid1(SALU_CYCLE_1)
	s_cmp_lg_u32 s4, 0
	s_cselect_b32 s4, -1, 0
	s_and_b32 vcc_lo, exec_lo, s4
	s_cbranch_vccnz .LBB6_3
; %bb.2:
	s_load_b64 s[6:7], s[0:1], 0x58
	s_waitcnt lgkmcnt(0)
	v_cmp_neq_f32_e64 s5, s6, 1.0
	v_cmp_neq_f32_e64 s6, s7, 0
	s_delay_alu instid0(VALU_DEP_1)
	s_or_b32 s5, s5, s6
.LBB6_3:
	s_delay_alu instid0(SALU_CYCLE_1)
	s_and_not1_b32 vcc_lo, exec_lo, s5
	s_cbranch_vccnz .LBB6_186
; %bb.4:
	s_and_not1_b32 vcc_lo, exec_lo, s4
	s_cbranch_vccnz .LBB6_186
; %bb.5:
	s_clause 0x3
	s_load_b64 s[10:11], s[0:1], 0x50
	s_load_b128 s[4:7], s[0:1], 0x30
	s_load_b64 s[12:13], s[0:1], 0x40
	s_load_b32 s9, s[0:1], 0x48
	v_and_b32_e32 v25, 0x3ff, v0
	s_load_b32 s24, s[0:1], 0x0
	s_load_b32 s26, s[2:3], 0x0
	v_bfe_u32 v95, v0, 10, 10
	s_waitcnt lgkmcnt(0)
	s_mul_i32 s8, s15, s11
	s_mul_hi_u32 s11, s15, s10
	s_mul_i32 s10, s15, s10
	s_add_i32 s11, s11, s8
	s_delay_alu instid0(SALU_CYCLE_1) | instskip(NEXT) | instid1(SALU_CYCLE_1)
	s_lshl_b64 s[10:11], s[10:11], 3
	s_add_u32 s8, s6, s10
	s_addc_u32 s10, s7, s11
	s_lshl_b64 s[6:7], s[12:13], 3
	s_delay_alu instid0(SALU_CYCLE_1)
	s_add_u32 s6, s8, s6
	s_addc_u32 s7, s10, s7
	s_lshl_b32 s12, s14, 6
	s_ashr_i32 s25, s24, 31
	v_add_nc_u32_e32 v24, s12, v25
	s_lshr_b32 s2, s25, 26
	s_add_i32 s3, s26, -1
	s_add_i32 s2, s24, s2
	s_delay_alu instid0(VALU_DEP_1) | instskip(SKIP_1) | instid1(SALU_CYCLE_1)
	v_mul_lo_u32 v1, v24, s9
	s_and_not1_b32 s2, s2, 63
	s_sub_i32 s27, s24, s2
	v_cmp_eq_u32_e64 s2, 0, v95
	s_cmp_eq_u32 s14, s3
	s_cselect_b32 s10, s27, 0
	s_delay_alu instid0(VALU_DEP_2) | instskip(NEXT) | instid1(VALU_DEP_1)
	v_ashrrev_i32_e32 v2, 31, v1
	v_lshlrev_b64 v[1:2], 3, v[1:2]
	s_delay_alu instid0(VALU_DEP_1) | instskip(NEXT) | instid1(VALU_DEP_2)
	v_add_co_u32 v12, vcc_lo, s6, v1
	v_add_co_ci_u32_e32 v13, vcc_lo, s7, v2, vcc_lo
	s_mov_b32 s6, -1
	s_and_saveexec_b32 s3, s2
	s_cbranch_execz .LBB6_10
; %bb.6:
	v_cmp_le_i32_e32 vcc_lo, s10, v25
	s_cmp_lg_u32 s10, 0
	v_lshl_add_u32 v0, v25, 3, 0x2380
	s_cselect_b32 s7, -1, 0
	s_delay_alu instid0(SALU_CYCLE_1) | instskip(NEXT) | instid1(SALU_CYCLE_1)
	s_and_b32 s7, s7, vcc_lo
	s_and_saveexec_b32 s8, s7
	s_delay_alu instid0(SALU_CYCLE_1)
	s_xor_b32 s7, exec_lo, s8
	s_cbranch_execz .LBB6_8
; %bb.7:
	v_mov_b32_e32 v1, 0
	s_delay_alu instid0(VALU_DEP_1)
	v_mov_b32_e32 v2, v1
	ds_store_b64 v0, v[1:2]
                                        ; implicit-def: $vgpr0
.LBB6_8:
	s_and_not1_saveexec_b32 s7, s7
	s_cbranch_execz .LBB6_10
; %bb.9:
	global_load_b64 v[1:2], v[12:13], off
	s_waitcnt vmcnt(0)
	ds_store_b64 v0, v[1:2]
.LBB6_10:
	s_or_b32 exec_lo, exec_lo, s3
	s_clause 0x1
	s_load_b128 s[20:23], s[0:1], 0x18
	s_load_b32 s16, s[0:1], 0x28
	v_lshl_add_u32 v22, v95, 6, v25
	v_and_b32_e32 v0, 31, v25
	s_mul_i32 s3, s15, s5
	s_mul_hi_u32 s5, s15, s4
	s_mul_i32 s4, s15, s4
	v_lshrrev_b32_e32 v7, 5, v22
	s_add_i32 s5, s5, s3
	v_lshlrev_b32_e32 v9, 3, v0
	s_lshl_b64 s[4:5], s[4:5], 3
	s_delay_alu instid0(VALU_DEP_2)
	v_mul_u32_u24_e32 v8, 33, v7
	s_waitcnt lgkmcnt(0)
	s_add_u32 s3, s20, s4
	v_mad_u64_u32 v[1:2], null, v7, s16, v[0:1]
	s_addc_u32 s7, s21, s5
	s_lshl_b64 s[4:5], s[22:23], 3
	s_mul_i32 s18, s12, s16
	s_add_u32 s3, s3, s4
	s_addc_u32 s7, s7, s5
	s_ashr_i32 s13, s12, 31
	s_delay_alu instid0(VALU_DEP_1) | instskip(SKIP_1) | instid1(SALU_CYCLE_1)
	v_ashrrev_i32_e32 v2, 31, v1
	s_lshl_b64 s[4:5], s[12:13], 3
	s_add_u32 s8, s3, s4
	s_addc_u32 s7, s7, s5
	s_ashr_i32 s19, s18, 31
	v_lshlrev_b64 v[14:15], 3, v[1:2]
	s_lshl_b64 s[4:5], s[18:19], 3
	v_cmp_gt_i32_e64 s3, s10, v0
	s_add_u32 s4, s4, s8
	s_addc_u32 s5, s5, s7
	s_cmp_eq_u32 s10, 0
	v_add_co_u32 v3, vcc_lo, s4, v14
	s_cselect_b32 s28, -1, 0
	s_cmp_lg_u32 s10, 0
	v_add_co_ci_u32_e32 v4, vcc_lo, s5, v15, vcc_lo
	s_cselect_b32 s13, -1, 0
	s_delay_alu instid0(SALU_CYCLE_1)
	s_and_b32 vcc_lo, exec_lo, s13
	s_cbranch_vccz .LBB6_28
; %bb.11:
	v_sub_co_u32 v1, vcc_lo, v3, v9
	s_ashr_i32 s11, s10, 31
	v_subrev_co_ci_u32_e32 v2, vcc_lo, 0, v4, vcc_lo
	s_lshl_b64 s[4:5], s[10:11], 3
	v_add_lshl_u32 v5, v8, v0, 3
	v_add_co_u32 v1, vcc_lo, v1, s4
	s_delay_alu instid0(VALU_DEP_3) | instskip(SKIP_1) | instid1(VALU_DEP_2)
	v_add_co_ci_u32_e32 v2, vcc_lo, s5, v2, vcc_lo
	s_mov_b32 s6, exec_lo
	v_add_co_u32 v1, vcc_lo, v1, -8
	s_delay_alu instid0(VALU_DEP_2) | instskip(NEXT) | instid1(VALU_DEP_2)
	v_add_co_ci_u32_e32 v2, vcc_lo, -1, v2, vcc_lo
	v_cndmask_b32_e64 v1, v1, v3, s3
	s_delay_alu instid0(VALU_DEP_2)
	v_cndmask_b32_e64 v2, v2, v4, s3
	v_cmpx_le_i32_e64 s10, v7
	s_xor_b32 s6, exec_lo, s6
	s_cbranch_execz .LBB6_13
; %bb.12:
	v_mov_b32_e32 v10, 0
	s_delay_alu instid0(VALU_DEP_1)
	v_mov_b32_e32 v11, v10
	ds_store_b64 v5, v[10:11]
.LBB6_13:
	s_and_not1_saveexec_b32 s6, s6
	s_cbranch_execz .LBB6_15
; %bb.14:
	global_load_b64 v[10:11], v[1:2], off
	s_waitcnt vmcnt(0)
	ds_store_b64 v5, v[10:11]
.LBB6_15:
	s_or_b32 exec_lo, exec_lo, s6
	v_add_nc_u32_e32 v6, 8, v7
	s_mov_b32 s6, exec_lo
	s_delay_alu instid0(VALU_DEP_1)
	v_cmpx_le_i32_e64 s10, v6
	s_xor_b32 s6, exec_lo, s6
	s_cbranch_execz .LBB6_17
; %bb.16:
	v_mul_u32_u24_e32 v6, 33, v6
	v_mov_b32_e32 v10, 0
	s_delay_alu instid0(VALU_DEP_2) | instskip(NEXT) | instid1(VALU_DEP_2)
	v_add_lshl_u32 v6, v6, v0, 3
	v_mov_b32_e32 v11, v10
	ds_store_b64 v6, v[10:11]
.LBB6_17:
	s_and_not1_saveexec_b32 s6, s6
	s_cbranch_execz .LBB6_19
; %bb.18:
	s_lshl_b32 s18, s16, 3
	s_delay_alu instid0(SALU_CYCLE_1) | instskip(NEXT) | instid1(SALU_CYCLE_1)
	s_ashr_i32 s19, s18, 31
	s_lshl_b64 s[18:19], s[18:19], 3
	s_delay_alu instid0(SALU_CYCLE_1)
	v_add_co_u32 v10, vcc_lo, v1, s18
	v_add_co_ci_u32_e32 v11, vcc_lo, s19, v2, vcc_lo
	global_load_b64 v[10:11], v[10:11], off
	s_waitcnt vmcnt(0)
	ds_store_b64 v5, v[10:11] offset:2112
.LBB6_19:
	s_or_b32 exec_lo, exec_lo, s6
	v_add_nc_u32_e32 v6, 16, v7
	s_mov_b32 s6, exec_lo
	s_delay_alu instid0(VALU_DEP_1)
	v_cmpx_le_i32_e64 s10, v6
	s_xor_b32 s6, exec_lo, s6
	s_cbranch_execz .LBB6_21
; %bb.20:
	v_mul_u32_u24_e32 v6, 33, v6
	v_mov_b32_e32 v10, 0
	s_delay_alu instid0(VALU_DEP_2) | instskip(NEXT) | instid1(VALU_DEP_2)
	v_add_lshl_u32 v6, v6, v0, 3
	v_mov_b32_e32 v11, v10
	ds_store_b64 v6, v[10:11]
.LBB6_21:
	s_and_not1_saveexec_b32 s6, s6
	s_cbranch_execz .LBB6_23
; %bb.22:
	s_lshl_b32 s18, s16, 4
	s_delay_alu instid0(SALU_CYCLE_1) | instskip(NEXT) | instid1(SALU_CYCLE_1)
	s_ashr_i32 s19, s18, 31
	s_lshl_b64 s[18:19], s[18:19], 3
	s_delay_alu instid0(SALU_CYCLE_1)
	v_add_co_u32 v10, vcc_lo, v1, s18
	v_add_co_ci_u32_e32 v11, vcc_lo, s19, v2, vcc_lo
	global_load_b64 v[10:11], v[10:11], off
	s_waitcnt vmcnt(0)
	ds_store_b64 v5, v[10:11] offset:4224
.LBB6_23:
	s_or_b32 exec_lo, exec_lo, s6
	v_add_nc_u32_e32 v6, 24, v7
	s_mov_b32 s6, exec_lo
	s_delay_alu instid0(VALU_DEP_1)
	v_cmpx_le_i32_e64 s10, v6
	s_xor_b32 s6, exec_lo, s6
	s_cbranch_execz .LBB6_25
; %bb.24:
	v_mov_b32_e32 v10, 0
	s_delay_alu instid0(VALU_DEP_1)
	v_mov_b32_e32 v11, v10
	ds_store_b64 v5, v[10:11] offset:6336
                                        ; implicit-def: $vgpr5
.LBB6_25:
	s_and_not1_saveexec_b32 s6, s6
	s_cbranch_execz .LBB6_27
; %bb.26:
	s_mul_i32 s18, s16, 24
	s_delay_alu instid0(SALU_CYCLE_1) | instskip(NEXT) | instid1(SALU_CYCLE_1)
	s_ashr_i32 s19, s18, 31
	s_lshl_b64 s[18:19], s[18:19], 3
	s_delay_alu instid0(SALU_CYCLE_1)
	v_add_co_u32 v10, vcc_lo, v1, s18
	v_add_co_ci_u32_e32 v11, vcc_lo, s19, v2, vcc_lo
	global_load_b64 v[10:11], v[10:11], off
	s_waitcnt vmcnt(0)
	ds_store_b64 v5, v[10:11] offset:6336
.LBB6_27:
	s_or_b32 exec_lo, exec_lo, s6
	v_add_co_u32 v1, vcc_lo, v1, v9
	v_add_co_ci_u32_e32 v2, vcc_lo, 0, v2, vcc_lo
	s_delay_alu instid0(VALU_DEP_2) | instskip(NEXT) | instid1(VALU_DEP_2)
	v_sub_co_u32 v1, vcc_lo, v1, s4
	v_subrev_co_ci_u32_e32 v2, vcc_lo, s5, v2, vcc_lo
	s_delay_alu instid0(VALU_DEP_2) | instskip(NEXT) | instid1(VALU_DEP_2)
	v_add_co_u32 v1, vcc_lo, v1, 8
	v_add_co_ci_u32_e32 v2, vcc_lo, 0, v2, vcc_lo
	s_delay_alu instid0(VALU_DEP_2) | instskip(NEXT) | instid1(VALU_DEP_2)
	v_cndmask_b32_e64 v1, v1, v3, s3
	v_cndmask_b32_e64 v2, v2, v4, s3
	s_branch .LBB6_30
.LBB6_28:
                                        ; implicit-def: $vgpr1_vgpr2
	s_and_b32 vcc_lo, exec_lo, s6
	s_cbranch_vccz .LBB6_30
; %bb.29:
	s_lshl_b32 s4, s16, 3
	s_ashr_i32 s17, s16, 31
	s_ashr_i32 s5, s4, 31
	v_add_lshl_u32 v20, v8, v0, 3
	s_lshl_b64 s[4:5], s[4:5], 3
	s_delay_alu instid0(SALU_CYCLE_1)
	v_add_co_u32 v1, vcc_lo, v3, s4
	v_add_co_ci_u32_e32 v2, vcc_lo, s5, v4, vcc_lo
	s_lshl_b64 s[4:5], s[16:17], 6
	s_delay_alu instid0(VALU_DEP_2) | instid1(SALU_CYCLE_1)
	v_add_co_u32 v5, vcc_lo, v1, s4
	s_delay_alu instid0(VALU_DEP_2) | instskip(NEXT) | instid1(VALU_DEP_2)
	v_add_co_ci_u32_e32 v6, vcc_lo, s5, v2, vcc_lo
	v_add_co_u32 v10, vcc_lo, v5, s4
	s_delay_alu instid0(VALU_DEP_2)
	v_add_co_ci_u32_e32 v11, vcc_lo, s5, v6, vcc_lo
	s_clause 0x1
	global_load_b64 v[16:17], v[3:4], off
	global_load_b64 v[18:19], v[1:2], off
	;; [unrolled: 1-line block ×4, first 2 shown]
	v_dual_mov_b32 v1, v3 :: v_dual_mov_b32 v2, v4
	s_waitcnt vmcnt(3)
	ds_store_b64 v20, v[16:17]
	s_waitcnt vmcnt(2)
	ds_store_b64 v20, v[18:19] offset:2112
	s_waitcnt vmcnt(1)
	ds_store_b64 v20, v[5:6] offset:4224
	;; [unrolled: 2-line block ×3, first 2 shown]
.LBB6_30:
	v_lshlrev_b32_e32 v19, 2, v7
	s_waitcnt lgkmcnt(0)
	s_barrier
	buffer_gl0_inv
	v_cmp_le_u32_e64 s4, v19, v0
	s_delay_alu instid0(VALU_DEP_1) | instskip(NEXT) | instid1(SALU_CYCLE_1)
	s_and_saveexec_b32 s3, s4
	s_xor_b32 s3, exec_lo, s3
	s_cbranch_execz .LBB6_34
; %bb.31:
	s_mov_b32 s5, exec_lo
	v_cmpx_eq_u32_e64 v19, v0
	s_cbranch_execz .LBB6_33
; %bb.32:
	v_mul_u32_u24_e32 v3, 34, v0
	s_delay_alu instid0(VALU_DEP_1)
	v_dual_mov_b32 v4, 0 :: v_dual_lshlrev_b32 v3, 3, v3
	ds_store_b32 v3, v4 offset:4
.LBB6_33:
	s_or_b32 exec_lo, exec_lo, s5
.LBB6_34:
	s_or_saveexec_b32 s3, s3
	v_mul_u32_u24_e32 v10, 33, v0
	v_mul_u32_u24_e32 v3, 0x84, v7
	s_delay_alu instid0(VALU_DEP_2)
	v_add_lshl_u32 v16, v19, v10, 3
	s_xor_b32 exec_lo, exec_lo, s3
	s_cbranch_execz .LBB6_36
; %bb.35:
	s_delay_alu instid0(VALU_DEP_2)
	v_add_lshl_u32 v4, v3, v0, 3
	ds_load_b64 v[4:5], v4
	s_waitcnt lgkmcnt(0)
	v_xor_b32_e32 v5, 0x80000000, v5
	ds_store_b64 v16, v[4:5]
.LBB6_36:
	s_or_b32 exec_lo, exec_lo, s3
	v_or_b32_e32 v17, 1, v19
	v_cmp_ge_u32_e64 s5, v19, v0
	s_delay_alu instid0(VALU_DEP_2) | instskip(NEXT) | instid1(VALU_DEP_2)
	v_mul_u32_u24_e32 v4, 33, v17
	s_and_saveexec_b32 s3, s5
	s_delay_alu instid0(SALU_CYCLE_1)
	s_xor_b32 s3, exec_lo, s3
	s_cbranch_execz .LBB6_38
; %bb.37:
	s_delay_alu instid0(VALU_DEP_1)
	v_add_lshl_u32 v5, v4, v0, 3
	ds_load_b64 v[5:6], v5
	s_waitcnt lgkmcnt(0)
	v_xor_b32_e32 v6, 0x80000000, v6
	ds_store_b64 v16, v[5:6] offset:8
.LBB6_38:
	s_and_not1_saveexec_b32 s3, s3
	s_cbranch_execz .LBB6_42
; %bb.39:
	s_mov_b32 s6, exec_lo
	v_cmpx_eq_u32_e64 v17, v0
	s_cbranch_execz .LBB6_41
; %bb.40:
	v_mul_u32_u24_e32 v5, 34, v0
	s_delay_alu instid0(VALU_DEP_1)
	v_dual_mov_b32 v6, 0 :: v_dual_lshlrev_b32 v5, 3, v5
	ds_store_b32 v5, v6 offset:4
.LBB6_41:
	s_or_b32 exec_lo, exec_lo, s6
.LBB6_42:
	s_delay_alu instid0(SALU_CYCLE_1) | instskip(SKIP_1) | instid1(VALU_DEP_1)
	s_or_b32 exec_lo, exec_lo, s3
	v_or_b32_e32 v20, 2, v19
	v_cmp_le_u32_e64 s6, v20, v0
	s_delay_alu instid0(VALU_DEP_1) | instskip(NEXT) | instid1(SALU_CYCLE_1)
	s_and_saveexec_b32 s3, s6
	s_xor_b32 s3, exec_lo, s3
	s_cbranch_execz .LBB6_46
; %bb.43:
	s_mov_b32 s7, exec_lo
	v_cmpx_eq_u32_e64 v20, v0
	s_cbranch_execz .LBB6_45
; %bb.44:
	v_mul_u32_u24_e32 v5, 34, v0
	s_delay_alu instid0(VALU_DEP_1)
	v_dual_mov_b32 v6, 0 :: v_dual_lshlrev_b32 v5, 3, v5
	ds_store_b32 v5, v6 offset:4
.LBB6_45:
	s_or_b32 exec_lo, exec_lo, s7
.LBB6_46:
	s_and_not1_saveexec_b32 s3, s3
	s_cbranch_execz .LBB6_48
; %bb.47:
	v_mul_u32_u24_e32 v5, 33, v20
	s_delay_alu instid0(VALU_DEP_1)
	v_add_lshl_u32 v5, v5, v0, 3
	ds_load_b64 v[5:6], v5
	s_waitcnt lgkmcnt(0)
	v_xor_b32_e32 v6, 0x80000000, v6
	ds_store_b64 v16, v[5:6] offset:16
.LBB6_48:
	s_or_b32 exec_lo, exec_lo, s3
	v_or_b32_e32 v21, 3, v19
	s_delay_alu instid0(VALU_DEP_1) | instskip(NEXT) | instid1(VALU_DEP_1)
	v_cmp_le_u32_e64 s7, v21, v0
	s_and_saveexec_b32 s3, s7
	s_delay_alu instid0(SALU_CYCLE_1)
	s_xor_b32 s3, exec_lo, s3
	s_cbranch_execz .LBB6_52
; %bb.49:
	s_mov_b32 s8, exec_lo
	v_cmpx_eq_u32_e64 v21, v0
	s_cbranch_execz .LBB6_51
; %bb.50:
	v_mul_u32_u24_e32 v5, 34, v0
	s_delay_alu instid0(VALU_DEP_1)
	v_dual_mov_b32 v6, 0 :: v_dual_lshlrev_b32 v5, 3, v5
	ds_store_b32 v5, v6 offset:4
.LBB6_51:
	s_or_b32 exec_lo, exec_lo, s8
.LBB6_52:
	s_and_not1_saveexec_b32 s3, s3
	s_cbranch_execz .LBB6_54
; %bb.53:
	v_mul_u32_u24_e32 v5, 33, v21
	s_delay_alu instid0(VALU_DEP_1)
	v_add_lshl_u32 v5, v5, v0, 3
	ds_load_b64 v[5:6], v5
	s_waitcnt lgkmcnt(0)
	v_xor_b32_e32 v6, 0x80000000, v6
	ds_store_b64 v16, v[5:6] offset:24
.LBB6_54:
	s_or_b32 exec_lo, exec_lo, s3
	v_add_lshl_u32 v11, v3, v0, 3
	v_lshlrev_b32_e32 v29, 3, v19
	v_add_lshl_u32 v18, v4, v0, 3
	s_waitcnt lgkmcnt(0)
	s_barrier
	buffer_gl0_inv
	ds_load_b64 v[26:27], v11
	ds_load_b128 v[3:6], v29 offset:9088
	ds_load_2addr_b64 v[30:33], v18 offset1:33
	ds_load_b128 v[34:37], v29 offset:9104
	ds_load_b64 v[38:39], v18 offset:528
	v_cmp_gt_u32_e64 s3, 32, v22
	s_waitcnt lgkmcnt(0)
	s_barrier
	buffer_gl0_inv
	v_mul_f32_e32 v23, v4, v27
	v_mul_f32_e32 v27, v3, v27
	;; [unrolled: 1-line block ×3, first 2 shown]
	v_dual_mul_f32 v31, v5, v31 :: v_dual_mul_f32 v40, v35, v33
	s_delay_alu instid0(VALU_DEP_4) | instskip(NEXT) | instid1(VALU_DEP_4)
	v_fma_f32 v3, v3, v26, -v23
	v_fmac_f32_e32 v27, v4, v26
	v_dual_mul_f32 v33, v34, v33 :: v_dual_mul_f32 v4, v37, v39
	v_fma_f32 v5, v5, v30, -v28
	s_delay_alu instid0(VALU_DEP_3)
	v_dual_fmac_f32 v31, v6, v30 :: v_dual_add_f32 v6, 0, v27
	v_add_f32_e32 v3, 0, v3
	v_mul_f32_e32 v27, v36, v39
	v_fma_f32 v23, v34, v32, -v40
	v_fma_f32 v4, v36, v38, -v4
	v_add_lshl_u32 v28, v7, v10, 3
	v_add_f32_e32 v3, v3, v5
	v_add_f32_e32 v5, v6, v31
	v_fmac_f32_e32 v27, v37, v38
	v_dual_fmac_f32 v33, v35, v32 :: v_dual_mov_b32 v26, 0
	s_delay_alu instid0(VALU_DEP_4) | instskip(SKIP_1) | instid1(VALU_DEP_3)
	v_add_f32_e32 v3, v3, v23
	v_lshlrev_b32_e32 v23, 3, v10
	v_add_f32_e32 v5, v5, v33
	s_delay_alu instid0(VALU_DEP_1)
	v_dual_add_f32 v3, v3, v4 :: v_dual_add_f32 v4, v5, v27
	v_mov_b32_e32 v27, 0
	ds_store_b64 v28, v[3:4]
	s_waitcnt lgkmcnt(0)
	s_barrier
	buffer_gl0_inv
	s_and_saveexec_b32 s8, s3
	s_cbranch_execz .LBB6_56
; %bb.55:
	ds_load_2addr_b64 v[3:6], v23 offset1:7
	ds_load_2addr_b64 v[30:33], v23 offset0:1 offset1:2
	ds_load_2addr_b64 v[34:37], v23 offset0:3 offset1:4
	;; [unrolled: 1-line block ×3, first 2 shown]
	s_waitcnt lgkmcnt(2)
	v_dual_add_f32 v3, v30, v3 :: v_dual_add_f32 v4, v31, v4
	s_delay_alu instid0(VALU_DEP_1) | instskip(SKIP_1) | instid1(VALU_DEP_1)
	v_dual_add_f32 v3, v3, v32 :: v_dual_add_f32 v4, v4, v33
	s_waitcnt lgkmcnt(1)
	v_dual_add_f32 v3, v3, v34 :: v_dual_add_f32 v4, v4, v35
	s_delay_alu instid0(VALU_DEP_1) | instskip(SKIP_1) | instid1(VALU_DEP_1)
	v_dual_add_f32 v3, v3, v36 :: v_dual_add_f32 v4, v4, v37
	s_waitcnt lgkmcnt(0)
	v_dual_add_f32 v3, v3, v38 :: v_dual_add_f32 v4, v4, v39
	s_delay_alu instid0(VALU_DEP_1) | instskip(NEXT) | instid1(VALU_DEP_1)
	v_dual_add_f32 v3, v3, v40 :: v_dual_add_f32 v4, v4, v41
	v_dual_add_f32 v26, v3, v5 :: v_dual_add_f32 v27, v4, v6
.LBB6_56:
	s_or_b32 exec_lo, exec_lo, s8
	s_lshl_b32 s20, s16, 5
	s_delay_alu instid0(SALU_CYCLE_1)
	s_ashr_i32 s21, s20, 31
	s_barrier
	s_lshl_b64 s[18:19], s[20:21], 3
	buffer_gl0_inv
	v_add_co_u32 v5, vcc_lo, v1, s18
	v_add_co_ci_u32_e32 v6, vcc_lo, s19, v2, vcc_lo
	s_delay_alu instid0(VALU_DEP_2) | instskip(NEXT) | instid1(VALU_DEP_2)
	v_add_co_u32 v3, vcc_lo, 0x100, v5
	v_add_co_ci_u32_e32 v4, vcc_lo, 0, v6, vcc_lo
	s_and_b32 vcc_lo, exec_lo, s13
	s_cbranch_vccz .LBB6_74
; %bb.57:
	s_delay_alu instid0(VALU_DEP_2)
	v_sub_co_u32 v1, vcc_lo, v3, v9
	s_ashr_i32 s11, s10, 31
	v_subrev_co_ci_u32_e32 v2, vcc_lo, 0, v4, vcc_lo
	s_lshl_b64 s[22:23], s[10:11], 3
	v_or_b32_e32 v30, 32, v0
	v_add_co_u32 v1, vcc_lo, v1, s22
	s_delay_alu instid0(VALU_DEP_3) | instskip(SKIP_1) | instid1(VALU_DEP_2)
	v_add_co_ci_u32_e32 v2, vcc_lo, s23, v2, vcc_lo
	s_sub_i32 s11, s10, 32
	v_add_co_u32 v1, vcc_lo, 0xfffffef8, v1
	s_delay_alu instid0(VALU_DEP_2) | instskip(SKIP_3) | instid1(VALU_DEP_4)
	v_add_co_ci_u32_e32 v2, vcc_lo, -1, v2, vcc_lo
	v_cmp_gt_i32_e32 vcc_lo, s10, v30
	v_cmp_le_i32_e64 s8, s11, v7
	v_add_lshl_u32 v30, v8, v0, 3
	v_dual_cndmask_b32 v2, v2, v4 :: v_dual_cndmask_b32 v1, v1, v3
	s_delay_alu instid0(VALU_DEP_3) | instskip(NEXT) | instid1(SALU_CYCLE_1)
	s_and_saveexec_b32 s17, s8
	s_xor_b32 s8, exec_lo, s17
	s_cbranch_execz .LBB6_59
; %bb.58:
	v_mov_b32_e32 v31, 0
	s_delay_alu instid0(VALU_DEP_1)
	v_mov_b32_e32 v32, v31
	ds_store_b64 v30, v[31:32]
.LBB6_59:
	s_and_not1_saveexec_b32 s8, s8
	s_cbranch_execz .LBB6_61
; %bb.60:
	global_load_b64 v[31:32], v[1:2], off
	s_waitcnt vmcnt(0)
	ds_store_b64 v30, v[31:32]
.LBB6_61:
	s_or_b32 exec_lo, exec_lo, s8
	v_add_nc_u32_e32 v31, 8, v7
	s_delay_alu instid0(VALU_DEP_1) | instskip(NEXT) | instid1(VALU_DEP_1)
	v_cmp_le_i32_e64 s8, s11, v31
	s_and_saveexec_b32 s17, s8
	s_delay_alu instid0(SALU_CYCLE_1)
	s_xor_b32 s8, exec_lo, s17
	s_cbranch_execz .LBB6_63
; %bb.62:
	v_mul_u32_u24_e32 v32, 33, v31
	v_mov_b32_e32 v31, 0
	s_delay_alu instid0(VALU_DEP_2) | instskip(NEXT) | instid1(VALU_DEP_2)
	v_add_lshl_u32 v33, v32, v0, 3
	v_mov_b32_e32 v32, v31
	ds_store_b64 v33, v[31:32]
.LBB6_63:
	s_and_not1_saveexec_b32 s17, s8
	s_cbranch_execz .LBB6_65
; %bb.64:
	s_lshl_b32 s30, s16, 3
	s_delay_alu instid0(SALU_CYCLE_1) | instskip(NEXT) | instid1(SALU_CYCLE_1)
	s_ashr_i32 s31, s30, 31
	s_lshl_b64 s[30:31], s[30:31], 3
	s_delay_alu instid0(SALU_CYCLE_1) | instskip(NEXT) | instid1(VALU_DEP_1)
	v_add_co_u32 v31, s8, v1, s30
	v_add_co_ci_u32_e64 v32, s8, s31, v2, s8
	global_load_b64 v[31:32], v[31:32], off
	s_waitcnt vmcnt(0)
	ds_store_b64 v30, v[31:32] offset:2112
.LBB6_65:
	s_or_b32 exec_lo, exec_lo, s17
	v_add_nc_u32_e32 v31, 16, v7
	s_delay_alu instid0(VALU_DEP_1) | instskip(NEXT) | instid1(VALU_DEP_1)
	v_cmp_le_i32_e64 s8, s11, v31
	s_and_saveexec_b32 s17, s8
	s_delay_alu instid0(SALU_CYCLE_1)
	s_xor_b32 s8, exec_lo, s17
	s_cbranch_execz .LBB6_67
; %bb.66:
	v_mul_u32_u24_e32 v32, 33, v31
	v_mov_b32_e32 v31, 0
	s_delay_alu instid0(VALU_DEP_2) | instskip(NEXT) | instid1(VALU_DEP_2)
	v_add_lshl_u32 v33, v32, v0, 3
	v_mov_b32_e32 v32, v31
	ds_store_b64 v33, v[31:32]
.LBB6_67:
	s_and_not1_saveexec_b32 s17, s8
	s_cbranch_execz .LBB6_69
; %bb.68:
	s_lshl_b32 s30, s16, 4
	s_delay_alu instid0(SALU_CYCLE_1) | instskip(NEXT) | instid1(SALU_CYCLE_1)
	s_ashr_i32 s31, s30, 31
	s_lshl_b64 s[30:31], s[30:31], 3
	s_delay_alu instid0(SALU_CYCLE_1) | instskip(NEXT) | instid1(VALU_DEP_1)
	v_add_co_u32 v31, s8, v1, s30
	v_add_co_ci_u32_e64 v32, s8, s31, v2, s8
	global_load_b64 v[31:32], v[31:32], off
	s_waitcnt vmcnt(0)
	ds_store_b64 v30, v[31:32] offset:4224
.LBB6_69:
	s_or_b32 exec_lo, exec_lo, s17
	v_add_nc_u32_e32 v31, 24, v7
	s_delay_alu instid0(VALU_DEP_1) | instskip(NEXT) | instid1(VALU_DEP_1)
	v_cmp_le_i32_e64 s8, s11, v31
	s_and_saveexec_b32 s11, s8
	s_delay_alu instid0(SALU_CYCLE_1)
	s_xor_b32 s8, exec_lo, s11
	s_cbranch_execz .LBB6_71
; %bb.70:
	v_mov_b32_e32 v31, 0
	s_delay_alu instid0(VALU_DEP_1)
	v_mov_b32_e32 v32, v31
	ds_store_b64 v30, v[31:32] offset:6336
                                        ; implicit-def: $vgpr30
.LBB6_71:
	s_and_not1_saveexec_b32 s11, s8
	s_cbranch_execz .LBB6_73
; %bb.72:
	s_mul_i32 s30, s16, 24
	s_delay_alu instid0(SALU_CYCLE_1) | instskip(NEXT) | instid1(SALU_CYCLE_1)
	s_ashr_i32 s31, s30, 31
	s_lshl_b64 s[30:31], s[30:31], 3
	s_delay_alu instid0(SALU_CYCLE_1) | instskip(NEXT) | instid1(VALU_DEP_1)
	v_add_co_u32 v31, s8, v1, s30
	v_add_co_ci_u32_e64 v32, s8, s31, v2, s8
	global_load_b64 v[31:32], v[31:32], off
	s_waitcnt vmcnt(0)
	ds_store_b64 v30, v[31:32] offset:6336
.LBB6_73:
	s_or_b32 exec_lo, exec_lo, s11
	v_add_co_u32 v1, s8, v1, v9
	s_delay_alu instid0(VALU_DEP_1) | instskip(NEXT) | instid1(VALU_DEP_2)
	v_add_co_ci_u32_e64 v2, s8, 0, v2, s8
	v_sub_co_u32 v1, s8, v1, s22
	s_delay_alu instid0(VALU_DEP_1) | instskip(NEXT) | instid1(VALU_DEP_2)
	v_subrev_co_ci_u32_e64 v2, s8, s23, v2, s8
	v_add_co_u32 v1, s8, 0x108, v1
	s_delay_alu instid0(VALU_DEP_1) | instskip(NEXT) | instid1(VALU_DEP_1)
	v_add_co_ci_u32_e64 v2, s8, 0, v2, s8
	v_dual_cndmask_b32 v1, v1, v3 :: v_dual_cndmask_b32 v2, v2, v4
	s_branch .LBB6_76
.LBB6_74:
                                        ; implicit-def: $vgpr1_vgpr2
	s_cbranch_execz .LBB6_76
; %bb.75:
	s_lshl_b32 s22, s16, 3
	s_ashr_i32 s17, s16, 31
	s_ashr_i32 s23, s22, 31
	v_add_lshl_u32 v36, v8, v0, 3
	s_lshl_b64 s[22:23], s[22:23], 3
	s_delay_alu instid0(SALU_CYCLE_1)
	v_add_co_u32 v1, vcc_lo, v5, s22
	v_add_co_ci_u32_e32 v2, vcc_lo, s23, v6, vcc_lo
	s_lshl_b64 s[22:23], s[16:17], 6
	s_delay_alu instid0(VALU_DEP_2) | instid1(SALU_CYCLE_1)
	v_add_co_u32 v30, vcc_lo, v1, s22
	s_delay_alu instid0(VALU_DEP_2) | instskip(NEXT) | instid1(VALU_DEP_2)
	v_add_co_ci_u32_e32 v31, vcc_lo, s23, v2, vcc_lo
	v_add_co_u32 v32, vcc_lo, v30, s22
	s_delay_alu instid0(VALU_DEP_2)
	v_add_co_ci_u32_e32 v33, vcc_lo, s23, v31, vcc_lo
	s_clause 0x3
	global_load_b64 v[5:6], v[5:6], off offset:256
	global_load_b64 v[34:35], v[1:2], off offset:256
	;; [unrolled: 1-line block ×4, first 2 shown]
	v_dual_mov_b32 v1, v3 :: v_dual_mov_b32 v2, v4
	s_waitcnt vmcnt(3)
	ds_store_b64 v36, v[5:6]
	s_waitcnt vmcnt(2)
	ds_store_b64 v36, v[34:35] offset:2112
	s_waitcnt vmcnt(1)
	ds_store_b64 v36, v[30:31] offset:4224
	;; [unrolled: 2-line block ×3, first 2 shown]
.LBB6_76:
	s_waitcnt lgkmcnt(0)
	s_barrier
	buffer_gl0_inv
	s_and_saveexec_b32 s8, s4
	s_delay_alu instid0(SALU_CYCLE_1)
	s_xor_b32 s4, exec_lo, s8
	s_cbranch_execnz .LBB6_105
; %bb.77:
	s_and_not1_saveexec_b32 s4, s4
	s_cbranch_execnz .LBB6_108
.LBB6_78:
	s_or_b32 exec_lo, exec_lo, s4
	s_and_saveexec_b32 s4, s5
	s_delay_alu instid0(SALU_CYCLE_1)
	s_xor_b32 s4, exec_lo, s4
	s_cbranch_execnz .LBB6_109
.LBB6_79:
	s_and_not1_saveexec_b32 s4, s4
	s_cbranch_execnz .LBB6_110
.LBB6_80:
	s_or_b32 exec_lo, exec_lo, s4
	s_and_saveexec_b32 s4, s6
	s_delay_alu instid0(SALU_CYCLE_1)
	s_xor_b32 s4, exec_lo, s4
	s_cbranch_execnz .LBB6_113
.LBB6_81:
	s_and_not1_saveexec_b32 s4, s4
	s_cbranch_execnz .LBB6_116
.LBB6_82:
	s_or_b32 exec_lo, exec_lo, s4
	s_and_saveexec_b32 s4, s7
	s_delay_alu instid0(SALU_CYCLE_1)
	s_xor_b32 s4, exec_lo, s4
	s_cbranch_execnz .LBB6_117
.LBB6_83:
	s_or_saveexec_b32 s4, s4
	v_add_nc_u32_e32 v19, 0x2380, v29
	s_xor_b32 exec_lo, exec_lo, s4
	s_cbranch_execz .LBB6_85
.LBB6_84:
	ds_load_b64 v[3:4], v18 offset:528
	s_waitcnt lgkmcnt(0)
	v_xor_b32_e32 v4, 0x80000000, v4
	ds_store_b64 v16, v[3:4] offset:24
.LBB6_85:
	s_or_b32 exec_lo, exec_lo, s4
	s_waitcnt lgkmcnt(0)
	s_barrier
	buffer_gl0_inv
	ds_load_b64 v[16:17], v11
	ds_load_b128 v[3:6], v19 offset:256
	ds_load_2addr_b64 v[29:32], v18 offset1:33
	ds_load_b128 v[33:36], v19 offset:272
	ds_load_b64 v[20:21], v18 offset:528
	v_cmp_eq_u32_e64 s4, 1, v7
	s_waitcnt lgkmcnt(0)
	s_barrier
	buffer_gl0_inv
	v_dual_mul_f32 v37, v4, v17 :: v_dual_mul_f32 v38, v6, v30
	v_dual_mul_f32 v17, v3, v17 :: v_dual_mul_f32 v30, v5, v30
	v_mul_f32_e32 v39, v34, v32
	s_delay_alu instid0(VALU_DEP_3) | instskip(SKIP_1) | instid1(VALU_DEP_4)
	v_fma_f32 v3, v3, v16, -v37
	v_mul_f32_e32 v32, v33, v32
	v_dual_fmac_f32 v17, v4, v16 :: v_dual_fmac_f32 v30, v6, v29
	v_fma_f32 v5, v5, v29, -v38
	s_delay_alu instid0(VALU_DEP_4) | instskip(NEXT) | instid1(VALU_DEP_4)
	v_add_f32_e32 v3, 0, v3
	v_fmac_f32_e32 v32, v34, v31
	v_mul_f32_e32 v4, v36, v21
	s_delay_alu instid0(VALU_DEP_3) | instskip(SKIP_4) | instid1(VALU_DEP_3)
	v_add_f32_e32 v3, v3, v5
	v_add_f32_e32 v6, 0, v17
	v_mul_f32_e32 v16, v35, v21
	v_fma_f32 v17, v33, v31, -v39
	v_fma_f32 v4, v35, v20, -v4
	v_dual_add_f32 v5, v6, v30 :: v_dual_fmac_f32 v16, v36, v20
	s_delay_alu instid0(VALU_DEP_3) | instskip(NEXT) | instid1(VALU_DEP_2)
	v_add_f32_e32 v3, v3, v17
	v_add_f32_e32 v5, v5, v32
	s_delay_alu instid0(VALU_DEP_2) | instskip(NEXT) | instid1(VALU_DEP_2)
	v_add_f32_e32 v3, v3, v4
	v_add_f32_e32 v4, v5, v16
	ds_store_b64 v28, v[3:4]
	s_waitcnt lgkmcnt(0)
	s_barrier
	buffer_gl0_inv
	s_and_saveexec_b32 s5, s4
	s_cbranch_execz .LBB6_87
; %bb.86:
	ds_load_2addr_b64 v[3:6], v23 offset1:7
	ds_load_2addr_b64 v[29:32], v23 offset0:1 offset1:2
	ds_load_2addr_b64 v[33:36], v23 offset0:3 offset1:4
	;; [unrolled: 1-line block ×3, first 2 shown]
	s_waitcnt lgkmcnt(2)
	v_dual_add_f32 v3, v29, v3 :: v_dual_add_f32 v4, v30, v4
	s_delay_alu instid0(VALU_DEP_1) | instskip(SKIP_1) | instid1(VALU_DEP_1)
	v_dual_add_f32 v3, v3, v31 :: v_dual_add_f32 v4, v4, v32
	s_waitcnt lgkmcnt(1)
	v_dual_add_f32 v3, v3, v33 :: v_dual_add_f32 v4, v4, v34
	s_delay_alu instid0(VALU_DEP_1) | instskip(SKIP_1) | instid1(VALU_DEP_1)
	v_dual_add_f32 v3, v3, v35 :: v_dual_add_f32 v4, v4, v36
	s_waitcnt lgkmcnt(0)
	v_dual_add_f32 v3, v3, v37 :: v_dual_add_f32 v4, v4, v38
	s_delay_alu instid0(VALU_DEP_1) | instskip(NEXT) | instid1(VALU_DEP_1)
	v_dual_add_f32 v3, v3, v39 :: v_dual_add_f32 v4, v4, v40
	v_dual_add_f32 v26, v3, v5 :: v_dual_add_f32 v27, v4, v6
.LBB6_87:
	s_or_b32 exec_lo, exec_lo, s5
	v_add_co_u32 v3, vcc_lo, 0xffffff00, v1
	v_add_co_ci_u32_e32 v4, vcc_lo, -1, v2, vcc_lo
	s_and_b32 vcc_lo, exec_lo, s13
	s_barrier
	buffer_gl0_inv
	s_cbranch_vccz .LBB6_120
; %bb.88:
	v_sub_co_u32 v5, vcc_lo, v1, v9
	s_ashr_i32 s11, s10, 31
	v_subrev_co_ci_u32_e32 v6, vcc_lo, 0, v2, vcc_lo
	s_lshl_b64 s[6:7], s[10:11], 3
	s_sub_i32 s8, s10, 32
	v_add_co_u32 v5, vcc_lo, v5, s6
	s_delay_alu instid0(VALU_DEP_2) | instskip(SKIP_1) | instid1(VALU_DEP_3)
	v_add_co_ci_u32_e32 v6, vcc_lo, s7, v6, vcc_lo
	v_cmp_le_i32_e64 s5, s8, v7
	v_add_co_u32 v5, vcc_lo, 0xfffffef8, v5
	s_delay_alu instid0(VALU_DEP_3) | instskip(SKIP_2) | instid1(VALU_DEP_3)
	v_add_co_ci_u32_e32 v6, vcc_lo, -1, v6, vcc_lo
	v_cmp_gt_i32_e32 vcc_lo, s10, v0
	v_add_lshl_u32 v16, v8, v0, 3
	v_dual_cndmask_b32 v6, v6, v4 :: v_dual_cndmask_b32 v5, v5, v3
	s_and_saveexec_b32 s11, s5
	s_delay_alu instid0(SALU_CYCLE_1)
	s_xor_b32 s5, exec_lo, s11
	s_cbranch_execz .LBB6_90
; %bb.89:
	v_mov_b32_e32 v20, 0
	s_delay_alu instid0(VALU_DEP_1)
	v_mov_b32_e32 v21, v20
	ds_store_b64 v16, v[20:21]
.LBB6_90:
	s_and_not1_saveexec_b32 s5, s5
	s_cbranch_execz .LBB6_92
; %bb.91:
	global_load_b64 v[20:21], v[5:6], off
	s_waitcnt vmcnt(0)
	ds_store_b64 v16, v[20:21]
.LBB6_92:
	s_or_b32 exec_lo, exec_lo, s5
	v_add_nc_u32_e32 v20, 8, v7
	s_delay_alu instid0(VALU_DEP_1) | instskip(NEXT) | instid1(VALU_DEP_1)
	v_cmp_le_i32_e64 s5, s8, v20
	s_and_saveexec_b32 s11, s5
	s_delay_alu instid0(SALU_CYCLE_1)
	s_xor_b32 s5, exec_lo, s11
	s_cbranch_execz .LBB6_94
; %bb.93:
	v_mul_u32_u24_e32 v17, 33, v20
	v_mov_b32_e32 v29, 0
	s_delay_alu instid0(VALU_DEP_2) | instskip(NEXT) | instid1(VALU_DEP_2)
	v_add_lshl_u32 v17, v17, v0, 3
	v_mov_b32_e32 v30, v29
	ds_store_b64 v17, v[29:30]
.LBB6_94:
	s_and_not1_saveexec_b32 s11, s5
	s_cbranch_execz .LBB6_96
; %bb.95:
	s_lshl_b32 s22, s16, 3
	s_delay_alu instid0(SALU_CYCLE_1) | instskip(NEXT) | instid1(SALU_CYCLE_1)
	s_ashr_i32 s23, s22, 31
	s_lshl_b64 s[22:23], s[22:23], 3
	s_delay_alu instid0(SALU_CYCLE_1) | instskip(NEXT) | instid1(VALU_DEP_1)
	v_add_co_u32 v29, s5, v5, s22
	v_add_co_ci_u32_e64 v30, s5, s23, v6, s5
	global_load_b64 v[29:30], v[29:30], off
	s_waitcnt vmcnt(0)
	ds_store_b64 v16, v[29:30] offset:2112
.LBB6_96:
	s_or_b32 exec_lo, exec_lo, s11
	v_add_nc_u32_e32 v21, 16, v7
	s_delay_alu instid0(VALU_DEP_1) | instskip(NEXT) | instid1(VALU_DEP_1)
	v_cmp_le_i32_e64 s5, s8, v21
	s_and_saveexec_b32 s11, s5
	s_delay_alu instid0(SALU_CYCLE_1)
	s_xor_b32 s5, exec_lo, s11
	s_cbranch_execz .LBB6_98
; %bb.97:
	v_mul_u32_u24_e32 v17, 33, v21
	v_mov_b32_e32 v29, 0
	s_delay_alu instid0(VALU_DEP_2) | instskip(NEXT) | instid1(VALU_DEP_2)
	v_add_lshl_u32 v17, v17, v0, 3
	v_mov_b32_e32 v30, v29
	ds_store_b64 v17, v[29:30]
.LBB6_98:
	s_and_not1_saveexec_b32 s11, s5
	s_cbranch_execz .LBB6_100
; %bb.99:
	s_lshl_b32 s22, s16, 4
	s_delay_alu instid0(SALU_CYCLE_1) | instskip(NEXT) | instid1(SALU_CYCLE_1)
	s_ashr_i32 s23, s22, 31
	s_lshl_b64 s[22:23], s[22:23], 3
	s_delay_alu instid0(SALU_CYCLE_1) | instskip(NEXT) | instid1(VALU_DEP_1)
	v_add_co_u32 v29, s5, v5, s22
	v_add_co_ci_u32_e64 v30, s5, s23, v6, s5
	global_load_b64 v[29:30], v[29:30], off
	s_waitcnt vmcnt(0)
	ds_store_b64 v16, v[29:30] offset:4224
.LBB6_100:
	s_or_b32 exec_lo, exec_lo, s11
	v_add_nc_u32_e32 v29, 24, v7
	s_delay_alu instid0(VALU_DEP_1) | instskip(NEXT) | instid1(VALU_DEP_1)
	v_cmp_le_i32_e64 s5, s8, v29
	s_and_saveexec_b32 s8, s5
	s_delay_alu instid0(SALU_CYCLE_1)
	s_xor_b32 s5, exec_lo, s8
	s_cbranch_execz .LBB6_102
; %bb.101:
	v_mov_b32_e32 v30, 0
	s_delay_alu instid0(VALU_DEP_1)
	v_mov_b32_e32 v31, v30
	ds_store_b64 v16, v[30:31] offset:6336
                                        ; implicit-def: $vgpr16
.LBB6_102:
	s_and_not1_saveexec_b32 s8, s5
	s_cbranch_execz .LBB6_104
; %bb.103:
	s_mul_i32 s22, s16, 24
	s_delay_alu instid0(SALU_CYCLE_1) | instskip(NEXT) | instid1(SALU_CYCLE_1)
	s_ashr_i32 s23, s22, 31
	s_lshl_b64 s[22:23], s[22:23], 3
	s_delay_alu instid0(SALU_CYCLE_1) | instskip(NEXT) | instid1(VALU_DEP_1)
	v_add_co_u32 v30, s5, v5, s22
	v_add_co_ci_u32_e64 v31, s5, s23, v6, s5
	global_load_b64 v[30:31], v[30:31], off
	s_waitcnt vmcnt(0)
	ds_store_b64 v16, v[30:31] offset:6336
.LBB6_104:
	s_or_b32 exec_lo, exec_lo, s8
	v_add_co_u32 v5, s5, v5, v9
	s_delay_alu instid0(VALU_DEP_1) | instskip(NEXT) | instid1(VALU_DEP_2)
	v_add_co_ci_u32_e64 v6, s5, 0, v6, s5
	v_sub_co_u32 v5, s5, v5, s6
	s_delay_alu instid0(VALU_DEP_1) | instskip(NEXT) | instid1(VALU_DEP_2)
	v_subrev_co_ci_u32_e64 v6, s5, s7, v6, s5
	v_add_co_u32 v5, s5, v5, 8
	s_delay_alu instid0(VALU_DEP_1) | instskip(NEXT) | instid1(VALU_DEP_1)
	v_add_co_ci_u32_e64 v6, s5, 0, v6, s5
	v_dual_cndmask_b32 v16, v5, v3 :: v_dual_cndmask_b32 v17, v6, v4
	s_branch .LBB6_122
.LBB6_105:
	s_mov_b32 s8, exec_lo
	v_cmpx_eq_u32_e64 v19, v0
	s_cbranch_execz .LBB6_107
; %bb.106:
	v_mul_u32_u24_e32 v3, 34, v0
	s_delay_alu instid0(VALU_DEP_1)
	v_dual_mov_b32 v4, 0 :: v_dual_lshlrev_b32 v3, 3, v3
	ds_store_b32 v3, v4 offset:4
.LBB6_107:
	s_or_b32 exec_lo, exec_lo, s8
	s_and_not1_saveexec_b32 s4, s4
	s_cbranch_execz .LBB6_78
.LBB6_108:
	ds_load_b64 v[3:4], v11
	s_waitcnt lgkmcnt(0)
	v_xor_b32_e32 v4, 0x80000000, v4
	ds_store_b64 v16, v[3:4]
	s_or_b32 exec_lo, exec_lo, s4
	s_and_saveexec_b32 s4, s5
	s_delay_alu instid0(SALU_CYCLE_1)
	s_xor_b32 s4, exec_lo, s4
	s_cbranch_execz .LBB6_79
.LBB6_109:
	ds_load_b64 v[3:4], v18
                                        ; implicit-def: $vgpr17
	s_waitcnt lgkmcnt(0)
	v_xor_b32_e32 v4, 0x80000000, v4
	ds_store_b64 v16, v[3:4] offset:8
	s_and_not1_saveexec_b32 s4, s4
	s_cbranch_execz .LBB6_80
.LBB6_110:
	s_mov_b32 s5, exec_lo
	v_cmpx_eq_u32_e64 v17, v0
	s_cbranch_execz .LBB6_112
; %bb.111:
	v_mul_u32_u24_e32 v3, 34, v0
	s_delay_alu instid0(VALU_DEP_1)
	v_dual_mov_b32 v4, 0 :: v_dual_lshlrev_b32 v3, 3, v3
	ds_store_b32 v3, v4 offset:4
.LBB6_112:
	s_or_b32 exec_lo, exec_lo, s5
	s_delay_alu instid0(SALU_CYCLE_1) | instskip(SKIP_1) | instid1(SALU_CYCLE_1)
	s_or_b32 exec_lo, exec_lo, s4
	s_and_saveexec_b32 s4, s6
	s_xor_b32 s4, exec_lo, s4
	s_cbranch_execz .LBB6_81
.LBB6_113:
	s_mov_b32 s5, exec_lo
	v_cmpx_eq_u32_e64 v20, v0
	s_cbranch_execz .LBB6_115
; %bb.114:
	v_mul_u32_u24_e32 v3, 34, v0
	s_delay_alu instid0(VALU_DEP_1)
	v_dual_mov_b32 v4, 0 :: v_dual_lshlrev_b32 v3, 3, v3
	ds_store_b32 v3, v4 offset:4
.LBB6_115:
	s_or_b32 exec_lo, exec_lo, s5
	s_and_not1_saveexec_b32 s4, s4
	s_cbranch_execz .LBB6_82
.LBB6_116:
	ds_load_b64 v[3:4], v18 offset:264
	s_waitcnt lgkmcnt(0)
	v_xor_b32_e32 v4, 0x80000000, v4
	ds_store_b64 v16, v[3:4] offset:16
	s_or_b32 exec_lo, exec_lo, s4
	s_and_saveexec_b32 s4, s7
	s_delay_alu instid0(SALU_CYCLE_1)
	s_xor_b32 s4, exec_lo, s4
	s_cbranch_execz .LBB6_83
.LBB6_117:
	s_mov_b32 s5, exec_lo
	v_cmpx_eq_u32_e64 v21, v0
	s_cbranch_execz .LBB6_119
; %bb.118:
	v_mul_u32_u24_e32 v3, 34, v0
	s_delay_alu instid0(VALU_DEP_1)
	v_dual_mov_b32 v4, 0 :: v_dual_lshlrev_b32 v3, 3, v3
	ds_store_b32 v3, v4 offset:4
.LBB6_119:
	s_or_b32 exec_lo, exec_lo, s5
                                        ; implicit-def: $vgpr16
	s_or_saveexec_b32 s4, s4
	v_add_nc_u32_e32 v19, 0x2380, v29
	s_xor_b32 exec_lo, exec_lo, s4
	s_cbranch_execnz .LBB6_84
	s_branch .LBB6_85
.LBB6_120:
                                        ; implicit-def: $vgpr16_vgpr17
                                        ; implicit-def: $vgpr20
                                        ; implicit-def: $vgpr21
                                        ; implicit-def: $vgpr29
	s_cbranch_execz .LBB6_122
; %bb.121:
	s_lshl_b32 s6, s16, 3
	s_ashr_i32 s17, s16, 31
	s_ashr_i32 s7, s6, 31
	v_add_lshl_u32 v0, v8, v0, 3
	s_lshl_b64 s[6:7], s[6:7], 3
	v_add_nc_u32_e32 v29, 24, v7
	v_add_co_u32 v5, vcc_lo, v1, s6
	v_add_co_ci_u32_e32 v6, vcc_lo, s7, v2, vcc_lo
	s_lshl_b64 s[6:7], s[16:17], 6
	s_delay_alu instid0(VALU_DEP_2) | instid1(SALU_CYCLE_1)
	v_add_co_u32 v16, vcc_lo, v5, s6
	s_delay_alu instid0(VALU_DEP_2) | instskip(NEXT) | instid1(VALU_DEP_2)
	v_add_co_ci_u32_e32 v17, vcc_lo, s7, v6, vcc_lo
	v_add_co_u32 v20, vcc_lo, v16, s6
	s_delay_alu instid0(VALU_DEP_2)
	v_add_co_ci_u32_e32 v21, vcc_lo, s7, v17, vcc_lo
	s_clause 0x3
	global_load_b64 v[1:2], v[1:2], off offset:-256
	global_load_b64 v[5:6], v[5:6], off offset:-256
	global_load_b64 v[30:31], v[16:17], off offset:-256
	global_load_b64 v[32:33], v[20:21], off offset:-256
	v_dual_mov_b32 v17, v4 :: v_dual_add_nc_u32 v20, 8, v7
	v_dual_mov_b32 v16, v3 :: v_dual_add_nc_u32 v21, 16, v7
	s_waitcnt vmcnt(3)
	ds_store_b64 v0, v[1:2]
	s_waitcnt vmcnt(2)
	ds_store_b64 v0, v[5:6] offset:2112
	s_waitcnt vmcnt(1)
	ds_store_b64 v0, v[30:31] offset:4224
	s_waitcnt vmcnt(0)
	ds_store_b64 v0, v[32:33] offset:6336
.LBB6_122:
	v_lshlrev_b32_e32 v0, 3, v7
	v_add_lshl_u32 v1, v20, v10, 3
	v_lshlrev_b32_e32 v2, 3, v20
	s_waitcnt lgkmcnt(0)
	s_barrier
	buffer_gl0_inv
	ds_load_b64 v[30:31], v28
	ds_load_b64 v[32:33], v0 offset:9088
	ds_load_b64 v[34:35], v1
	ds_load_b64 v[36:37], v2 offset:9088
	v_add_lshl_u32 v3, v21, v10, 3
	v_add_lshl_u32 v0, v29, v10, 3
	v_lshlrev_b32_e32 v4, 3, v21
	s_waitcnt lgkmcnt(0)
	v_mul_f32_e32 v46, v35, v37
	v_lshlrev_b32_e32 v1, 3, v29
	v_mul_f32_e32 v29, v31, v33
	v_mul_f32_e32 v31, v31, v32
	s_delay_alu instid0(VALU_DEP_2)
	v_fmac_f32_e32 v29, v30, v32
	v_fmac_f32_e32 v46, v34, v36
	ds_load_b64 v[38:39], v3
	ds_load_b64 v[40:41], v4 offset:9088
	ds_load_b64 v[42:43], v0
	ds_load_b64 v[44:45], v1 offset:9088
	ds_load_b64 v[20:21], v11
	ds_load_b128 v[8:11], v19 offset:256
	ds_load_2addr_b64 v[4:7], v18 offset1:33
	ds_load_b128 v[0:3], v19 offset:272
	ds_load_b64 v[18:19], v18 offset:528
	v_fma_f32 v30, v30, v33, -v31
	v_mul_f32_e32 v35, v35, v36
	s_waitcnt lgkmcnt(0)
	s_barrier
	buffer_gl0_inv
	v_add_f32_e32 v30, 0, v30
	v_fma_f32 v32, v34, v37, -v35
	s_delay_alu instid0(VALU_DEP_1) | instskip(SKIP_3) | instid1(VALU_DEP_4)
	v_dual_add_f32 v30, v30, v32 :: v_dual_mul_f32 v47, v39, v41
	v_mul_f32_e32 v39, v39, v40
	v_mul_f32_e32 v31, v43, v45
	;; [unrolled: 1-line block ×3, first 2 shown]
	v_fmac_f32_e32 v47, v38, v40
	s_delay_alu instid0(VALU_DEP_4) | instskip(NEXT) | instid1(VALU_DEP_4)
	v_fma_f32 v34, v38, v41, -v39
	v_fmac_f32_e32 v31, v42, v44
	s_delay_alu instid0(VALU_DEP_4) | instskip(NEXT) | instid1(VALU_DEP_3)
	v_fma_f32 v32, v42, v45, -v33
	v_dual_add_f32 v30, v30, v34 :: v_dual_add_f32 v29, 0, v29
	s_delay_alu instid0(VALU_DEP_1) | instskip(NEXT) | instid1(VALU_DEP_1)
	v_dual_add_f32 v30, v30, v32 :: v_dual_add_f32 v29, v29, v46
	v_add_f32_e32 v29, v29, v47
	s_delay_alu instid0(VALU_DEP_1)
	v_add_f32_e32 v29, v29, v31
	ds_store_b64 v28, v[29:30]
	s_waitcnt lgkmcnt(0)
	s_barrier
	buffer_gl0_inv
	s_and_saveexec_b32 s5, s4
	s_cbranch_execz .LBB6_124
; %bb.123:
	ds_load_2addr_b64 v[29:32], v23 offset1:1
	ds_load_2addr_b64 v[33:36], v23 offset0:2 offset1:3
	ds_load_2addr_b64 v[37:40], v23 offset0:4 offset1:5
	s_waitcnt lgkmcnt(2)
	v_dual_add_f32 v26, v26, v29 :: v_dual_add_f32 v27, v27, v30
	s_delay_alu instid0(VALU_DEP_1) | instskip(SKIP_3) | instid1(VALU_DEP_1)
	v_dual_add_f32 v26, v26, v31 :: v_dual_add_f32 v27, v27, v32
	ds_load_2addr_b64 v[29:32], v23 offset0:6 offset1:7
	s_waitcnt lgkmcnt(2)
	v_dual_add_f32 v26, v26, v33 :: v_dual_add_f32 v27, v27, v34
	v_dual_add_f32 v26, v26, v35 :: v_dual_add_f32 v27, v27, v36
	s_waitcnt lgkmcnt(1)
	s_delay_alu instid0(VALU_DEP_1) | instskip(NEXT) | instid1(VALU_DEP_1)
	v_dual_add_f32 v26, v26, v37 :: v_dual_add_f32 v27, v27, v38
	v_dual_add_f32 v26, v26, v39 :: v_dual_add_f32 v27, v27, v40
	s_waitcnt lgkmcnt(0)
	s_delay_alu instid0(VALU_DEP_1) | instskip(NEXT) | instid1(VALU_DEP_1)
	v_dual_add_f32 v26, v26, v29 :: v_dual_add_f32 v27, v27, v30
	v_dual_add_f32 v26, v26, v31 :: v_dual_add_f32 v27, v27, v32
.LBB6_124:
	s_or_b32 exec_lo, exec_lo, s5
	v_mul_f32_e32 v29, v9, v21
	v_mul_f32_e32 v21, v8, v21
	v_dual_mul_f32 v30, v11, v5 :: v_dual_mul_f32 v31, v1, v7
	s_delay_alu instid0(VALU_DEP_3) | instskip(NEXT) | instid1(VALU_DEP_3)
	v_fma_f32 v8, v8, v20, -v29
	v_fmac_f32_e32 v21, v9, v20
	v_mul_f32_e32 v7, v0, v7
	s_delay_alu instid0(VALU_DEP_4)
	v_fma_f32 v0, v0, v6, -v31
	s_barrier
	v_dual_add_f32 v8, 0, v8 :: v_dual_mul_f32 v5, v10, v5
	v_fma_f32 v10, v10, v4, -v30
	buffer_gl0_inv
	v_dual_add_f32 v8, v8, v10 :: v_dual_mul_f32 v9, v3, v19
	v_fmac_f32_e32 v5, v11, v4
	s_delay_alu instid0(VALU_DEP_2) | instskip(NEXT) | instid1(VALU_DEP_3)
	v_dual_mul_f32 v11, v2, v19 :: v_dual_add_f32 v0, v8, v0
	v_fma_f32 v2, v2, v18, -v9
	s_delay_alu instid0(VALU_DEP_2) | instskip(NEXT) | instid1(VALU_DEP_2)
	v_fmac_f32_e32 v11, v3, v18
	v_add_f32_e32 v0, v0, v2
	v_dual_add_f32 v4, 0, v21 :: v_dual_fmac_f32 v7, v1, v6
	s_delay_alu instid0(VALU_DEP_1) | instskip(NEXT) | instid1(VALU_DEP_1)
	v_add_f32_e32 v1, v4, v5
	v_add_f32_e32 v1, v1, v7
	s_delay_alu instid0(VALU_DEP_1)
	v_add_f32_e32 v1, v1, v11
	ds_store_b64 v28, v[0:1]
	s_waitcnt lgkmcnt(0)
	s_barrier
	buffer_gl0_inv
	s_and_saveexec_b32 s4, s3
	s_cbranch_execz .LBB6_126
; %bb.125:
	ds_load_2addr_b64 v[0:3], v23 offset1:1
	ds_load_2addr_b64 v[4:7], v23 offset0:2 offset1:3
	ds_load_2addr_b64 v[8:11], v23 offset0:4 offset1:5
	s_waitcnt lgkmcnt(2)
	v_dual_add_f32 v0, v26, v0 :: v_dual_add_f32 v1, v27, v1
	s_delay_alu instid0(VALU_DEP_1) | instskip(SKIP_3) | instid1(VALU_DEP_1)
	v_dual_add_f32 v18, v0, v2 :: v_dual_add_f32 v19, v1, v3
	ds_load_2addr_b64 v[0:3], v23 offset0:6 offset1:7
	s_waitcnt lgkmcnt(2)
	v_dual_add_f32 v4, v18, v4 :: v_dual_add_f32 v5, v19, v5
	v_dual_add_f32 v4, v4, v6 :: v_dual_add_f32 v5, v5, v7
	s_waitcnt lgkmcnt(1)
	s_delay_alu instid0(VALU_DEP_1) | instskip(NEXT) | instid1(VALU_DEP_1)
	v_dual_add_f32 v4, v4, v8 :: v_dual_add_f32 v5, v5, v9
	v_dual_add_f32 v4, v4, v10 :: v_dual_add_f32 v5, v5, v11
	s_waitcnt lgkmcnt(0)
	s_delay_alu instid0(VALU_DEP_1) | instskip(NEXT) | instid1(VALU_DEP_1)
	v_dual_add_f32 v0, v4, v0 :: v_dual_add_f32 v1, v5, v1
	v_dual_add_f32 v26, v0, v2 :: v_dual_add_f32 v27, v1, v3
.LBB6_126:
	s_or_b32 exec_lo, exec_lo, s4
	s_load_b64 s[0:1], s[0:1], 0x68
	s_mul_hi_u32 s3, s24, s15
	s_mul_i32 s25, s25, s15
	s_mul_i32 s4, s24, s15
	s_add_i32 s3, s3, s25
	s_mul_hi_u32 s5, s4, s26
	s_mul_i32 s3, s3, s26
	s_mul_i32 s4, s4, s26
	s_add_i32 s5, s5, s3
	s_mul_hi_i32 s7, s24, s14
	s_lshl_b64 s[4:5], s[4:5], 3
	s_mul_i32 s6, s24, s14
	v_lshlrev_b32_e32 v96, 3, v25
	s_waitcnt lgkmcnt(0)
	s_barrier
	buffer_gl0_inv
	s_add_u32 s3, s0, s4
	s_addc_u32 s4, s1, s5
	s_lshl_b64 s[0:1], s[6:7], 3
	s_delay_alu instid0(SALU_CYCLE_1) | instskip(SKIP_2) | instid1(SALU_CYCLE_1)
	s_add_u32 s3, s3, s0
	s_addc_u32 s11, s4, s1
	s_add_i32 s1, s14, 1
	s_cmp_ge_u32 s1, s26
	s_cbranch_scc1 .LBB6_184
; %bb.127:
	v_dual_mov_b32 v30, 0 :: v_dual_lshlrev_b32 v97, 2, v95
	s_mul_i32 s4, s12, s9
	v_and_b32_e32 v2, 15, v25
	v_lshrrev_b32_e32 v3, 4, v22
	s_delay_alu instid0(VALU_DEP_3)
	v_mad_u64_u32 v[0:1], null, v97, s16, v[25:26]
	s_ashr_i32 s5, s4, 31
	v_and_b32_e32 v4, 48, v25
	v_or_b32_e32 v6, 0x78, v96
	s_lshl_b64 s[4:5], s[4:5], 3
	v_lshlrev_b32_e32 v7, 5, v3
	v_sub_co_u32 v98, vcc_lo, v12, s4
	v_ashrrev_i32_e32 v1, 31, v0
	v_lshlrev_b32_e32 v5, 3, v4
	v_mad_u32_u24 v103, 0x218, v2, v6
	v_mul_i32_i24_e32 v6, 0xffffffe8, v3
	v_add_nc_u32_e32 v3, s12, v4
	v_subrev_co_ci_u32_e32 v99, vcc_lo, s5, v13, vcc_lo
	v_sub_co_u32 v122, vcc_lo, 0, v14
	v_sub_co_ci_u32_e32 v123, vcc_lo, 0, v15, vcc_lo
	v_mad_u32_u24 v102, 0x218, v2, v5
	v_mad_u32_u24 v104, 0x218, v2, v7
	v_add3_u32 v28, v3, v2, 64
	v_lshlrev_b64 v[2:3], 3, v[0:1]
	v_add_co_u32 v0, vcc_lo, s20, v0
	v_add_co_ci_u32_e32 v1, vcc_lo, s21, v1, vcc_lo
	s_lshl_b32 s22, s16, 4
	s_delay_alu instid0(VALU_DEP_3) | instskip(NEXT) | instid1(VALU_DEP_2)
	v_add_co_u32 v4, vcc_lo, s18, v2
	v_lshlrev_b64 v[0:1], 3, v[0:1]
	v_add_co_ci_u32_e32 v5, vcc_lo, s19, v3, vcc_lo
	s_delay_alu instid0(VALU_DEP_3) | instskip(SKIP_1) | instid1(VALU_DEP_2)
	v_add_co_u32 v7, vcc_lo, v4, v16
	s_mul_i32 s30, s16, 3
	v_add_co_ci_u32_e32 v8, vcc_lo, v5, v17, vcc_lo
	s_delay_alu instid0(VALU_DEP_4) | instskip(SKIP_4) | instid1(VALU_DEP_3)
	v_mad_i64_i32 v[4:5], null, s22, 24, v[0:1]
	s_ashr_i32 s31, s30, 31
	v_add_co_u32 v124, vcc_lo, v7, 4
	s_lshl_b64 s[12:13], s[30:31], 3
	v_add_co_ci_u32_e32 v125, vcc_lo, 0, v8, vcc_lo
	v_add_co_u32 v7, vcc_lo, v4, s12
	s_ashr_i32 s17, s16, 31
	s_mul_i32 s1, s9, s1
	v_add_co_ci_u32_e32 v8, vcc_lo, s13, v5, vcc_lo
	s_ashr_i32 s23, s22, 31
	s_lshl_b32 s24, s16, 1
	s_lshl_b32 s29, s9, 6
	s_lshl_b64 s[8:9], s[16:17], 3
	s_lshl_b32 s4, s1, 6
	s_mul_i32 s1, s16, 0x180
	s_lshl_b64 s[16:17], s[16:17], 4
	s_add_i32 s15, s26, -2
	s_ashr_i32 s25, s24, 31
	s_lshl_b64 s[6:7], s[22:23], 5
	v_add_co_u32 v126, vcc_lo, v16, v7
	s_add_u32 s30, s16, s18
	v_add_co_ci_u32_e32 v127, vcc_lo, v17, v8, vcc_lo
	s_addc_u32 s31, s17, s19
	v_add_co_u32 v7, vcc_lo, s30, v2
	s_mul_hi_i32 s5, s22, 24
	s_add_u32 s1, s1, s16
	v_add_co_ci_u32_e32 v8, vcc_lo, s31, v3, vcc_lo
	s_addc_u32 s5, s5, s17
	v_add_co_u32 v0, vcc_lo, s1, v0
	v_add_co_ci_u32_e32 v1, vcc_lo, s5, v1, vcc_lo
	v_add_co_u32 v128, vcc_lo, v16, v7
	v_add_co_ci_u32_e32 v129, vcc_lo, v17, v8, vcc_lo
	s_delay_alu instid0(VALU_DEP_4)
	v_add_co_u32 v0, vcc_lo, v0, v16
	s_add_u32 s1, s8, s18
	v_add_co_ci_u32_e32 v1, vcc_lo, v1, v17, vcc_lo
	s_addc_u32 s5, s9, s19
	v_add_co_u32 v7, vcc_lo, s1, v2
	v_add_co_ci_u32_e32 v8, vcc_lo, s5, v3, vcc_lo
	v_add_co_u32 v130, vcc_lo, v0, 4
	v_add_co_ci_u32_e32 v131, vcc_lo, 0, v1, vcc_lo
	s_delay_alu instid0(VALU_DEP_4) | instskip(NEXT) | instid1(VALU_DEP_4)
	v_add_co_u32 v0, vcc_lo, v7, v16
	v_add_co_ci_u32_e32 v1, vcc_lo, v8, v17, vcc_lo
	s_lshl_b64 s[16:17], s[24:25], 3
	s_delay_alu instid0(VALU_DEP_2) | instskip(SKIP_1) | instid1(VALU_DEP_2)
	v_add_co_u32 v132, vcc_lo, v0, 4
	s_add_u32 s20, s18, s16
	v_add_co_ci_u32_e32 v133, vcc_lo, 0, v1, vcc_lo
	s_addc_u32 s21, s19, s17
	v_add_co_u32 v0, vcc_lo, s20, v2
	v_add_co_ci_u32_e32 v1, vcc_lo, s21, v3, vcc_lo
	v_add_co_u32 v7, vcc_lo, v4, s16
	v_add_co_ci_u32_e32 v8, vcc_lo, s17, v5, vcc_lo
	s_delay_alu instid0(VALU_DEP_4) | instskip(NEXT) | instid1(VALU_DEP_4)
	v_add_co_u32 v0, vcc_lo, v0, v16
	v_add_co_ci_u32_e32 v1, vcc_lo, v1, v17, vcc_lo
	s_delay_alu instid0(VALU_DEP_4) | instskip(NEXT) | instid1(VALU_DEP_4)
	;; [unrolled: 3-line block ×3, first 2 shown]
	v_add_co_u32 v136, vcc_lo, v0, 4
	v_add_co_ci_u32_e32 v137, vcc_lo, 0, v1, vcc_lo
	v_add_co_u32 v0, vcc_lo, v4, s8
	s_add_u32 s20, s18, s12
	v_add_co_ci_u32_e32 v1, vcc_lo, s9, v5, vcc_lo
	s_addc_u32 s21, s19, s13
	v_add_co_u32 v7, vcc_lo, s20, v2
	v_add_co_ci_u32_e32 v8, vcc_lo, s21, v3, vcc_lo
	v_add_co_u32 v138, vcc_lo, v16, v0
	v_add_co_ci_u32_e32 v139, vcc_lo, v17, v1, vcc_lo
	s_delay_alu instid0(VALU_DEP_4) | instskip(NEXT) | instid1(VALU_DEP_4)
	v_add_co_u32 v0, vcc_lo, v7, v16
	v_add_co_ci_u32_e32 v1, vcc_lo, v8, v17, vcc_lo
	s_lshl_b64 s[20:21], s[22:23], 3
	s_delay_alu instid0(VALU_DEP_2) | instskip(SKIP_1) | instid1(VALU_DEP_2)
	v_add_co_u32 v140, vcc_lo, v0, 4
	s_add_u32 s24, s18, s20
	v_add_co_ci_u32_e32 v141, vcc_lo, 0, v1, vcc_lo
	s_addc_u32 s25, s19, s21
	v_add_co_u32 v0, vcc_lo, s24, v2
	v_add_co_ci_u32_e32 v1, vcc_lo, s25, v3, vcc_lo
	v_add_co_u32 v142, vcc_lo, v16, v4
	v_add_co_ci_u32_e32 v143, vcc_lo, v17, v5, vcc_lo
	s_delay_alu instid0(VALU_DEP_4) | instskip(NEXT) | instid1(VALU_DEP_4)
	v_add_co_u32 v0, vcc_lo, v0, v16
	v_add_co_ci_u32_e32 v1, vcc_lo, v1, v17, vcc_lo
	s_lshl_b64 s[22:23], s[22:23], 4
	s_delay_alu instid0(VALU_DEP_2)
	v_add_co_u32 v144, vcc_lo, v0, 4
	s_add_u32 s18, s22, s18
	s_addc_u32 s19, s23, s19
	s_add_u32 s33, s18, s12
	v_add_co_ci_u32_e32 v145, vcc_lo, 0, v1, vcc_lo
	s_addc_u32 s34, s19, s13
	v_add_co_u32 v0, vcc_lo, s33, v2
	s_add_u32 s1, s1, s20
	v_add_co_ci_u32_e32 v1, vcc_lo, s34, v3, vcc_lo
	s_addc_u32 s5, s5, s21
	v_add_co_u32 v4, vcc_lo, s1, v2
	v_add_co_ci_u32_e32 v5, vcc_lo, s5, v3, vcc_lo
	v_add_co_u32 v146, vcc_lo, v16, v0
	v_add_co_ci_u32_e32 v147, vcc_lo, v17, v1, vcc_lo
	s_delay_alu instid0(VALU_DEP_4)
	v_add_co_u32 v0, vcc_lo, v4, v16
	s_add_u32 s1, s30, s22
	v_add_co_ci_u32_e32 v1, vcc_lo, v5, v17, vcc_lo
	s_addc_u32 s5, s31, s23
	v_add_co_u32 v4, vcc_lo, s1, v2
	v_add_co_ci_u32_e32 v5, vcc_lo, s5, v3, vcc_lo
	v_add_co_u32 v148, vcc_lo, v0, 4
	v_add_co_ci_u32_e32 v149, vcc_lo, 0, v1, vcc_lo
	s_delay_alu instid0(VALU_DEP_4)
	v_add_co_u32 v0, vcc_lo, v4, v16
	s_add_u32 s1, s24, s16
	v_add_co_ci_u32_e32 v1, vcc_lo, v5, v17, vcc_lo
	s_addc_u32 s5, s25, s17
	v_add_co_u32 v4, vcc_lo, s1, v2
	v_add_co_ci_u32_e32 v5, vcc_lo, s5, v3, vcc_lo
	v_add_co_u32 v150, vcc_lo, v0, 4
	v_add_co_ci_u32_e32 v151, vcc_lo, 0, v1, vcc_lo
	s_delay_alu instid0(VALU_DEP_4)
	v_add_co_u32 v0, vcc_lo, v4, v16
	s_add_u32 s1, s18, s16
	v_add_co_ci_u32_e32 v1, vcc_lo, v5, v17, vcc_lo
	s_addc_u32 s5, s19, s17
	v_add_co_u32 v4, vcc_lo, s1, v2
	v_add_co_ci_u32_e32 v5, vcc_lo, s5, v3, vcc_lo
	v_add_co_u32 v152, vcc_lo, v0, 4
	v_add_co_ci_u32_e32 v153, vcc_lo, 0, v1, vcc_lo
	s_delay_alu instid0(VALU_DEP_4)
	v_add_co_u32 v154, vcc_lo, v16, v4
	s_add_u32 s1, s30, s20
	v_add_co_ci_u32_e32 v155, vcc_lo, v17, v5, vcc_lo
	s_addc_u32 s5, s31, s21
	v_add_co_u32 v0, vcc_lo, s1, v2
	s_add_u32 s1, s18, s8
	v_add_co_ci_u32_e32 v1, vcc_lo, s5, v3, vcc_lo
	s_addc_u32 s5, s19, s9
	v_add_co_u32 v4, vcc_lo, s1, v2
	v_add_co_ci_u32_e32 v5, vcc_lo, s5, v3, vcc_lo
	v_add_co_u32 v156, vcc_lo, v16, v0
	v_add_co_ci_u32_e32 v157, vcc_lo, v17, v1, vcc_lo
	s_delay_alu instid0(VALU_DEP_4)
	v_add_co_u32 v158, vcc_lo, v16, v4
	s_add_u32 s1, s24, s12
	v_add_co_ci_u32_e32 v159, vcc_lo, v17, v5, vcc_lo
	s_addc_u32 s5, s25, s13
	v_add_co_u32 v0, vcc_lo, s1, v2
	v_add_co_ci_u32_e32 v1, vcc_lo, s5, v3, vcc_lo
	v_add_co_u32 v2, vcc_lo, s18, v2
	v_add_co_ci_u32_e32 v3, vcc_lo, s19, v3, vcc_lo
	s_delay_alu instid0(VALU_DEP_4) | instskip(NEXT) | instid1(VALU_DEP_4)
	v_add_co_u32 v0, vcc_lo, v0, v16
	v_add_co_ci_u32_e32 v1, vcc_lo, v1, v17, vcc_lo
	s_delay_alu instid0(VALU_DEP_4) | instskip(NEXT) | instid1(VALU_DEP_4)
	;; [unrolled: 3-line block ×3, first 2 shown]
	v_add_co_u32 v160, vcc_lo, v0, 4
	v_add_co_ci_u32_e32 v161, vcc_lo, 0, v1, vcc_lo
	s_delay_alu instid0(VALU_DEP_4)
	v_add_co_u32 v162, vcc_lo, v2, 4
	v_add_nc_u32_e32 v100, 0x2180, v96
	v_add_nc_u32_e32 v101, 0x2380, v96
	v_cmp_gt_u32_e64 s0, 64, v22
	v_or_b32_e32 v105, 1, v97
	v_or_b32_e32 v106, 2, v97
	;; [unrolled: 1-line block ×3, first 2 shown]
	v_lshl_add_u32 v108, v95, 5, 0x2180
	v_mad_u32_u24 v109, 0x860, v95, v96
	v_add_nc_u32_e32 v110, 16, v97
	v_add_nc_u32_e32 v111, 17, v97
	;; [unrolled: 1-line block ×12, first 2 shown]
	v_add_co_ci_u32_e32 v163, vcc_lo, 0, v3, vcc_lo
	v_add_nc_u32_e32 v164, v104, v6
	s_cmp_eq_u32 s15, s14
	s_cselect_b32 s8, s27, 0
	s_and_saveexec_b32 s1, s2
	s_cbranch_execz .LBB6_132
.LBB6_128:
	v_cmp_le_i32_e32 vcc_lo, s8, v25
	s_cmp_lg_u32 s8, 0
	s_cselect_b32 s5, -1, 0
	s_delay_alu instid0(SALU_CYCLE_1) | instskip(NEXT) | instid1(SALU_CYCLE_1)
	s_and_b32 s5, s5, vcc_lo
	s_and_saveexec_b32 s9, s5
	s_delay_alu instid0(SALU_CYCLE_1)
	s_xor_b32 s5, exec_lo, s9
	s_cbranch_execz .LBB6_130
; %bb.129:
	v_mov_b32_e32 v31, v30
	ds_store_b64 v100, v[30:31]
.LBB6_130:
	s_and_not1_saveexec_b32 s5, s5
	s_cbranch_execz .LBB6_132
; %bb.131:
	s_ashr_i32 s5, s4, 31
	s_delay_alu instid0(SALU_CYCLE_1) | instskip(NEXT) | instid1(SALU_CYCLE_1)
	s_lshl_b64 s[12:13], s[4:5], 3
	v_add_co_u32 v0, vcc_lo, v98, s12
	v_add_co_ci_u32_e32 v1, vcc_lo, s13, v99, vcc_lo
	global_load_b64 v[0:1], v[0:1], off
	s_waitcnt vmcnt(0)
	ds_store_b64 v100, v[0:1]
.LBB6_132:                              ; =>This Inner Loop Header: Depth=1
	s_or_b32 exec_lo, exec_lo, s1
	s_cmp_eq_u32 s8, 0
	v_add_co_u32 v0, vcc_lo, v124, v122
	s_cselect_b32 s5, -1, 0
	s_cmp_lg_u32 s8, 0
	v_add_co_ci_u32_e32 v1, vcc_lo, v125, v123, vcc_lo
	s_cselect_b32 s1, -1, 0
	s_waitcnt lgkmcnt(0)
	s_and_b32 vcc_lo, exec_lo, s1
	s_barrier
	buffer_gl0_inv
	s_cbranch_vccz .LBB6_140
; %bb.133:                              ;   in Loop: Header=BB6_132 Depth=1
	v_dual_mov_b32 v33, 0 :: v_dual_mov_b32 v32, 0
	v_mov_b32_e32 v31, 0
	s_mov_b32 s9, exec_lo
	v_cmpx_gt_i32_e64 s8, v97
	s_cbranch_execz .LBB6_135
; %bb.134:                              ;   in Loop: Header=BB6_132 Depth=1
	global_load_b64 v[31:32], v[0:1], off offset:-4
.LBB6_135:                              ;   in Loop: Header=BB6_132 Depth=1
	s_or_b32 exec_lo, exec_lo, s9
	v_mov_b32_e32 v34, 0
	s_mov_b32 s9, exec_lo
	v_cmpx_gt_i32_e64 s8, v105
	s_cbranch_execz .LBB6_137
; %bb.136:                              ;   in Loop: Header=BB6_132 Depth=1
	v_add_co_u32 v2, vcc_lo, v132, v122
	v_add_co_ci_u32_e32 v3, vcc_lo, v133, v123, vcc_lo
	global_load_b64 v[33:34], v[2:3], off offset:-4
.LBB6_137:                              ;   in Loop: Header=BB6_132 Depth=1
	s_or_b32 exec_lo, exec_lo, s9
	v_dual_mov_b32 v35, 0 :: v_dual_mov_b32 v36, 0
	s_mov_b32 s13, 0
	s_mov_b32 s9, exec_lo
	v_cmpx_gt_i32_e64 s8, v106
	s_cbranch_execz .LBB6_139
; %bb.138:                              ;   in Loop: Header=BB6_132 Depth=1
	v_add_co_u32 v2, vcc_lo, v136, v122
	v_add_co_ci_u32_e32 v3, vcc_lo, v137, v123, vcc_lo
	global_load_b64 v[35:36], v[2:3], off offset:-4
.LBB6_139:                              ;   in Loop: Header=BB6_132 Depth=1
	s_or_b32 exec_lo, exec_lo, s9
	v_cmp_gt_i32_e64 s9, s8, v107
	s_mov_b32 s12, 0
	s_and_b32 vcc_lo, exec_lo, s13
	s_cbranch_vccnz .LBB6_141
	s_branch .LBB6_142
.LBB6_140:                              ;   in Loop: Header=BB6_132 Depth=1
	s_mov_b32 s9, 0
                                        ; implicit-def: $vgpr32
                                        ; implicit-def: $vgpr34
                                        ; implicit-def: $vgpr36
                                        ; implicit-def: $sgpr12
	s_cbranch_execz .LBB6_142
.LBB6_141:                              ;   in Loop: Header=BB6_132 Depth=1
	v_add_co_u32 v2, vcc_lo, v132, v122
	v_add_co_ci_u32_e32 v3, vcc_lo, v133, v123, vcc_lo
	v_add_co_u32 v4, vcc_lo, v128, v122
	v_add_co_ci_u32_e32 v5, vcc_lo, v129, v123, vcc_lo
	global_load_b64 v[31:32], v[0:1], off offset:-4
	global_load_b64 v[33:34], v[2:3], off offset:-4
	global_load_b64 v[35:36], v[4:5], off
	s_or_b32 s9, s9, exec_lo
                                        ; implicit-def: $sgpr12
.LBB6_142:                              ;   in Loop: Header=BB6_132 Depth=1
	v_dual_mov_b32 v37, s12 :: v_dual_mov_b32 v38, s12
	s_and_saveexec_b32 s12, s9
	s_cbranch_execz .LBB6_144
; %bb.143:                              ;   in Loop: Header=BB6_132 Depth=1
	v_add_co_u32 v0, vcc_lo, v140, v122
	v_add_co_ci_u32_e32 v1, vcc_lo, v141, v123, vcc_lo
	global_load_b64 v[37:38], v[0:1], off offset:-4
.LBB6_144:                              ;   in Loop: Header=BB6_132 Depth=1
	s_or_b32 exec_lo, exec_lo, s12
	ds_load_b64 v[0:1], v101
	ds_load_b64 v[39:40], v108
	v_cndmask_b32_e64 v29, 0, 1, s1
	s_waitcnt vmcnt(0) lgkmcnt(1)
	v_dual_mul_f32 v2, v32, v1 :: v_dual_mul_f32 v5, v34, v0
	v_dual_mul_f32 v3, v32, v0 :: v_dual_mul_f32 v4, v34, v1
	;; [unrolled: 1-line block ×4, first 2 shown]
	s_delay_alu instid0(VALU_DEP_4) | instskip(NEXT) | instid1(VALU_DEP_4)
	v_fmac_f32_e32 v2, v31, v0
	v_fma_f32 v3, v31, v1, -v3
	v_fmac_f32_e32 v4, v33, v0
	v_fma_f32 v5, v33, v1, -v5
	;; [unrolled: 2-line block ×4, first 2 shown]
	ds_store_b64 v109, v[2:3]
	ds_load_b64 v[45:46], v108 offset:8
	ds_store_b64 v109, v[4:5] offset:536
	ds_load_b64 v[43:44], v108 offset:16
	ds_store_b64 v109, v[6:7] offset:1072
	;; [unrolled: 2-line block ×3, first 2 shown]
	s_waitcnt lgkmcnt(0)
	s_barrier
	buffer_gl0_inv
	ds_load_2addr_b64 v[4:7], v104 offset1:1
	ds_load_2addr_b64 v[0:3], v104 offset0:2 offset1:3
	v_add_co_u32 v8, vcc_lo, v144, v122
	v_add_co_ci_u32_e32 v9, vcc_lo, v145, v123, vcc_lo
	s_and_not1_b32 vcc_lo, exec_lo, s1
	s_waitcnt lgkmcnt(0)
	s_barrier
	buffer_gl0_inv
	s_cbranch_vccnz .LBB6_152
; %bb.145:                              ;   in Loop: Header=BB6_132 Depth=1
	v_dual_mov_b32 v47, 0 :: v_dual_mov_b32 v50, 0
	v_mov_b32_e32 v49, 0
	s_mov_b32 s1, exec_lo
	v_cmpx_gt_i32_e64 s8, v110
	s_cbranch_execz .LBB6_147
; %bb.146:                              ;   in Loop: Header=BB6_132 Depth=1
	global_load_b64 v[49:50], v[8:9], off offset:-4
.LBB6_147:                              ;   in Loop: Header=BB6_132 Depth=1
	s_or_b32 exec_lo, exec_lo, s1
	v_mov_b32_e32 v48, 0
	s_mov_b32 s1, exec_lo
	v_cmpx_gt_i32_e64 s8, v111
	s_cbranch_execz .LBB6_149
; %bb.148:                              ;   in Loop: Header=BB6_132 Depth=1
	v_add_co_u32 v10, vcc_lo, v148, v122
	v_add_co_ci_u32_e32 v11, vcc_lo, v149, v123, vcc_lo
	global_load_b64 v[47:48], v[10:11], off offset:-4
.LBB6_149:                              ;   in Loop: Header=BB6_132 Depth=1
	s_or_b32 exec_lo, exec_lo, s1
	v_dual_mov_b32 v51, 0 :: v_dual_mov_b32 v52, 0
	s_mov_b32 s12, 0
	s_mov_b32 s1, exec_lo
	v_cmpx_gt_i32_e64 s8, v112
	s_cbranch_execz .LBB6_151
; %bb.150:                              ;   in Loop: Header=BB6_132 Depth=1
	v_add_co_u32 v10, vcc_lo, v152, v122
	v_add_co_ci_u32_e32 v11, vcc_lo, v153, v123, vcc_lo
	global_load_b64 v[51:52], v[10:11], off offset:-4
.LBB6_151:                              ;   in Loop: Header=BB6_132 Depth=1
	s_or_b32 exec_lo, exec_lo, s1
	v_cmp_gt_i32_e64 s1, s8, v113
	s_mov_b32 s9, 0
	s_and_b32 vcc_lo, exec_lo, s12
	s_cbranch_vccnz .LBB6_153
	s_branch .LBB6_154
.LBB6_152:                              ;   in Loop: Header=BB6_132 Depth=1
	s_mov_b32 s1, 0
                                        ; implicit-def: $vgpr50
                                        ; implicit-def: $vgpr48
                                        ; implicit-def: $vgpr52
                                        ; implicit-def: $sgpr9
	s_cbranch_execz .LBB6_154
.LBB6_153:                              ;   in Loop: Header=BB6_132 Depth=1
	v_add_co_u32 v10, vcc_lo, v148, v122
	v_add_co_ci_u32_e32 v11, vcc_lo, v149, v123, vcc_lo
	v_add_co_u32 v12, vcc_lo, v156, v122
	v_add_co_ci_u32_e32 v13, vcc_lo, v157, v123, vcc_lo
	global_load_b64 v[49:50], v[8:9], off offset:-4
	global_load_b64 v[47:48], v[10:11], off offset:-4
	global_load_b64 v[51:52], v[12:13], off
	s_or_b32 s1, s1, exec_lo
                                        ; implicit-def: $sgpr9
.LBB6_154:                              ;   in Loop: Header=BB6_132 Depth=1
	v_dual_mov_b32 v53, s9 :: v_dual_mov_b32 v54, s9
	s_and_saveexec_b32 s9, s1
	s_cbranch_execz .LBB6_156
; %bb.155:                              ;   in Loop: Header=BB6_132 Depth=1
	v_add_co_u32 v8, vcc_lo, v160, v122
	v_add_co_ci_u32_e32 v9, vcc_lo, v161, v123, vcc_lo
	global_load_b64 v[53:54], v[8:9], off offset:-4
.LBB6_156:                              ;   in Loop: Header=BB6_132 Depth=1
	s_or_b32 exec_lo, exec_lo, s9
	ds_load_b64 v[8:9], v101
	ds_load_b64 v[55:56], v108 offset:128
	v_cmp_ne_u32_e32 vcc_lo, 1, v29
	s_and_b32 vcc_lo, exec_lo, vcc_lo
	s_waitcnt vmcnt(0) lgkmcnt(1)
	v_dual_mul_f32 v10, v50, v9 :: v_dual_mul_f32 v13, v48, v8
	v_dual_mul_f32 v11, v50, v8 :: v_dual_mul_f32 v12, v48, v9
	;; [unrolled: 1-line block ×4, first 2 shown]
	s_delay_alu instid0(VALU_DEP_4) | instskip(NEXT) | instid1(VALU_DEP_4)
	v_fmac_f32_e32 v10, v49, v8
	v_fma_f32 v11, v49, v9, -v11
	v_fmac_f32_e32 v12, v47, v8
	v_fma_f32 v13, v47, v9, -v13
	;; [unrolled: 2-line block ×4, first 2 shown]
	ds_store_b64 v109, v[10:11]
	ds_load_b64 v[61:62], v108 offset:136
	ds_store_b64 v109, v[12:13] offset:536
	ds_load_b64 v[59:60], v108 offset:144
	ds_store_b64 v109, v[14:15] offset:1072
	;; [unrolled: 2-line block ×3, first 2 shown]
	s_waitcnt lgkmcnt(0)
	s_barrier
	buffer_gl0_inv
	ds_load_2addr_b64 v[12:15], v104 offset1:1
	ds_load_2addr_b64 v[8:11], v104 offset0:2 offset1:3
	v_add_co_u32 v16, s1, v162, v122
	s_delay_alu instid0(VALU_DEP_1)
	v_add_co_ci_u32_e64 v17, s1, v163, v123, s1
	s_waitcnt lgkmcnt(0)
	s_barrier
	buffer_gl0_inv
	s_cbranch_vccnz .LBB6_164
; %bb.157:                              ;   in Loop: Header=BB6_132 Depth=1
	v_dual_mov_b32 v63, 0 :: v_dual_mov_b32 v66, 0
	v_mov_b32_e32 v65, 0
	s_mov_b32 s1, exec_lo
	v_cmpx_gt_i32_e64 s8, v114
	s_cbranch_execz .LBB6_159
; %bb.158:                              ;   in Loop: Header=BB6_132 Depth=1
	global_load_b64 v[65:66], v[16:17], off offset:-4
.LBB6_159:                              ;   in Loop: Header=BB6_132 Depth=1
	s_or_b32 exec_lo, exec_lo, s1
	v_mov_b32_e32 v64, 0
	s_mov_b32 s1, exec_lo
	v_cmpx_gt_i32_e64 s8, v115
	s_cbranch_execz .LBB6_161
; %bb.160:                              ;   in Loop: Header=BB6_132 Depth=1
	v_add_co_u32 v18, vcc_lo, v158, v122
	v_add_co_ci_u32_e32 v19, vcc_lo, v159, v123, vcc_lo
	global_load_b64 v[63:64], v[18:19], off
.LBB6_161:                              ;   in Loop: Header=BB6_132 Depth=1
	s_or_b32 exec_lo, exec_lo, s1
	v_dual_mov_b32 v67, 0 :: v_dual_mov_b32 v68, 0
	s_mov_b32 s12, 0
	s_mov_b32 s1, exec_lo
	v_cmpx_gt_i32_e64 s8, v116
	s_cbranch_execz .LBB6_163
; %bb.162:                              ;   in Loop: Header=BB6_132 Depth=1
	v_add_co_u32 v18, vcc_lo, v154, v122
	v_add_co_ci_u32_e32 v19, vcc_lo, v155, v123, vcc_lo
	global_load_b64 v[67:68], v[18:19], off
.LBB6_163:                              ;   in Loop: Header=BB6_132 Depth=1
	s_or_b32 exec_lo, exec_lo, s1
	v_cmp_gt_i32_e64 s1, s8, v117
	s_mov_b32 s9, 0
	s_and_b32 vcc_lo, exec_lo, s12
	s_cbranch_vccnz .LBB6_165
	s_branch .LBB6_166
.LBB6_164:                              ;   in Loop: Header=BB6_132 Depth=1
	s_mov_b32 s1, 0
                                        ; implicit-def: $vgpr66
                                        ; implicit-def: $vgpr64
                                        ; implicit-def: $vgpr68
                                        ; implicit-def: $sgpr9
	s_cbranch_execz .LBB6_166
.LBB6_165:                              ;   in Loop: Header=BB6_132 Depth=1
	v_add_co_u32 v18, vcc_lo, v158, v122
	v_add_co_ci_u32_e32 v19, vcc_lo, v159, v123, vcc_lo
	v_add_co_u32 v20, vcc_lo, v150, v122
	v_add_co_ci_u32_e32 v21, vcc_lo, v151, v123, vcc_lo
	global_load_b64 v[65:66], v[16:17], off offset:-4
	global_load_b64 v[63:64], v[18:19], off
	global_load_b64 v[67:68], v[20:21], off offset:-4
	s_or_b32 s1, s1, exec_lo
                                        ; implicit-def: $sgpr9
.LBB6_166:                              ;   in Loop: Header=BB6_132 Depth=1
	v_dual_mov_b32 v69, s9 :: v_dual_mov_b32 v70, s9
	s_and_saveexec_b32 s9, s1
	s_cbranch_execz .LBB6_168
; %bb.167:                              ;   in Loop: Header=BB6_132 Depth=1
	v_add_co_u32 v16, vcc_lo, v146, v122
	v_add_co_ci_u32_e32 v17, vcc_lo, v147, v123, vcc_lo
	global_load_b64 v[69:70], v[16:17], off
.LBB6_168:                              ;   in Loop: Header=BB6_132 Depth=1
	s_or_b32 exec_lo, exec_lo, s9
	ds_load_b64 v[16:17], v101
	ds_load_b64 v[71:72], v108 offset:256
	v_cmp_ne_u32_e32 vcc_lo, 1, v29
	v_add_co_u32 v85, s1, v142, v122
	s_delay_alu instid0(VALU_DEP_1)
	v_add_co_ci_u32_e64 v86, s1, v143, v123, s1
	s_and_b32 vcc_lo, exec_lo, vcc_lo
	s_waitcnt vmcnt(0) lgkmcnt(1)
	v_dual_mul_f32 v18, v66, v17 :: v_dual_mul_f32 v21, v64, v16
	v_dual_mul_f32 v19, v66, v16 :: v_dual_mul_f32 v20, v64, v17
	v_dual_mul_f32 v22, v68, v17 :: v_dual_mul_f32 v73, v70, v16
	v_mul_f32_e32 v23, v68, v16
	s_delay_alu instid0(VALU_DEP_4) | instskip(NEXT) | instid1(VALU_DEP_4)
	v_dual_mul_f32 v79, v70, v17 :: v_dual_fmac_f32 v18, v65, v16
	v_fma_f32 v19, v65, v17, -v19
	v_fmac_f32_e32 v20, v63, v16
	v_fma_f32 v21, v63, v17, -v21
	v_fmac_f32_e32 v22, v67, v16
	;; [unrolled: 2-line block ×3, first 2 shown]
	v_fma_f32 v80, v69, v17, -v73
	ds_store_b64 v109, v[18:19]
	ds_load_b64 v[77:78], v108 offset:264
	ds_store_b64 v109, v[20:21] offset:536
	ds_load_b64 v[75:76], v108 offset:272
	ds_store_b64 v109, v[22:23] offset:1072
	;; [unrolled: 2-line block ×3, first 2 shown]
	s_waitcnt lgkmcnt(0)
	s_barrier
	buffer_gl0_inv
	ds_load_2addr_b64 v[20:23], v104 offset1:1
	ds_load_2addr_b64 v[16:19], v104 offset0:2 offset1:3
	s_waitcnt lgkmcnt(0)
	s_barrier
	buffer_gl0_inv
	s_cbranch_vccnz .LBB6_176
; %bb.169:                              ;   in Loop: Header=BB6_132 Depth=1
	v_dual_mov_b32 v81, 0 :: v_dual_mov_b32 v80, 0
	v_mov_b32_e32 v79, 0
	s_mov_b32 s1, exec_lo
	v_cmpx_gt_i32_e64 s8, v118
	s_cbranch_execz .LBB6_171
; %bb.170:                              ;   in Loop: Header=BB6_132 Depth=1
	global_load_b64 v[79:80], v[85:86], off
.LBB6_171:                              ;   in Loop: Header=BB6_132 Depth=1
	s_or_b32 exec_lo, exec_lo, s1
	v_mov_b32_e32 v82, 0
	s_mov_b32 s1, exec_lo
	v_cmpx_gt_i32_e64 s8, v119
	s_cbranch_execz .LBB6_173
; %bb.172:                              ;   in Loop: Header=BB6_132 Depth=1
	v_add_co_u32 v81, vcc_lo, v138, v122
	v_add_co_ci_u32_e32 v82, vcc_lo, v139, v123, vcc_lo
	global_load_b64 v[81:82], v[81:82], off
.LBB6_173:                              ;   in Loop: Header=BB6_132 Depth=1
	s_or_b32 exec_lo, exec_lo, s1
	v_dual_mov_b32 v83, 0 :: v_dual_mov_b32 v84, 0
	s_mov_b32 s12, 0
	s_mov_b32 s1, exec_lo
	v_cmpx_gt_i32_e64 s8, v120
	s_cbranch_execz .LBB6_175
; %bb.174:                              ;   in Loop: Header=BB6_132 Depth=1
	v_add_co_u32 v83, vcc_lo, v134, v122
	v_add_co_ci_u32_e32 v84, vcc_lo, v135, v123, vcc_lo
	global_load_b64 v[83:84], v[83:84], off
.LBB6_175:                              ;   in Loop: Header=BB6_132 Depth=1
	s_or_b32 exec_lo, exec_lo, s1
	v_cmp_gt_i32_e64 s1, s8, v121
	s_mov_b32 s9, 0
	s_and_b32 vcc_lo, exec_lo, s12
	s_cbranch_vccnz .LBB6_177
	s_branch .LBB6_178
.LBB6_176:                              ;   in Loop: Header=BB6_132 Depth=1
	s_mov_b32 s1, 0
                                        ; implicit-def: $vgpr80
                                        ; implicit-def: $vgpr82
                                        ; implicit-def: $vgpr84
                                        ; implicit-def: $sgpr9
	s_cbranch_execz .LBB6_178
.LBB6_177:                              ;   in Loop: Header=BB6_132 Depth=1
	s_waitcnt vmcnt(0)
	v_add_co_u32 v81, vcc_lo, v138, v122
	v_add_co_ci_u32_e32 v82, vcc_lo, v139, v123, vcc_lo
	v_add_co_u32 v83, vcc_lo, v130, v122
	v_add_co_ci_u32_e32 v84, vcc_lo, v131, v123, vcc_lo
	global_load_b64 v[79:80], v[85:86], off
	global_load_b64 v[81:82], v[81:82], off
	global_load_b64 v[83:84], v[83:84], off offset:-4
	s_or_b32 s1, s1, exec_lo
                                        ; implicit-def: $sgpr9
.LBB6_178:                              ;   in Loop: Header=BB6_132 Depth=1
	v_dual_mov_b32 v85, s9 :: v_dual_mov_b32 v86, s9
	s_and_saveexec_b32 s9, s1
	s_cbranch_execz .LBB6_180
; %bb.179:                              ;   in Loop: Header=BB6_132 Depth=1
	v_add_co_u32 v85, vcc_lo, v126, v122
	v_add_co_ci_u32_e32 v86, vcc_lo, v127, v123, vcc_lo
	global_load_b64 v[85:86], v[85:86], off
.LBB6_180:                              ;   in Loop: Header=BB6_132 Depth=1
	s_or_b32 exec_lo, exec_lo, s9
	ds_load_b64 v[89:90], v101
	ds_load_b64 v[87:88], v108 offset:384
	v_cmp_gt_i32_e32 vcc_lo, s8, v25
	v_add_f32_e32 v20, 0, v20
	v_add_f32_e32 v12, 0, v12
	;; [unrolled: 1-line block ×3, first 2 shown]
	s_or_b32 s1, s5, vcc_lo
	s_delay_alu instid0(SALU_CYCLE_1) | instskip(NEXT) | instid1(VALU_DEP_2)
	s_and_b32 s5, s0, s1
	v_add_f32_e32 v12, v12, v14
	s_delay_alu instid0(VALU_DEP_2) | instskip(NEXT) | instid1(VALU_DEP_2)
	v_add_f32_e32 v4, v4, v6
	v_dual_add_f32 v8, v12, v8 :: v_dual_add_f32 v5, 0, v5
	s_waitcnt vmcnt(0) lgkmcnt(1)
	v_mul_f32_e32 v29, v80, v89
	v_dual_mul_f32 v91, v80, v90 :: v_dual_mul_f32 v170, v86, v89
	v_dual_mul_f32 v165, v82, v90 :: v_dual_mul_f32 v94, v84, v89
	v_mul_f32_e32 v93, v82, v89
	v_mul_f32_e32 v167, v84, v90
	v_fma_f32 v92, v79, v90, -v29
	v_add_f32_e32 v29, v20, v22
	v_mul_f32_e32 v169, v86, v90
	v_fmac_f32_e32 v91, v79, v89
	v_fmac_f32_e32 v165, v81, v89
	v_fma_f32 v166, v81, v90, -v93
	v_fmac_f32_e32 v167, v83, v89
	v_fma_f32 v168, v83, v90, -v94
	v_fma_f32 v170, v85, v90, -v170
	v_add_f32_e32 v6, v29, v16
	v_fmac_f32_e32 v169, v85, v89
	ds_store_b64 v109, v[91:92]
	ds_load_b64 v[93:94], v108 offset:392
	ds_store_b64 v109, v[165:166] offset:536
	ds_load_b64 v[91:92], v108 offset:400
	ds_store_b64 v109, v[167:168] offset:1072
	;; [unrolled: 2-line block ×3, first 2 shown]
	s_waitcnt lgkmcnt(0)
	s_barrier
	buffer_gl0_inv
	ds_load_2addr_b64 v[165:168], v104 offset1:1
	v_add_f32_e32 v21, 0, v21
	v_add_f32_e32 v13, 0, v13
	s_delay_alu instid0(VALU_DEP_2)
	v_add_f32_e32 v169, v21, v23
	ds_load_2addr_b64 v[20:23], v104 offset0:2 offset1:3
	v_add_f32_e32 v13, v13, v15
	s_waitcnt lgkmcnt(0)
	s_barrier
	buffer_gl0_inv
	v_add_f32_e32 v9, v13, v9
	v_add_f32_e32 v13, v4, v0
	v_dual_add_f32 v4, v8, v10 :: v_dual_add_f32 v5, v5, v7
	v_add_f32_e32 v0, v6, v18
	s_delay_alu instid0(VALU_DEP_3) | instskip(SKIP_1) | instid1(VALU_DEP_4)
	v_add_f32_e32 v2, v13, v2
	v_add_f32_e32 v12, 0, v165
	v_dual_add_f32 v14, 0, v166 :: v_dual_add_f32 v15, v5, v1
	s_delay_alu instid0(VALU_DEP_1) | instskip(NEXT) | instid1(VALU_DEP_1)
	v_dual_add_f32 v5, v12, v167 :: v_dual_add_f32 v12, v14, v168
	v_dual_add_f32 v3, v15, v3 :: v_dual_add_f32 v6, v5, v20
	s_delay_alu instid0(VALU_DEP_1) | instskip(SKIP_1) | instid1(VALU_DEP_1)
	v_dual_add_f32 v5, v9, v11 :: v_dual_add_f32 v6, v6, v22
	v_add_f32_e32 v7, v169, v17
	v_add_f32_e32 v1, v7, v19
	;; [unrolled: 1-line block ×3, first 2 shown]
	s_delay_alu instid0(VALU_DEP_1)
	v_add_f32_e32 v7, v7, v23
	ds_store_2addr_b64 v164, v[2:3], v[4:5] offset1:16
	ds_store_2addr_b64 v164, v[0:1], v[6:7] offset0:32 offset1:48
	s_waitcnt lgkmcnt(0)
	s_barrier
	buffer_gl0_inv
	s_and_saveexec_b32 s1, s5
	s_cbranch_execz .LBB6_182
; %bb.181:                              ;   in Loop: Header=BB6_132 Depth=1
	ds_load_b64 v[11:12], v102
	ds_load_2addr_b64 v[0:3], v102 offset0:1 offset1:2
	ds_load_2addr_b64 v[4:7], v102 offset0:3 offset1:4
	v_ashrrev_i32_e32 v29, 31, v28
	s_waitcnt lgkmcnt(1)
	v_dual_add_f32 v0, v0, v11 :: v_dual_add_f32 v1, v1, v12
	ds_load_2addr_b64 v[8:11], v102 offset0:5 offset1:6
	v_add_f32_e32 v0, v0, v2
	v_add_f32_e32 v12, v1, v3
	s_waitcnt lgkmcnt(1)
	s_delay_alu instid0(VALU_DEP_2) | instskip(SKIP_3) | instid1(VALU_DEP_2)
	v_add_f32_e32 v4, v0, v4
	ds_load_2addr_b64 v[0:3], v102 offset0:7 offset1:8
	v_add_f32_e32 v5, v12, v5
	v_add_f32_e32 v4, v4, v6
	;; [unrolled: 1-line block ×3, first 2 shown]
	s_waitcnt lgkmcnt(1)
	s_delay_alu instid0(VALU_DEP_2) | instskip(SKIP_3) | instid1(VALU_DEP_2)
	v_add_f32_e32 v8, v4, v8
	ds_load_2addr_b64 v[4:7], v102 offset0:9 offset1:10
	v_add_f32_e32 v9, v12, v9
	v_add_f32_e32 v8, v8, v10
	;; [unrolled: 1-line block ×3, first 2 shown]
	s_waitcnt lgkmcnt(1)
	s_delay_alu instid0(VALU_DEP_2) | instskip(SKIP_4) | instid1(VALU_DEP_1)
	v_add_f32_e32 v0, v8, v0
	ds_load_2addr_b64 v[8:11], v102 offset0:11 offset1:12
	v_add_f32_e32 v1, v12, v1
	v_add_f32_e32 v12, v0, v2
	s_waitcnt lgkmcnt(1)
	v_add_f32_e32 v4, v12, v4
	s_delay_alu instid0(VALU_DEP_1) | instskip(SKIP_1) | instid1(VALU_DEP_1)
	v_add_f32_e32 v6, v4, v6
	s_waitcnt lgkmcnt(0)
	v_add_f32_e32 v6, v6, v8
	s_delay_alu instid0(VALU_DEP_1) | instskip(SKIP_2) | instid1(VALU_DEP_1)
	v_dual_add_f32 v6, v6, v10 :: v_dual_add_f32 v13, v1, v3
	ds_load_2addr_b64 v[0:3], v102 offset0:13 offset1:14
	v_add_f32_e32 v5, v13, v5
	v_add_f32_e32 v7, v5, v7
	ds_load_b64 v[4:5], v103
	v_add_f32_e32 v7, v7, v9
	s_waitcnt lgkmcnt(1)
	s_delay_alu instid0(VALU_DEP_1) | instskip(NEXT) | instid1(VALU_DEP_1)
	v_dual_add_f32 v7, v7, v11 :: v_dual_add_f32 v0, v6, v0
	v_dual_add_f32 v1, v7, v1 :: v_dual_add_f32 v2, v0, v2
	s_delay_alu instid0(VALU_DEP_1) | instskip(SKIP_2) | instid1(VALU_DEP_2)
	v_add_f32_e32 v3, v1, v3
	v_lshlrev_b64 v[0:1], 3, v[28:29]
	s_waitcnt lgkmcnt(0)
	v_dual_add_f32 v2, v2, v4 :: v_dual_add_f32 v3, v3, v5
	s_delay_alu instid0(VALU_DEP_2) | instskip(NEXT) | instid1(VALU_DEP_3)
	v_add_co_u32 v0, vcc_lo, s3, v0
	v_add_co_ci_u32_e32 v1, vcc_lo, s11, v1, vcc_lo
	global_store_b64 v[0:1], v[2:3], off
.LBB6_182:                              ;   in Loop: Header=BB6_132 Depth=1
	s_or_b32 exec_lo, exec_lo, s1
	v_dual_mul_f32 v0, v32, v40 :: v_dual_mul_f32 v3, v33, v46
	v_dual_mul_f32 v1, v31, v40 :: v_dual_mul_f32 v2, v34, v46
	;; [unrolled: 1-line block ×3, first 2 shown]
	s_delay_alu instid0(VALU_DEP_3) | instskip(SKIP_1) | instid1(VALU_DEP_4)
	v_fma_f32 v0, v31, v39, -v0
	v_dual_mul_f32 v5, v35, v44 :: v_dual_mul_f32 v6, v38, v42
	v_fma_f32 v2, v33, v45, -v2
	s_delay_alu instid0(VALU_DEP_3) | instskip(SKIP_2) | instid1(VALU_DEP_3)
	v_dual_fmac_f32 v1, v32, v39 :: v_dual_add_f32 v0, v26, v0
	v_mul_f32_e32 v9, v49, v56
	v_fma_f32 v4, v35, v43, -v4
	v_dual_mul_f32 v8, v50, v56 :: v_dual_add_f32 v1, v27, v1
	s_delay_alu instid0(VALU_DEP_4) | instskip(SKIP_3) | instid1(VALU_DEP_4)
	v_add_f32_e32 v0, v0, v2
	v_dual_mul_f32 v2, v48, v62 :: v_dual_fmac_f32 v3, v34, v45
	v_fma_f32 v6, v37, v41, -v6
	v_fmac_f32_e32 v5, v36, v43
	v_add_f32_e32 v0, v0, v4
	s_delay_alu instid0(VALU_DEP_4) | instskip(SKIP_1) | instid1(VALU_DEP_3)
	v_dual_mul_f32 v4, v47, v62 :: v_dual_add_f32 v1, v1, v3
	v_fma_f32 v3, v49, v55, -v8
	v_dual_fmac_f32 v7, v38, v41 :: v_dual_add_f32 v0, v0, v6
	s_delay_alu instid0(VALU_DEP_3) | instskip(SKIP_2) | instid1(VALU_DEP_4)
	v_dual_mul_f32 v6, v52, v60 :: v_dual_add_f32 v1, v1, v5
	v_fma_f32 v2, v47, v61, -v2
	v_fmac_f32_e32 v4, v48, v61
	v_dual_add_f32 v0, v0, v3 :: v_dual_mul_f32 v3, v54, v58
	v_fmac_f32_e32 v9, v50, v55
	v_add_f32_e32 v1, v1, v7
	v_fma_f32 v5, v51, v59, -v6
	s_delay_alu instid0(VALU_DEP_4) | instskip(SKIP_4) | instid1(VALU_DEP_4)
	v_add_f32_e32 v0, v0, v2
	v_mul_f32_e32 v2, v51, v60
	v_fma_f32 v3, v53, v57, -v3
	v_add_f32_e32 v1, v1, v9
	v_add_co_u32 v124, vcc_lo, v124, s6
	v_fmac_f32_e32 v2, v52, v59
	v_dual_add_f32 v0, v0, v5 :: v_dual_mul_f32 v5, v66, v72
	s_delay_alu instid0(VALU_DEP_4) | instskip(SKIP_2) | instid1(VALU_DEP_3)
	v_add_f32_e32 v1, v1, v4
	v_mul_f32_e32 v4, v53, v58
	v_add_co_ci_u32_e32 v125, vcc_lo, s7, v125, vcc_lo
	v_dual_add_f32 v0, v0, v3 :: v_dual_add_f32 v1, v1, v2
	v_fma_f32 v3, v65, v71, -v5
	v_mul_f32_e32 v5, v64, v78
	v_add_co_u32 v126, vcc_lo, v126, s6
	v_add_co_ci_u32_e32 v127, vcc_lo, s7, v127, vcc_lo
	s_delay_alu instid0(VALU_DEP_4) | instskip(NEXT) | instid1(VALU_DEP_4)
	v_add_f32_e32 v0, v0, v3
	v_fma_f32 v3, v63, v77, -v5
	v_dual_mul_f32 v5, v68, v76 :: v_dual_fmac_f32 v4, v54, v57
	v_add_co_u32 v128, vcc_lo, v128, s6
	v_add_co_ci_u32_e32 v129, vcc_lo, s7, v129, vcc_lo
	s_delay_alu instid0(VALU_DEP_3)
	v_add_f32_e32 v1, v1, v4
	v_mul_f32_e32 v2, v65, v72
	v_add_f32_e32 v0, v0, v3
	v_fma_f32 v3, v67, v75, -v5
	v_mul_f32_e32 v5, v70, v74
	v_add_co_u32 v130, vcc_lo, v130, s6
	v_add_co_ci_u32_e32 v131, vcc_lo, s7, v131, vcc_lo
	v_add_co_u32 v132, vcc_lo, v132, s6
	v_add_f32_e32 v0, v0, v3
	v_fma_f32 v3, v69, v73, -v5
	v_mul_f32_e32 v5, v69, v74
	v_mul_f32_e32 v4, v63, v78
	v_add_co_ci_u32_e32 v133, vcc_lo, s7, v133, vcc_lo
	v_add_co_u32 v134, vcc_lo, v134, s6
	s_delay_alu instid0(VALU_DEP_4)
	v_fmac_f32_e32 v5, v70, v73
	v_add_co_ci_u32_e32 v135, vcc_lo, s7, v135, vcc_lo
	v_add_co_u32 v136, vcc_lo, v136, s6
	v_fmac_f32_e32 v4, v64, v77
	v_fmac_f32_e32 v2, v66, v71
	v_add_co_ci_u32_e32 v137, vcc_lo, s7, v137, vcc_lo
	v_add_co_u32 v138, vcc_lo, v138, s6
	v_add_co_ci_u32_e32 v139, vcc_lo, s7, v139, vcc_lo
	s_delay_alu instid0(VALU_DEP_4) | instskip(SKIP_3) | instid1(VALU_DEP_4)
	v_dual_add_f32 v1, v1, v2 :: v_dual_mul_f32 v2, v67, v76
	v_add_co_u32 v140, vcc_lo, v140, s6
	v_add_co_ci_u32_e32 v141, vcc_lo, s7, v141, vcc_lo
	v_add_co_u32 v142, vcc_lo, v142, s6
	v_add_f32_e32 v1, v1, v4
	v_mul_f32_e32 v4, v80, v88
	v_dual_add_f32 v0, v0, v3 :: v_dual_mul_f32 v3, v82, v94
	v_fmac_f32_e32 v2, v68, v75
	v_add_co_ci_u32_e32 v143, vcc_lo, s7, v143, vcc_lo
	v_add_co_u32 v144, vcc_lo, v144, s6
	v_add_co_ci_u32_e32 v145, vcc_lo, s7, v145, vcc_lo
	v_add_co_u32 v146, vcc_lo, v146, s6
	v_add_f32_e32 v1, v1, v2
	v_fma_f32 v2, v79, v87, -v4
	v_mul_f32_e32 v4, v79, v88
	v_add_co_ci_u32_e32 v147, vcc_lo, s7, v147, vcc_lo
	v_add_co_u32 v148, vcc_lo, v148, s6
	v_add_co_ci_u32_e32 v149, vcc_lo, s7, v149, vcc_lo
	s_delay_alu instid0(VALU_DEP_4)
	v_dual_add_f32 v1, v1, v5 :: v_dual_fmac_f32 v4, v80, v87
	v_add_f32_e32 v0, v0, v2
	v_fma_f32 v2, v81, v93, -v3
	v_mul_f32_e32 v3, v81, v94
	v_dual_mul_f32 v5, v84, v92 :: v_dual_mul_f32 v6, v85, v90
	v_add_co_u32 v150, vcc_lo, v150, s6
	v_add_co_ci_u32_e32 v151, vcc_lo, s7, v151, vcc_lo
	v_add_co_u32 v152, vcc_lo, v152, s6
	v_fmac_f32_e32 v3, v82, v93
	v_dual_add_f32 v1, v1, v4 :: v_dual_add_f32 v0, v0, v2
	v_fmac_f32_e32 v6, v86, v89
	v_mul_f32_e32 v2, v83, v92
	v_add_co_ci_u32_e32 v153, vcc_lo, s7, v153, vcc_lo
	v_add_co_u32 v154, vcc_lo, v154, s6
	v_add_co_ci_u32_e32 v155, vcc_lo, s7, v155, vcc_lo
	v_add_co_u32 v156, vcc_lo, v156, s6
	v_fma_f32 v4, v83, v91, -v5
	v_dual_mul_f32 v5, v86, v90 :: v_dual_fmac_f32 v2, v84, v91
	v_add_f32_e32 v1, v1, v3
	v_add_co_ci_u32_e32 v157, vcc_lo, s7, v157, vcc_lo
	v_add_co_u32 v158, vcc_lo, v158, s6
	v_add_co_ci_u32_e32 v159, vcc_lo, s7, v159, vcc_lo
	v_add_f32_e32 v0, v0, v4
	v_fma_f32 v3, v85, v89, -v5
	v_add_f32_e32 v1, v1, v2
	v_add_co_u32 v160, vcc_lo, v160, s6
	v_add_co_ci_u32_e32 v161, vcc_lo, s7, v161, vcc_lo
	s_delay_alu instid0(VALU_DEP_3)
	v_add_f32_e32 v27, v1, v6
	v_add_co_u32 v162, vcc_lo, v162, s6
	v_add_f32_e32 v26, v0, v3
	v_add_nc_u32_e32 v28, 64, v28
	v_add_co_ci_u32_e32 v163, vcc_lo, s7, v163, vcc_lo
	s_add_i32 s5, s14, 2
	s_add_i32 s1, s14, 1
	s_add_i32 s4, s4, s29
	s_cmp_ge_u32 s5, s26
	s_waitcnt_vscnt null, 0x0
	s_barrier
	buffer_gl0_inv
	s_cbranch_scc1 .LBB6_184
; %bb.183:                              ;   in Loop: Header=BB6_132 Depth=1
	s_mov_b32 s14, s1
	s_delay_alu instid0(SALU_CYCLE_1)
	s_cmp_eq_u32 s15, s14
	s_cselect_b32 s8, s27, 0
	s_and_saveexec_b32 s1, s2
	s_cbranch_execnz .LBB6_128
	s_branch .LBB6_132
.LBB6_184:
	v_cmp_gt_i32_e32 vcc_lo, s10, v25
	v_mad_u32_u24 v0, 0x218, v95, v96
	s_or_b32 s0, s28, vcc_lo
	ds_store_b64 v0, v[26:27]
	s_and_b32 s0, s2, s0
	s_waitcnt lgkmcnt(0)
	s_barrier
	buffer_gl0_inv
	s_and_saveexec_b32 s1, s0
	s_cbranch_execz .LBB6_186
; %bb.185:
	ds_load_2addr_b64 v[0:3], v96 offset1:67
	ds_load_2addr_b64 v[4:7], v96 offset0:134 offset1:201
	v_ashrrev_i32_e32 v25, 31, v24
	s_waitcnt lgkmcnt(1)
	v_dual_add_f32 v0, v2, v0 :: v_dual_add_f32 v1, v3, v1
	s_waitcnt lgkmcnt(0)
	s_delay_alu instid0(VALU_DEP_1) | instskip(SKIP_1) | instid1(VALU_DEP_2)
	v_dual_add_f32 v2, v0, v4 :: v_dual_add_f32 v3, v1, v5
	v_lshlrev_b64 v[0:1], 3, v[24:25]
	v_dual_add_f32 v2, v2, v6 :: v_dual_add_f32 v3, v3, v7
	s_delay_alu instid0(VALU_DEP_2) | instskip(NEXT) | instid1(VALU_DEP_3)
	v_add_co_u32 v0, vcc_lo, s3, v0
	v_add_co_ci_u32_e32 v1, vcc_lo, s11, v1, vcc_lo
	global_store_b64 v[0:1], v[2:3], off
.LBB6_186:
	s_nop 0
	s_sendmsg sendmsg(MSG_DEALLOC_VGPRS)
	s_endpgm
	.section	.rodata,"a",@progbits
	.p2align	6, 0x0
	.amdhsa_kernel _ZL26rocblas_hemvn_kernel_upperILb1ELi64ELi4ELi33ELi32ELi16Ei19rocblas_complex_numIfEPKS1_PS1_EviT6_lT7_lT5_lS6_lS7_lS5_lT8_i
		.amdhsa_group_segment_fixed_size 9600
		.amdhsa_private_segment_fixed_size 0
		.amdhsa_kernarg_size 376
		.amdhsa_user_sgpr_count 14
		.amdhsa_user_sgpr_dispatch_ptr 0
		.amdhsa_user_sgpr_queue_ptr 0
		.amdhsa_user_sgpr_kernarg_segment_ptr 1
		.amdhsa_user_sgpr_dispatch_id 0
		.amdhsa_user_sgpr_private_segment_size 0
		.amdhsa_wavefront_size32 1
		.amdhsa_uses_dynamic_stack 0
		.amdhsa_enable_private_segment 0
		.amdhsa_system_sgpr_workgroup_id_x 1
		.amdhsa_system_sgpr_workgroup_id_y 0
		.amdhsa_system_sgpr_workgroup_id_z 1
		.amdhsa_system_sgpr_workgroup_info 0
		.amdhsa_system_vgpr_workitem_id 1
		.amdhsa_next_free_vgpr 171
		.amdhsa_next_free_sgpr 35
		.amdhsa_reserve_vcc 1
		.amdhsa_float_round_mode_32 0
		.amdhsa_float_round_mode_16_64 0
		.amdhsa_float_denorm_mode_32 3
		.amdhsa_float_denorm_mode_16_64 3
		.amdhsa_dx10_clamp 1
		.amdhsa_ieee_mode 1
		.amdhsa_fp16_overflow 0
		.amdhsa_workgroup_processor_mode 1
		.amdhsa_memory_ordered 1
		.amdhsa_forward_progress 0
		.amdhsa_shared_vgpr_count 0
		.amdhsa_exception_fp_ieee_invalid_op 0
		.amdhsa_exception_fp_denorm_src 0
		.amdhsa_exception_fp_ieee_div_zero 0
		.amdhsa_exception_fp_ieee_overflow 0
		.amdhsa_exception_fp_ieee_underflow 0
		.amdhsa_exception_fp_ieee_inexact 0
		.amdhsa_exception_int_div_zero 0
	.end_amdhsa_kernel
	.section	.text._ZL26rocblas_hemvn_kernel_upperILb1ELi64ELi4ELi33ELi32ELi16Ei19rocblas_complex_numIfEPKS1_PS1_EviT6_lT7_lT5_lS6_lS7_lS5_lT8_i,"axG",@progbits,_ZL26rocblas_hemvn_kernel_upperILb1ELi64ELi4ELi33ELi32ELi16Ei19rocblas_complex_numIfEPKS1_PS1_EviT6_lT7_lT5_lS6_lS7_lS5_lT8_i,comdat
.Lfunc_end6:
	.size	_ZL26rocblas_hemvn_kernel_upperILb1ELi64ELi4ELi33ELi32ELi16Ei19rocblas_complex_numIfEPKS1_PS1_EviT6_lT7_lT5_lS6_lS7_lS5_lT8_i, .Lfunc_end6-_ZL26rocblas_hemvn_kernel_upperILb1ELi64ELi4ELi33ELi32ELi16Ei19rocblas_complex_numIfEPKS1_PS1_EviT6_lT7_lT5_lS6_lS7_lS5_lT8_i
                                        ; -- End function
	.section	.AMDGPU.csdata,"",@progbits
; Kernel info:
; codeLenInByte = 10680
; NumSgprs: 37
; NumVgprs: 171
; ScratchSize: 0
; MemoryBound: 1
; FloatMode: 240
; IeeeMode: 1
; LDSByteSize: 9600 bytes/workgroup (compile time only)
; SGPRBlocks: 4
; VGPRBlocks: 21
; NumSGPRsForWavesPerEU: 37
; NumVGPRsForWavesPerEU: 171
; Occupancy: 8
; WaveLimiterHint : 1
; COMPUTE_PGM_RSRC2:SCRATCH_EN: 0
; COMPUTE_PGM_RSRC2:USER_SGPR: 14
; COMPUTE_PGM_RSRC2:TRAP_HANDLER: 0
; COMPUTE_PGM_RSRC2:TGID_X_EN: 1
; COMPUTE_PGM_RSRC2:TGID_Y_EN: 0
; COMPUTE_PGM_RSRC2:TGID_Z_EN: 1
; COMPUTE_PGM_RSRC2:TIDIG_COMP_CNT: 1
	.section	.text._ZL36rocblas_hemvn_kernel_upper_block_sumILi64Ei19rocblas_complex_numIfEPS1_S1_EviT1_lS3_lT2_lT0_lPT3_i,"axG",@progbits,_ZL36rocblas_hemvn_kernel_upper_block_sumILi64Ei19rocblas_complex_numIfEPS1_S1_EviT1_lS3_lT2_lT0_lPT3_i,comdat
	.globl	_ZL36rocblas_hemvn_kernel_upper_block_sumILi64Ei19rocblas_complex_numIfEPS1_S1_EviT1_lS3_lT2_lT0_lPT3_i ; -- Begin function _ZL36rocblas_hemvn_kernel_upper_block_sumILi64Ei19rocblas_complex_numIfEPS1_S1_EviT1_lS3_lT2_lT0_lPT3_i
	.p2align	8
	.type	_ZL36rocblas_hemvn_kernel_upper_block_sumILi64Ei19rocblas_complex_numIfEPS1_S1_EviT1_lS3_lT2_lT0_lPT3_i,@function
_ZL36rocblas_hemvn_kernel_upper_block_sumILi64Ei19rocblas_complex_numIfEPS1_S1_EviT1_lS3_lT2_lT0_lPT3_i: ; @_ZL36rocblas_hemvn_kernel_upper_block_sumILi64Ei19rocblas_complex_numIfEPS1_S1_EviT1_lS3_lT2_lT0_lPT3_i
; %bb.0:
	s_clause 0x1
	s_load_b128 s[4:7], s[0:1], 0x0
	s_load_b64 s[12:13], s[0:1], 0x18
	s_waitcnt lgkmcnt(0)
	s_or_b32 s2, s5, s6
	s_delay_alu instid0(SALU_CYCLE_1) | instskip(NEXT) | instid1(SALU_CYCLE_1)
	s_bitset0_b32 s2, 31
	s_cmp_eq_u32 s2, 0
	s_cselect_b32 s17, -1, 0
	s_cmp_lg_u32 s2, 0
	s_mov_b32 s2, -1
	s_cbranch_scc1 .LBB7_2
; %bb.1:
	v_cmp_neq_f32_e64 s2, s12, 1.0
	v_cmp_neq_f32_e64 s3, s13, 0
	s_delay_alu instid0(VALU_DEP_1)
	s_or_b32 s2, s2, s3
.LBB7_2:
	s_delay_alu instid0(SALU_CYCLE_1)
	s_and_not1_b32 vcc_lo, exec_lo, s2
	s_cbranch_vccnz .LBB7_19
; %bb.3:
	s_clause 0x2
	s_load_b128 s[8:11], s[0:1], 0x40
	s_load_b128 s[20:23], s[0:1], 0x28
	s_load_b32 s16, s[0:1], 0x38
	v_lshl_or_b32 v0, s14, 6, v0
	s_waitcnt lgkmcnt(0)
	s_mul_i32 s3, s15, s9
	s_mul_hi_u32 s7, s15, s8
	s_mul_i32 s2, s15, s8
	s_add_i32 s3, s7, s3
	s_delay_alu instid0(SALU_CYCLE_1) | instskip(NEXT) | instid1(SALU_CYCLE_1)
	s_lshl_b64 s[2:3], s[2:3], 3
	s_add_u32 s7, s20, s2
	s_addc_u32 s18, s21, s3
	s_lshl_b64 s[8:9], s[22:23], 3
	v_cmp_gt_i32_e64 s2, s4, v0
	s_add_u32 s3, s7, s8
	s_addc_u32 s7, s18, s9
	s_and_not1_b32 vcc_lo, exec_lo, s17
	s_mov_b32 s8, -1
	s_cbranch_vccnz .LBB7_9
; %bb.4:
	s_and_saveexec_b32 s8, s2
	s_cbranch_execz .LBB7_8
; %bb.5:
	v_mul_lo_u32 v1, v0, s16
	v_cmp_neq_f32_e64 s2, s12, 0
	v_cmp_neq_f32_e64 s9, s13, 0
	v_dual_mov_b32 v3, 0 :: v_dual_mov_b32 v4, 0
	s_delay_alu instid0(VALU_DEP_2) | instskip(NEXT) | instid1(VALU_DEP_4)
	s_or_b32 s2, s2, s9
	v_ashrrev_i32_e32 v2, 31, v1
	s_and_not1_b32 vcc_lo, exec_lo, s2
	s_delay_alu instid0(VALU_DEP_1)
	v_lshlrev_b64 v[1:2], 3, v[1:2]
	s_cbranch_vccnz .LBB7_7
; %bb.6:
	s_delay_alu instid0(VALU_DEP_1) | instskip(NEXT) | instid1(VALU_DEP_2)
	v_add_co_u32 v3, vcc_lo, s3, v1
	v_add_co_ci_u32_e32 v4, vcc_lo, s7, v2, vcc_lo
	global_load_b64 v[5:6], v[3:4], off
	s_waitcnt vmcnt(0)
	v_mul_f32_e32 v4, s12, v6
	s_delay_alu instid0(VALU_DEP_1) | instskip(NEXT) | instid1(VALU_DEP_1)
	v_dual_mul_f32 v3, s13, v6 :: v_dual_fmac_f32 v4, s13, v5
	v_fma_f32 v3, v5, s12, -v3
.LBB7_7:
	s_delay_alu instid0(VALU_DEP_1) | instskip(NEXT) | instid1(VALU_DEP_2)
	v_add_co_u32 v1, vcc_lo, s3, v1
	v_add_co_ci_u32_e32 v2, vcc_lo, s7, v2, vcc_lo
	global_store_b64 v[1:2], v[3:4], off
.LBB7_8:
	s_or_b32 exec_lo, exec_lo, s8
	s_mov_b32 s8, 0
.LBB7_9:
	s_delay_alu instid0(SALU_CYCLE_1)
	s_and_not1_b32 vcc_lo, exec_lo, s8
	s_cbranch_vccnz .LBB7_19
; %bb.10:
	s_mov_b32 s2, exec_lo
	v_cmpx_gt_i32_e64 s4, v0
	s_cbranch_execz .LBB7_19
; %bb.11:
	v_dual_mov_b32 v1, 0 :: v_dual_mov_b32 v4, 0
	s_cmp_lt_i32 s14, 0
	s_cbranch_scc1 .LBB7_14
; %bb.12:
	s_load_b32 s0, s[0:1], 0x58
	s_ashr_i32 s1, s4, 31
	s_mul_hi_u32 s2, s4, s15
	s_mul_i32 s8, s1, s15
	v_mov_b32_e32 v1, 0
	s_add_i32 s2, s2, s8
	s_mul_i32 s8, s4, s15
	s_delay_alu instid0(VALU_DEP_1)
	v_lshlrev_b64 v[2:3], 3, v[0:1]
	v_mov_b32_e32 v4, v1
	s_waitcnt lgkmcnt(0)
	s_mul_i32 s2, s2, s0
	s_mul_hi_u32 s9, s8, s0
	s_mul_i32 s8, s8, s0
	s_add_i32 s9, s9, s2
	s_add_i32 s2, s14, 1
	s_lshl_b64 s[8:9], s[8:9], 3
	s_delay_alu instid0(SALU_CYCLE_1) | instskip(SKIP_4) | instid1(VALU_DEP_2)
	s_add_u32 s0, s10, s8
	s_addc_u32 s8, s11, s9
	v_add_co_u32 v2, vcc_lo, s0, v2
	v_add_co_ci_u32_e32 v3, vcc_lo, s8, v3, vcc_lo
	s_mov_b32 s0, s4
	v_add_co_u32 v2, vcc_lo, v2, 4
	s_delay_alu instid0(VALU_DEP_2)
	v_add_co_ci_u32_e32 v3, vcc_lo, 0, v3, vcc_lo
	s_lshl_b64 s[0:1], s[0:1], 3
.LBB7_13:                               ; =>This Inner Loop Header: Depth=1
	global_load_b64 v[5:6], v[2:3], off offset:-4
	v_add_co_u32 v2, vcc_lo, v2, s0
	v_add_co_ci_u32_e32 v3, vcc_lo, s1, v3, vcc_lo
	s_add_i32 s2, s2, -1
	s_delay_alu instid0(SALU_CYCLE_1)
	s_cmp_eq_u32 s2, 0
	s_waitcnt vmcnt(0)
	v_dual_add_f32 v4, v4, v5 :: v_dual_add_f32 v1, v1, v6
	s_cbranch_scc0 .LBB7_13
.LBB7_14:
	v_mul_lo_u32 v2, v0, s16
	s_delay_alu instid0(VALU_DEP_2) | instskip(SKIP_3) | instid1(VALU_DEP_3)
	v_mul_f32_e32 v0, s6, v1
	v_mul_f32_e32 v1, s5, v1
	v_cmp_neq_f32_e64 s0, s12, 0
	v_cmp_neq_f32_e64 s1, s13, 0
	v_fmac_f32_e32 v1, s6, v4
	v_fma_f32 v0, v4, s5, -v0
	v_ashrrev_i32_e32 v3, 31, v2
	s_delay_alu instid0(VALU_DEP_4) | instskip(NEXT) | instid1(SALU_CYCLE_1)
	s_or_b32 s0, s0, s1
	s_and_not1_b32 vcc_lo, exec_lo, s0
	s_mov_b32 s0, 0
	s_cbranch_vccnz .LBB7_16
; %bb.15:
	s_mov_b32 s0, -1
.LBB7_16:
	s_delay_alu instid0(SALU_CYCLE_1)
	s_and_not1_b32 vcc_lo, exec_lo, s0
	s_cbranch_vccnz .LBB7_18
; %bb.17:
	v_lshlrev_b64 v[4:5], 3, v[2:3]
	s_delay_alu instid0(VALU_DEP_1) | instskip(NEXT) | instid1(VALU_DEP_2)
	v_add_co_u32 v4, vcc_lo, s3, v4
	v_add_co_ci_u32_e32 v5, vcc_lo, s7, v5, vcc_lo
	global_load_b64 v[4:5], v[4:5], off
	s_waitcnt vmcnt(0)
	v_mul_f32_e32 v6, s13, v5
	v_mul_f32_e32 v5, s12, v5
	s_delay_alu instid0(VALU_DEP_1) | instskip(NEXT) | instid1(VALU_DEP_3)
	v_fmac_f32_e32 v5, s13, v4
	v_fma_f32 v6, v4, s12, -v6
	s_delay_alu instid0(VALU_DEP_1)
	v_dual_add_f32 v1, v1, v5 :: v_dual_add_f32 v0, v0, v6
.LBB7_18:
	v_lshlrev_b64 v[2:3], 3, v[2:3]
	s_delay_alu instid0(VALU_DEP_1) | instskip(NEXT) | instid1(VALU_DEP_2)
	v_add_co_u32 v2, vcc_lo, s3, v2
	v_add_co_ci_u32_e32 v3, vcc_lo, s7, v3, vcc_lo
	global_store_b64 v[2:3], v[0:1], off
.LBB7_19:
	s_nop 0
	s_sendmsg sendmsg(MSG_DEALLOC_VGPRS)
	s_endpgm
	.section	.rodata,"a",@progbits
	.p2align	6, 0x0
	.amdhsa_kernel _ZL36rocblas_hemvn_kernel_upper_block_sumILi64Ei19rocblas_complex_numIfEPS1_S1_EviT1_lS3_lT2_lT0_lPT3_i
		.amdhsa_group_segment_fixed_size 0
		.amdhsa_private_segment_fixed_size 0
		.amdhsa_kernarg_size 344
		.amdhsa_user_sgpr_count 14
		.amdhsa_user_sgpr_dispatch_ptr 0
		.amdhsa_user_sgpr_queue_ptr 0
		.amdhsa_user_sgpr_kernarg_segment_ptr 1
		.amdhsa_user_sgpr_dispatch_id 0
		.amdhsa_user_sgpr_private_segment_size 0
		.amdhsa_wavefront_size32 1
		.amdhsa_uses_dynamic_stack 0
		.amdhsa_enable_private_segment 0
		.amdhsa_system_sgpr_workgroup_id_x 1
		.amdhsa_system_sgpr_workgroup_id_y 0
		.amdhsa_system_sgpr_workgroup_id_z 1
		.amdhsa_system_sgpr_workgroup_info 0
		.amdhsa_system_vgpr_workitem_id 0
		.amdhsa_next_free_vgpr 7
		.amdhsa_next_free_sgpr 24
		.amdhsa_reserve_vcc 1
		.amdhsa_float_round_mode_32 0
		.amdhsa_float_round_mode_16_64 0
		.amdhsa_float_denorm_mode_32 3
		.amdhsa_float_denorm_mode_16_64 3
		.amdhsa_dx10_clamp 1
		.amdhsa_ieee_mode 1
		.amdhsa_fp16_overflow 0
		.amdhsa_workgroup_processor_mode 1
		.amdhsa_memory_ordered 1
		.amdhsa_forward_progress 0
		.amdhsa_shared_vgpr_count 0
		.amdhsa_exception_fp_ieee_invalid_op 0
		.amdhsa_exception_fp_denorm_src 0
		.amdhsa_exception_fp_ieee_div_zero 0
		.amdhsa_exception_fp_ieee_overflow 0
		.amdhsa_exception_fp_ieee_underflow 0
		.amdhsa_exception_fp_ieee_inexact 0
		.amdhsa_exception_int_div_zero 0
	.end_amdhsa_kernel
	.section	.text._ZL36rocblas_hemvn_kernel_upper_block_sumILi64Ei19rocblas_complex_numIfEPS1_S1_EviT1_lS3_lT2_lT0_lPT3_i,"axG",@progbits,_ZL36rocblas_hemvn_kernel_upper_block_sumILi64Ei19rocblas_complex_numIfEPS1_S1_EviT1_lS3_lT2_lT0_lPT3_i,comdat
.Lfunc_end7:
	.size	_ZL36rocblas_hemvn_kernel_upper_block_sumILi64Ei19rocblas_complex_numIfEPS1_S1_EviT1_lS3_lT2_lT0_lPT3_i, .Lfunc_end7-_ZL36rocblas_hemvn_kernel_upper_block_sumILi64Ei19rocblas_complex_numIfEPS1_S1_EviT1_lS3_lT2_lT0_lPT3_i
                                        ; -- End function
	.section	.AMDGPU.csdata,"",@progbits
; Kernel info:
; codeLenInByte = 772
; NumSgprs: 26
; NumVgprs: 7
; ScratchSize: 0
; MemoryBound: 0
; FloatMode: 240
; IeeeMode: 1
; LDSByteSize: 0 bytes/workgroup (compile time only)
; SGPRBlocks: 3
; VGPRBlocks: 0
; NumSGPRsForWavesPerEU: 26
; NumVGPRsForWavesPerEU: 7
; Occupancy: 16
; WaveLimiterHint : 0
; COMPUTE_PGM_RSRC2:SCRATCH_EN: 0
; COMPUTE_PGM_RSRC2:USER_SGPR: 14
; COMPUTE_PGM_RSRC2:TRAP_HANDLER: 0
; COMPUTE_PGM_RSRC2:TGID_X_EN: 1
; COMPUTE_PGM_RSRC2:TGID_Y_EN: 0
; COMPUTE_PGM_RSRC2:TGID_Z_EN: 1
; COMPUTE_PGM_RSRC2:TIDIG_COMP_CNT: 0
	.section	.text._ZL26rocblas_hemvn_kernel_lowerILb1ELi64ELi4ELi33ELi32ELi16ElPK19rocblas_complex_numIfES3_PS1_EviT6_lT7_lT5_lS6_lS7_lS5_lT8_i,"axG",@progbits,_ZL26rocblas_hemvn_kernel_lowerILb1ELi64ELi4ELi33ELi32ELi16ElPK19rocblas_complex_numIfES3_PS1_EviT6_lT7_lT5_lS6_lS7_lS5_lT8_i,comdat
	.globl	_ZL26rocblas_hemvn_kernel_lowerILb1ELi64ELi4ELi33ELi32ELi16ElPK19rocblas_complex_numIfES3_PS1_EviT6_lT7_lT5_lS6_lS7_lS5_lT8_i ; -- Begin function _ZL26rocblas_hemvn_kernel_lowerILb1ELi64ELi4ELi33ELi32ELi16ElPK19rocblas_complex_numIfES3_PS1_EviT6_lT7_lT5_lS6_lS7_lS5_lT8_i
	.p2align	8
	.type	_ZL26rocblas_hemvn_kernel_lowerILb1ELi64ELi4ELi33ELi32ELi16ElPK19rocblas_complex_numIfES3_PS1_EviT6_lT7_lT5_lS6_lS7_lS5_lT8_i,@function
_ZL26rocblas_hemvn_kernel_lowerILb1ELi64ELi4ELi33ELi32ELi16ElPK19rocblas_complex_numIfES3_PS1_EviT6_lT7_lT5_lS6_lS7_lS5_lT8_i: ; @_ZL26rocblas_hemvn_kernel_lowerILb1ELi64ELi4ELi33ELi32ELi16ElPK19rocblas_complex_numIfES3_PS1_EviT6_lT7_lT5_lS6_lS7_lS5_lT8_i
; %bb.0:
	s_load_b64 s[4:5], s[0:1], 0x84
	s_add_u32 s2, s0, 0x78
	s_addc_u32 s3, s1, 0
	s_waitcnt lgkmcnt(0)
	s_lshr_b32 s6, s4, 16
	s_and_b32 s4, s4, 0xffff
	s_and_b32 s5, s5, 0xffff
	s_mul_i32 s4, s6, s4
	s_delay_alu instid0(SALU_CYCLE_1) | instskip(NEXT) | instid1(SALU_CYCLE_1)
	s_mul_i32 s4, s4, s5
	s_cmpk_lg_i32 s4, 0x100
	s_cbranch_scc1 .LBB8_135
; %bb.1:
	s_load_b512 s[16:31], s[0:1], 0x8
	s_waitcnt lgkmcnt(0)
	s_mul_i32 s4, s15, s19
	s_mul_hi_u32 s5, s15, s18
	s_delay_alu instid0(SALU_CYCLE_1) | instskip(SKIP_1) | instid1(SALU_CYCLE_1)
	s_add_i32 s5, s5, s4
	s_mul_i32 s4, s15, s18
	s_lshl_b64 s[4:5], s[4:5], 3
	s_delay_alu instid0(SALU_CYCLE_1)
	s_add_u32 s4, s16, s4
	s_addc_u32 s5, s17, s5
	s_load_b64 s[4:5], s[4:5], 0x0
	s_clause 0x1
	s_load_b64 s[8:9], s[0:1], 0x68
	s_load_b256 s[36:43], s[0:1], 0x48
	s_waitcnt lgkmcnt(0)
	s_or_b32 s4, s4, s5
	s_mov_b32 s5, -1
	s_bitset0_b32 s4, 31
	s_delay_alu instid0(SALU_CYCLE_1) | instskip(SKIP_1) | instid1(SALU_CYCLE_1)
	s_cmp_lg_u32 s4, 0
	s_cselect_b32 s4, -1, 0
	s_and_b32 vcc_lo, exec_lo, s4
	s_cbranch_vccnz .LBB8_3
; %bb.2:
	s_mul_i32 s5, s15, s43
	s_mul_hi_u32 s7, s15, s42
	s_mul_i32 s6, s15, s42
	s_add_i32 s7, s7, s5
	s_delay_alu instid0(SALU_CYCLE_1) | instskip(NEXT) | instid1(SALU_CYCLE_1)
	s_lshl_b64 s[6:7], s[6:7], 3
	s_add_u32 s6, s40, s6
	s_addc_u32 s7, s41, s7
	s_load_b64 s[6:7], s[6:7], 0x0
	s_waitcnt lgkmcnt(0)
	v_cmp_neq_f32_e64 s5, s6, 1.0
	v_cmp_neq_f32_e64 s6, s7, 0
	s_delay_alu instid0(VALU_DEP_1)
	s_or_b32 s5, s5, s6
.LBB8_3:
	s_delay_alu instid0(SALU_CYCLE_1)
	s_and_not1_b32 vcc_lo, exec_lo, s5
	s_cbranch_vccnz .LBB8_135
; %bb.4:
	s_and_not1_b32 vcc_lo, exec_lo, s4
	s_cbranch_vccnz .LBB8_135
; %bb.5:
	s_mul_i32 s5, s15, s39
	s_mul_hi_u32 s6, s15, s38
	s_mul_i32 s4, s15, s38
	s_add_i32 s5, s6, s5
	s_load_b32 s33, s[0:1], 0x0
	s_lshl_b64 s[4:5], s[4:5], 3
	v_and_b32_e32 v26, 0x3ff, v0
	s_add_u32 s4, s28, s4
	s_addc_u32 s5, s29, s5
	s_lshl_b64 s[0:1], s[30:31], 3
	s_load_b32 s28, s[2:3], 0x0
	s_add_u32 s4, s4, s0
	s_addc_u32 s1, s5, s1
	s_lshl_b32 s10, s14, 6
	v_bfe_u32 v72, v0, 10, 10
	v_add_nc_u32_e32 v16, s10, v26
	s_delay_alu instid0(VALU_DEP_1)
	v_ashrrev_i32_e32 v17, 31, v16
	v_mul_lo_u32 v3, v16, s37
	v_mad_u64_u32 v[1:2], null, v16, s36, 0
	s_waitcnt lgkmcnt(0)
	s_ashr_i32 s29, s33, 31
	v_mul_lo_u32 v4, v17, s36
	s_lshr_b32 s0, s29, 26
	s_delay_alu instid0(SALU_CYCLE_1) | instskip(SKIP_4) | instid1(VALU_DEP_2)
	s_add_i32 s2, s33, s0
	v_cmp_ne_u32_e64 s0, 0, v72
	s_and_not1_b32 s2, s2, 63
	s_add_i32 s3, s28, -1
	s_sub_i32 s5, s33, s2
	v_add3_u32 v2, v2, v3, v4
	s_cmp_eq_u32 s14, s3
	s_mov_b32 s2, -1
	s_cselect_b32 s12, s5, 0
	s_delay_alu instid0(VALU_DEP_1) | instskip(NEXT) | instid1(VALU_DEP_1)
	v_lshlrev_b64 v[0:1], 3, v[1:2]
	v_add_co_u32 v20, vcc_lo, s4, v0
	s_delay_alu instid0(VALU_DEP_2) | instskip(SKIP_1) | instid1(VALU_DEP_1)
	v_add_co_ci_u32_e32 v21, vcc_lo, s1, v1, vcc_lo
	v_cmp_eq_u32_e64 s1, 0, v72
	s_and_saveexec_b32 s3, s1
	s_cbranch_execz .LBB8_10
; %bb.6:
	v_cmp_le_i32_e32 vcc_lo, s12, v26
	s_cmp_lg_u32 s12, 0
	v_lshl_add_u32 v0, v26, 3, 0x2380
	s_cselect_b32 s4, -1, 0
	s_delay_alu instid0(SALU_CYCLE_1) | instskip(NEXT) | instid1(SALU_CYCLE_1)
	s_and_b32 s4, s4, vcc_lo
	s_and_saveexec_b32 s5, s4
	s_delay_alu instid0(SALU_CYCLE_1)
	s_xor_b32 s4, exec_lo, s5
	s_cbranch_execz .LBB8_8
; %bb.7:
	v_mov_b32_e32 v1, 0
	s_delay_alu instid0(VALU_DEP_1)
	v_mov_b32_e32 v2, v1
	ds_store_b64 v0, v[1:2]
                                        ; implicit-def: $vgpr0
.LBB8_8:
	s_and_not1_saveexec_b32 s4, s4
	s_cbranch_execz .LBB8_10
; %bb.9:
	global_load_b64 v[1:2], v[20:21], off
	s_waitcnt vmcnt(0)
	ds_store_b64 v0, v[1:2]
.LBB8_10:
	s_or_b32 exec_lo, exec_lo, s3
	v_lshl_add_u32 v27, v72, 6, v26
	v_dual_mov_b32 v1, 0 :: v_dual_and_b32 v0, 31, v26
	s_mul_i32 s3, s15, s27
	s_mul_hi_u32 s5, s15, s26
	s_delay_alu instid0(VALU_DEP_2)
	v_lshrrev_b32_e32 v5, 5, v27
	s_mul_i32 s4, s15, s26
	s_add_i32 s5, s5, s3
	s_mul_i32 s7, s10, s25
	s_lshl_b64 s[4:5], s[4:5], 3
	v_mad_u64_u32 v[2:3], null, v5, s24, v[0:1]
	s_add_u32 s3, s20, s4
	s_addc_u32 s6, s21, s5
	s_lshl_b64 s[4:5], s[22:23], 3
	s_mul_hi_u32 s13, s10, s24
	s_add_u32 s3, s3, s4
	s_addc_u32 s6, s6, s5
	s_delay_alu instid0(VALU_DEP_1) | instskip(SKIP_1) | instid1(SALU_CYCLE_1)
	v_mov_b32_e32 v1, v3
	s_ashr_i32 s11, s10, 31
	s_lshl_b64 s[4:5], s[10:11], 3
	s_mul_i32 s16, s11, s24
	s_delay_alu instid0(VALU_DEP_1)
	v_mad_u64_u32 v[3:4], null, v5, s25, v[1:2]
	s_add_u32 s3, s3, s4
	s_addc_u32 s6, s6, s5
	s_add_i32 s5, s13, s7
	s_mul_i32 s4, s10, s24
	s_add_i32 s5, s5, s16
	s_delay_alu instid0(SALU_CYCLE_1) | instskip(NEXT) | instid1(VALU_DEP_1)
	s_lshl_b64 s[16:17], s[4:5], 3
	v_lshlrev_b64 v[22:23], 3, v[2:3]
	s_add_u32 s3, s16, s3
	s_addc_u32 s4, s17, s6
	s_cmp_lg_u32 s12, 0
	s_cselect_b32 s20, -1, 0
	s_delay_alu instid0(VALU_DEP_1)
	v_add_co_u32 v1, vcc_lo, s3, v22
	v_add_co_ci_u32_e32 v2, vcc_lo, s4, v23, vcc_lo
	s_cmp_eq_u32 s12, 0
	s_cselect_b32 s7, -1, 0
	s_and_b32 vcc_lo, exec_lo, s20
	s_cbranch_vccnz .LBB8_12
; %bb.11:
	v_mad_u64_u32 v[3:4], null, 0xc0, s24, v[1:2]
	s_lshl_b64 s[2:3], s[24:25], 6
	s_delay_alu instid0(VALU_DEP_1) | instskip(SKIP_2) | instid1(VALU_DEP_2)
	v_mad_u64_u32 v[6:7], null, 0xc0, s25, v[4:5]
	v_add_co_u32 v7, vcc_lo, v1, s2
	v_add_co_ci_u32_e32 v8, vcc_lo, s3, v2, vcc_lo
	v_add_co_u32 v9, vcc_lo, v7, s2
	s_delay_alu instid0(VALU_DEP_2)
	v_add_co_ci_u32_e32 v10, vcc_lo, s3, v8, vcc_lo
	v_mov_b32_e32 v4, v6
	s_clause 0x1
	global_load_b64 v[11:12], v[1:2], off
	global_load_b64 v[6:7], v[7:8], off
	;; [unrolled: 1-line block ×4, first 2 shown]
	v_mul_u32_u24_e32 v10, 33, v5
	s_mov_b32 s2, 0
	s_delay_alu instid0(VALU_DEP_1)
	v_add_lshl_u32 v10, v10, v0, 3
	s_waitcnt vmcnt(3)
	ds_store_b64 v10, v[11:12]
	s_waitcnt vmcnt(2)
	ds_store_b64 v10, v[6:7] offset:2112
	s_waitcnt vmcnt(1)
	ds_store_b64 v10, v[8:9] offset:4224
	;; [unrolled: 2-line block ×3, first 2 shown]
.LBB8_12:
	s_and_not1_b32 vcc_lo, exec_lo, s2
	s_cbranch_vccnz .LBB8_30
; %bb.13:
	v_lshlrev_b32_e32 v6, 3, v0
	s_ashr_i32 s13, s12, 31
	v_mul_u32_u24_e32 v7, 33, v5
	s_lshl_b64 s[4:5], s[12:13], 3
	v_cmp_le_i32_e64 s2, s12, v5
	v_sub_co_u32 v3, vcc_lo, v1, v6
	v_subrev_co_ci_u32_e32 v4, vcc_lo, 0, v2, vcc_lo
	v_add_lshl_u32 v7, v7, v0, 3
	s_delay_alu instid0(VALU_DEP_3) | instskip(NEXT) | instid1(VALU_DEP_3)
	v_add_co_u32 v3, vcc_lo, v3, s4
	v_add_co_ci_u32_e32 v4, vcc_lo, s5, v4, vcc_lo
	s_delay_alu instid0(VALU_DEP_2) | instskip(NEXT) | instid1(VALU_DEP_2)
	v_add_co_u32 v3, vcc_lo, v3, -8
	v_add_co_ci_u32_e32 v4, vcc_lo, -1, v4, vcc_lo
	v_cmp_gt_i32_e32 vcc_lo, s12, v0
	s_delay_alu instid0(VALU_DEP_2) | instskip(SKIP_1) | instid1(SALU_CYCLE_1)
	v_dual_cndmask_b32 v3, v3, v1 :: v_dual_cndmask_b32 v4, v4, v2
	s_and_saveexec_b32 s3, s2
	s_xor_b32 s2, exec_lo, s3
	s_cbranch_execz .LBB8_15
; %bb.14:
	v_mov_b32_e32 v8, 0
	s_delay_alu instid0(VALU_DEP_1)
	v_mov_b32_e32 v9, v8
	ds_store_b64 v7, v[8:9]
.LBB8_15:
	s_and_not1_saveexec_b32 s2, s2
	s_cbranch_execz .LBB8_17
; %bb.16:
	global_load_b64 v[8:9], v[3:4], off
	s_waitcnt vmcnt(0)
	ds_store_b64 v7, v[8:9]
.LBB8_17:
	s_or_b32 exec_lo, exec_lo, s2
	v_add_nc_u32_e32 v8, 8, v5
	s_delay_alu instid0(VALU_DEP_1) | instskip(NEXT) | instid1(VALU_DEP_1)
	v_cmp_le_i32_e64 s2, s12, v8
	s_and_saveexec_b32 s3, s2
	s_delay_alu instid0(SALU_CYCLE_1)
	s_xor_b32 s2, exec_lo, s3
	s_cbranch_execz .LBB8_19
; %bb.18:
	v_mul_u32_u24_e32 v9, 33, v8
	v_mov_b32_e32 v8, 0
	s_delay_alu instid0(VALU_DEP_2) | instskip(NEXT) | instid1(VALU_DEP_2)
	v_add_lshl_u32 v10, v9, v0, 3
	v_mov_b32_e32 v9, v8
	ds_store_b64 v10, v[8:9]
.LBB8_19:
	s_and_not1_saveexec_b32 s3, s2
	s_cbranch_execz .LBB8_21
; %bb.20:
	s_lshl_b64 s[18:19], s[24:25], 6
	s_delay_alu instid0(SALU_CYCLE_1) | instskip(NEXT) | instid1(VALU_DEP_1)
	v_add_co_u32 v8, s2, v3, s18
	v_add_co_ci_u32_e64 v9, s2, s19, v4, s2
	global_load_b64 v[8:9], v[8:9], off
	s_waitcnt vmcnt(0)
	ds_store_b64 v7, v[8:9] offset:2112
.LBB8_21:
	s_or_b32 exec_lo, exec_lo, s3
	v_add_nc_u32_e32 v8, 16, v5
	s_delay_alu instid0(VALU_DEP_1) | instskip(NEXT) | instid1(VALU_DEP_1)
	v_cmp_le_i32_e64 s2, s12, v8
	s_and_saveexec_b32 s3, s2
	s_delay_alu instid0(SALU_CYCLE_1)
	s_xor_b32 s2, exec_lo, s3
	s_cbranch_execz .LBB8_23
; %bb.22:
	v_mov_b32_e32 v8, 0
	s_delay_alu instid0(VALU_DEP_1)
	v_mov_b32_e32 v9, v8
	ds_store_b64 v7, v[8:9] offset:4224
.LBB8_23:
	s_and_not1_saveexec_b32 s3, s2
	s_cbranch_execz .LBB8_25
; %bb.24:
	s_lshl_b64 s[18:19], s[24:25], 7
	s_delay_alu instid0(SALU_CYCLE_1) | instskip(NEXT) | instid1(VALU_DEP_1)
	v_add_co_u32 v8, s2, v3, s18
	v_add_co_ci_u32_e64 v9, s2, s19, v4, s2
	global_load_b64 v[8:9], v[8:9], off
	s_waitcnt vmcnt(0)
	ds_store_b64 v7, v[8:9] offset:4224
.LBB8_25:
	s_or_b32 exec_lo, exec_lo, s3
	v_add_nc_u32_e32 v8, 24, v5
	s_delay_alu instid0(VALU_DEP_1) | instskip(NEXT) | instid1(VALU_DEP_1)
	v_cmp_le_i32_e64 s2, s12, v8
	s_and_saveexec_b32 s3, s2
	s_delay_alu instid0(SALU_CYCLE_1)
	s_xor_b32 s2, exec_lo, s3
	s_cbranch_execz .LBB8_27
; %bb.26:
	v_mov_b32_e32 v8, 0
	s_delay_alu instid0(VALU_DEP_1)
	v_mov_b32_e32 v9, v8
	ds_store_b64 v7, v[8:9] offset:6336
                                        ; implicit-def: $vgpr7
.LBB8_27:
	s_and_not1_saveexec_b32 s2, s2
	s_cbranch_execz .LBB8_29
; %bb.28:
	v_mad_u64_u32 v[8:9], null, 0xc0, s24, v[3:4]
	s_delay_alu instid0(VALU_DEP_1) | instskip(NEXT) | instid1(VALU_DEP_1)
	v_mad_u64_u32 v[10:11], null, 0xc0, s25, v[9:10]
	v_mov_b32_e32 v9, v10
	global_load_b64 v[8:9], v[8:9], off
	s_waitcnt vmcnt(0)
	ds_store_b64 v7, v[8:9] offset:6336
.LBB8_29:
	s_or_b32 exec_lo, exec_lo, s2
	v_add_co_u32 v3, s2, v3, v6
	s_delay_alu instid0(VALU_DEP_1) | instskip(NEXT) | instid1(VALU_DEP_2)
	v_add_co_ci_u32_e64 v4, s2, 0, v4, s2
	v_sub_co_u32 v3, s2, v3, s4
	s_delay_alu instid0(VALU_DEP_1) | instskip(NEXT) | instid1(VALU_DEP_2)
	v_subrev_co_ci_u32_e64 v4, s2, s5, v4, s2
	v_add_co_u32 v3, s2, v3, 8
	s_delay_alu instid0(VALU_DEP_1) | instskip(NEXT) | instid1(VALU_DEP_1)
	v_add_co_ci_u32_e64 v4, s2, 0, v4, s2
	v_dual_cndmask_b32 v1, v3, v1 :: v_dual_cndmask_b32 v2, v4, v2
.LBB8_30:
	v_lshlrev_b32_e32 v6, 2, v5
	s_waitcnt lgkmcnt(0)
	s_barrier
	buffer_gl0_inv
	v_cmp_ge_u32_e64 s3, v6, v0
	s_delay_alu instid0(VALU_DEP_1) | instskip(NEXT) | instid1(SALU_CYCLE_1)
	s_and_saveexec_b32 s2, s3
	s_xor_b32 s2, exec_lo, s2
	s_cbranch_execz .LBB8_34
; %bb.31:
	s_mov_b32 s4, exec_lo
	v_cmpx_eq_u32_e64 v6, v0
	s_cbranch_execz .LBB8_33
; %bb.32:
	v_mul_u32_u24_e32 v3, 34, v0
	s_delay_alu instid0(VALU_DEP_1)
	v_dual_mov_b32 v4, 0 :: v_dual_lshlrev_b32 v3, 3, v3
	ds_store_b32 v3, v4 offset:4
.LBB8_33:
	s_or_b32 exec_lo, exec_lo, s4
.LBB8_34:
	s_or_saveexec_b32 s2, s2
	v_mul_u32_u24_e32 v28, 33, v0
	v_mul_u32_u24_e32 v3, 0x84, v5
	s_delay_alu instid0(VALU_DEP_2)
	v_add_lshl_u32 v4, v6, v28, 3
	s_xor_b32 exec_lo, exec_lo, s2
	s_cbranch_execz .LBB8_36
; %bb.35:
	s_delay_alu instid0(VALU_DEP_2)
	v_add_lshl_u32 v7, v3, v0, 3
	ds_load_b64 v[7:8], v7
	s_waitcnt lgkmcnt(0)
	v_xor_b32_e32 v8, 0x80000000, v8
	ds_store_b64 v4, v[7:8]
.LBB8_36:
	s_or_b32 exec_lo, exec_lo, s2
	v_or_b32_e32 v7, 1, v6
	s_delay_alu instid0(VALU_DEP_1) | instskip(NEXT) | instid1(VALU_DEP_1)
	v_cmp_ge_u32_e64 s4, v7, v0
	s_and_saveexec_b32 s2, s4
	s_delay_alu instid0(SALU_CYCLE_1)
	s_xor_b32 s2, exec_lo, s2
	s_cbranch_execz .LBB8_40
; %bb.37:
	s_mov_b32 s5, exec_lo
	v_cmpx_eq_u32_e64 v7, v0
	s_cbranch_execz .LBB8_39
; %bb.38:
	v_mul_u32_u24_e32 v8, 34, v0
	s_delay_alu instid0(VALU_DEP_1)
	v_dual_mov_b32 v9, 0 :: v_dual_lshlrev_b32 v8, 3, v8
	ds_store_b32 v8, v9 offset:4
.LBB8_39:
	s_or_b32 exec_lo, exec_lo, s5
.LBB8_40:
	s_or_saveexec_b32 s2, s2
	v_mul_u32_u24_e32 v9, 33, v7
	s_xor_b32 exec_lo, exec_lo, s2
	s_cbranch_execz .LBB8_42
; %bb.41:
	s_delay_alu instid0(VALU_DEP_1)
	v_add_lshl_u32 v8, v9, v0, 3
	ds_load_b64 v[10:11], v8
	s_waitcnt lgkmcnt(0)
	v_xor_b32_e32 v11, 0x80000000, v11
	ds_store_b64 v4, v[10:11] offset:8
.LBB8_42:
	s_or_b32 exec_lo, exec_lo, s2
	v_or_b32_e32 v8, 2, v6
	s_delay_alu instid0(VALU_DEP_1) | instskip(NEXT) | instid1(VALU_DEP_1)
	v_cmp_ge_u32_e64 s5, v8, v0
	s_and_saveexec_b32 s2, s5
	s_delay_alu instid0(SALU_CYCLE_1)
	s_xor_b32 s2, exec_lo, s2
	s_cbranch_execz .LBB8_46
; %bb.43:
	s_mov_b32 s6, exec_lo
	v_cmpx_eq_u32_e64 v8, v0
	s_cbranch_execz .LBB8_45
; %bb.44:
	v_mul_u32_u24_e32 v10, 34, v0
	s_delay_alu instid0(VALU_DEP_1)
	v_dual_mov_b32 v11, 0 :: v_dual_lshlrev_b32 v10, 3, v10
	ds_store_b32 v10, v11 offset:4
.LBB8_45:
	s_or_b32 exec_lo, exec_lo, s6
.LBB8_46:
	s_and_not1_saveexec_b32 s2, s2
	s_cbranch_execz .LBB8_48
; %bb.47:
	v_mul_u32_u24_e32 v10, 33, v8
	s_delay_alu instid0(VALU_DEP_1)
	v_add_lshl_u32 v10, v10, v0, 3
	ds_load_b64 v[10:11], v10
	s_waitcnt lgkmcnt(0)
	v_xor_b32_e32 v11, 0x80000000, v11
	ds_store_b64 v4, v[10:11] offset:16
.LBB8_48:
	s_or_b32 exec_lo, exec_lo, s2
	v_or_b32_e32 v10, 3, v6
	s_delay_alu instid0(VALU_DEP_1) | instskip(NEXT) | instid1(VALU_DEP_1)
	v_cmp_ge_u32_e64 s6, v10, v0
	s_and_saveexec_b32 s2, s6
	s_delay_alu instid0(SALU_CYCLE_1)
	s_xor_b32 s2, exec_lo, s2
	s_cbranch_execz .LBB8_52
; %bb.49:
	s_mov_b32 s13, exec_lo
	v_cmpx_eq_u32_e64 v10, v0
	s_cbranch_execz .LBB8_51
; %bb.50:
	v_mul_u32_u24_e32 v11, 34, v0
	s_delay_alu instid0(VALU_DEP_1)
	v_dual_mov_b32 v12, 0 :: v_dual_lshlrev_b32 v11, 3, v11
	ds_store_b32 v11, v12 offset:4
.LBB8_51:
	s_or_b32 exec_lo, exec_lo, s13
.LBB8_52:
	s_and_not1_saveexec_b32 s2, s2
	s_cbranch_execz .LBB8_54
; %bb.53:
	v_mul_u32_u24_e32 v11, 33, v10
	s_delay_alu instid0(VALU_DEP_1)
	v_add_lshl_u32 v11, v11, v0, 3
	ds_load_b64 v[11:12], v11
	s_waitcnt lgkmcnt(0)
	v_xor_b32_e32 v12, 0x80000000, v12
	ds_store_b64 v4, v[11:12] offset:24
.LBB8_54:
	s_or_b32 exec_lo, exec_lo, s2
	v_add_lshl_u32 v11, v3, v0, 3
	v_lshlrev_b32_e32 v3, 3, v6
	v_add_lshl_u32 v9, v9, v0, 3
	s_waitcnt lgkmcnt(0)
	s_barrier
	buffer_gl0_inv
	ds_load_b64 v[18:19], v11
	ds_load_b128 v[12:15], v3 offset:9088
	ds_load_2addr_b64 v[29:32], v9 offset1:33
	ds_load_b128 v[33:36], v3 offset:9104
	ds_load_b64 v[24:25], v9 offset:528
	v_cmp_gt_u32_e64 s2, 32, v27
	s_waitcnt lgkmcnt(0)
	s_barrier
	buffer_gl0_inv
	v_dual_mul_f32 v37, v13, v19 :: v_dual_mul_f32 v38, v15, v30
	v_dual_mul_f32 v19, v12, v19 :: v_dual_mul_f32 v30, v14, v30
	v_mul_f32_e32 v39, v34, v32
	s_delay_alu instid0(VALU_DEP_3) | instskip(NEXT) | instid1(VALU_DEP_4)
	v_fma_f32 v12, v12, v18, -v37
	v_fma_f32 v14, v14, v29, -v38
	s_delay_alu instid0(VALU_DEP_4)
	v_fmac_f32_e32 v19, v13, v18
	v_mul_f32_e32 v32, v33, v32
	v_fmac_f32_e32 v30, v15, v29
	v_add_f32_e32 v12, 0, v12
	v_fma_f32 v18, v33, v31, -v39
	v_add_f32_e32 v15, 0, v19
	v_dual_mul_f32 v13, v36, v25 :: v_dual_fmac_f32 v32, v34, v31
	s_delay_alu instid0(VALU_DEP_4) | instskip(SKIP_1) | instid1(VALU_DEP_3)
	v_dual_add_f32 v12, v12, v14 :: v_dual_mul_f32 v19, v35, v25
	v_add_lshl_u32 v29, v5, v28, 3
	v_fma_f32 v13, v35, v24, -v13
	s_delay_alu instid0(VALU_DEP_3) | instskip(NEXT) | instid1(VALU_DEP_4)
	v_add_f32_e32 v12, v12, v18
	v_dual_add_f32 v14, v15, v30 :: v_dual_fmac_f32 v19, v36, v24
	s_delay_alu instid0(VALU_DEP_2) | instskip(NEXT) | instid1(VALU_DEP_2)
	v_add_f32_e32 v12, v12, v13
	v_add_f32_e32 v14, v14, v32
	s_delay_alu instid0(VALU_DEP_1)
	v_dual_mov_b32 v18, 0 :: v_dual_add_f32 v13, v14, v19
	v_mov_b32_e32 v19, 0
	ds_store_b64 v29, v[12:13]
	s_waitcnt lgkmcnt(0)
	s_barrier
	buffer_gl0_inv
	s_and_saveexec_b32 s13, s2
	s_cbranch_execz .LBB8_56
; %bb.55:
	v_lshlrev_b32_e32 v18, 3, v28
	ds_load_2addr_b64 v[12:15], v18 offset1:7
	ds_load_2addr_b64 v[30:33], v18 offset0:1 offset1:2
	ds_load_2addr_b64 v[34:37], v18 offset0:3 offset1:4
	ds_load_2addr_b64 v[38:41], v18 offset0:5 offset1:6
	s_waitcnt lgkmcnt(2)
	v_dual_add_f32 v13, v31, v13 :: v_dual_add_f32 v12, v30, v12
	s_delay_alu instid0(VALU_DEP_1) | instskip(SKIP_1) | instid1(VALU_DEP_1)
	v_dual_add_f32 v13, v13, v33 :: v_dual_add_f32 v12, v12, v32
	s_waitcnt lgkmcnt(1)
	v_dual_add_f32 v13, v13, v35 :: v_dual_add_f32 v12, v12, v34
	s_delay_alu instid0(VALU_DEP_1) | instskip(SKIP_1) | instid1(VALU_DEP_1)
	v_dual_add_f32 v13, v13, v37 :: v_dual_add_f32 v12, v12, v36
	s_waitcnt lgkmcnt(0)
	v_dual_add_f32 v13, v13, v39 :: v_dual_add_f32 v12, v12, v38
	s_delay_alu instid0(VALU_DEP_1) | instskip(NEXT) | instid1(VALU_DEP_1)
	v_dual_add_f32 v13, v13, v41 :: v_dual_add_f32 v12, v12, v40
	v_dual_add_f32 v19, v13, v15 :: v_dual_add_f32 v18, v12, v14
.LBB8_56:
	s_or_b32 exec_lo, exec_lo, s13
	s_lshl_b64 s[18:19], s[24:25], 8
	v_cndmask_b32_e64 v12, 0, 1, s7
	v_add_co_u32 v1, vcc_lo, v1, s18
	v_add_co_ci_u32_e32 v2, vcc_lo, s19, v2, vcc_lo
	s_delay_alu instid0(VALU_DEP_2) | instskip(NEXT) | instid1(VALU_DEP_2)
	v_add_co_u32 v13, vcc_lo, 0x100, v1
	v_add_co_ci_u32_e32 v14, vcc_lo, 0, v2, vcc_lo
	s_and_not1_b32 vcc_lo, exec_lo, s7
	s_barrier
	buffer_gl0_inv
	s_cbranch_vccnz .LBB8_58
; %bb.57:
	v_mad_u64_u32 v[24:25], null, 0xc0, s24, v[1:2]
	s_lshl_b64 s[18:19], s[24:25], 6
	s_delay_alu instid0(VALU_DEP_1) | instskip(NEXT) | instid1(VALU_DEP_1)
	v_mov_b32_e32 v15, v25
	v_mad_u64_u32 v[30:31], null, 0xc0, s25, v[15:16]
	v_add_co_u32 v31, vcc_lo, v1, s18
	v_add_co_ci_u32_e32 v32, vcc_lo, s19, v2, vcc_lo
	v_mul_u32_u24_e32 v15, 33, v5
	s_delay_alu instid0(VALU_DEP_3) | instskip(NEXT) | instid1(VALU_DEP_3)
	v_add_co_u32 v33, vcc_lo, v31, s18
	v_add_co_ci_u32_e32 v34, vcc_lo, s19, v32, vcc_lo
	v_mov_b32_e32 v25, v30
	s_clause 0x3
	global_load_b64 v[1:2], v[1:2], off offset:256
	global_load_b64 v[30:31], v[31:32], off offset:256
	;; [unrolled: 1-line block ×4, first 2 shown]
	v_add_lshl_u32 v15, v15, v0, 3
	s_waitcnt vmcnt(3)
	ds_store_b64 v15, v[1:2]
	s_waitcnt vmcnt(2)
	ds_store_b64 v15, v[30:31] offset:2112
	s_waitcnt vmcnt(1)
	ds_store_b64 v15, v[32:33] offset:4224
	;; [unrolled: 2-line block ×3, first 2 shown]
	s_cbranch_execz .LBB8_59
	s_branch .LBB8_76
.LBB8_58:
.LBB8_59:
	v_lshlrev_b32_e32 v15, 3, v0
	s_ashr_i32 s13, s12, 31
	v_or_b32_e32 v24, 32, v0
	s_lshl_b64 s[18:19], s[12:13], 3
	s_sub_i32 s13, s12, 32
	v_sub_co_u32 v1, vcc_lo, v13, v15
	v_subrev_co_ci_u32_e32 v2, vcc_lo, 0, v14, vcc_lo
	v_cmp_le_i32_e64 s7, s13, v5
	s_delay_alu instid0(VALU_DEP_3) | instskip(NEXT) | instid1(VALU_DEP_3)
	v_add_co_u32 v1, vcc_lo, v1, s18
	v_add_co_ci_u32_e32 v2, vcc_lo, s19, v2, vcc_lo
	s_delay_alu instid0(VALU_DEP_2) | instskip(NEXT) | instid1(VALU_DEP_2)
	v_add_co_u32 v1, vcc_lo, 0xfffffef8, v1
	v_add_co_ci_u32_e32 v2, vcc_lo, -1, v2, vcc_lo
	v_cmp_gt_i32_e32 vcc_lo, s12, v24
	v_mul_u32_u24_e32 v24, 33, v5
	s_delay_alu instid0(VALU_DEP_3) | instskip(NEXT) | instid1(VALU_DEP_2)
	v_dual_cndmask_b32 v2, v2, v14 :: v_dual_cndmask_b32 v1, v1, v13
	v_add_lshl_u32 v24, v24, v0, 3
	s_and_saveexec_b32 s21, s7
	s_delay_alu instid0(SALU_CYCLE_1)
	s_xor_b32 s7, exec_lo, s21
	s_cbranch_execz .LBB8_61
; %bb.60:
	v_mov_b32_e32 v30, 0
	s_delay_alu instid0(VALU_DEP_1)
	v_mov_b32_e32 v31, v30
	ds_store_b64 v24, v[30:31]
.LBB8_61:
	s_and_not1_saveexec_b32 s7, s7
	s_cbranch_execz .LBB8_63
; %bb.62:
	global_load_b64 v[30:31], v[1:2], off
	s_waitcnt vmcnt(0)
	ds_store_b64 v24, v[30:31]
.LBB8_63:
	s_or_b32 exec_lo, exec_lo, s7
	v_add_nc_u32_e32 v25, 8, v5
	s_delay_alu instid0(VALU_DEP_1) | instskip(NEXT) | instid1(VALU_DEP_1)
	v_cmp_le_i32_e64 s7, s13, v25
	s_and_saveexec_b32 s21, s7
	s_delay_alu instid0(SALU_CYCLE_1)
	s_xor_b32 s7, exec_lo, s21
	s_cbranch_execz .LBB8_65
; %bb.64:
	v_mul_u32_u24_e32 v25, 33, v25
	v_mov_b32_e32 v30, 0
	s_delay_alu instid0(VALU_DEP_2) | instskip(NEXT) | instid1(VALU_DEP_2)
	v_add_lshl_u32 v25, v25, v0, 3
	v_mov_b32_e32 v31, v30
	ds_store_b64 v25, v[30:31]
.LBB8_65:
	s_and_not1_saveexec_b32 s21, s7
	s_cbranch_execz .LBB8_67
; %bb.66:
	s_lshl_b64 s[22:23], s[24:25], 6
	s_delay_alu instid0(SALU_CYCLE_1) | instskip(NEXT) | instid1(VALU_DEP_1)
	v_add_co_u32 v30, s7, v1, s22
	v_add_co_ci_u32_e64 v31, s7, s23, v2, s7
	global_load_b64 v[30:31], v[30:31], off
	s_waitcnt vmcnt(0)
	ds_store_b64 v24, v[30:31] offset:2112
.LBB8_67:
	s_or_b32 exec_lo, exec_lo, s21
	v_add_nc_u32_e32 v25, 16, v5
	s_delay_alu instid0(VALU_DEP_1) | instskip(NEXT) | instid1(VALU_DEP_1)
	v_cmp_le_i32_e64 s7, s13, v25
	s_and_saveexec_b32 s21, s7
	s_delay_alu instid0(SALU_CYCLE_1)
	s_xor_b32 s7, exec_lo, s21
	s_cbranch_execz .LBB8_69
; %bb.68:
	v_mov_b32_e32 v30, 0
	s_delay_alu instid0(VALU_DEP_1)
	v_mov_b32_e32 v31, v30
	ds_store_b64 v24, v[30:31] offset:4224
.LBB8_69:
	s_and_not1_saveexec_b32 s21, s7
	s_cbranch_execz .LBB8_71
; %bb.70:
	s_lshl_b64 s[22:23], s[24:25], 7
	s_delay_alu instid0(SALU_CYCLE_1) | instskip(NEXT) | instid1(VALU_DEP_1)
	v_add_co_u32 v30, s7, v1, s22
	v_add_co_ci_u32_e64 v31, s7, s23, v2, s7
	global_load_b64 v[30:31], v[30:31], off
	s_waitcnt vmcnt(0)
	ds_store_b64 v24, v[30:31] offset:4224
.LBB8_71:
	s_or_b32 exec_lo, exec_lo, s21
	v_add_nc_u32_e32 v25, 24, v5
	s_delay_alu instid0(VALU_DEP_1) | instskip(NEXT) | instid1(VALU_DEP_1)
	v_cmp_le_i32_e64 s7, s13, v25
	s_and_saveexec_b32 s13, s7
	s_delay_alu instid0(SALU_CYCLE_1)
	s_xor_b32 s7, exec_lo, s13
	s_cbranch_execz .LBB8_73
; %bb.72:
	v_mov_b32_e32 v30, 0
	s_delay_alu instid0(VALU_DEP_1)
	v_mov_b32_e32 v31, v30
	ds_store_b64 v24, v[30:31] offset:6336
                                        ; implicit-def: $vgpr24
.LBB8_73:
	s_and_not1_saveexec_b32 s7, s7
	s_cbranch_execz .LBB8_75
; %bb.74:
	v_mad_u64_u32 v[30:31], null, 0xc0, s24, v[1:2]
	s_delay_alu instid0(VALU_DEP_1) | instskip(NEXT) | instid1(VALU_DEP_1)
	v_mov_b32_e32 v25, v31
	v_mad_u64_u32 v[31:32], null, 0xc0, s25, v[25:26]
	global_load_b64 v[30:31], v[30:31], off
	s_waitcnt vmcnt(0)
	ds_store_b64 v24, v[30:31] offset:6336
.LBB8_75:
	s_or_b32 exec_lo, exec_lo, s7
	v_add_co_u32 v1, s7, v1, v15
	s_delay_alu instid0(VALU_DEP_1) | instskip(NEXT) | instid1(VALU_DEP_2)
	v_add_co_ci_u32_e64 v2, s7, 0, v2, s7
	v_sub_co_u32 v1, s7, v1, s18
	s_delay_alu instid0(VALU_DEP_1) | instskip(NEXT) | instid1(VALU_DEP_2)
	v_subrev_co_ci_u32_e64 v2, s7, s19, v2, s7
	v_add_co_u32 v1, s7, 0x108, v1
	s_delay_alu instid0(VALU_DEP_1) | instskip(NEXT) | instid1(VALU_DEP_1)
	v_add_co_ci_u32_e64 v2, s7, 0, v2, s7
	v_dual_cndmask_b32 v13, v1, v13 :: v_dual_cndmask_b32 v14, v2, v14
.LBB8_76:
	v_add_nc_u32_e32 v3, 0x2380, v3
	s_lshl_b64 s[18:19], s[24:25], 5
	s_waitcnt lgkmcnt(0)
	s_barrier
	buffer_gl0_inv
	s_and_saveexec_b32 s7, s3
	s_delay_alu instid0(SALU_CYCLE_1)
	s_xor_b32 s3, exec_lo, s7
	s_cbranch_execnz .LBB8_89
; %bb.77:
	s_and_not1_saveexec_b32 s3, s3
	s_cbranch_execnz .LBB8_92
.LBB8_78:
	s_or_b32 exec_lo, exec_lo, s3
	s_and_saveexec_b32 s3, s4
	s_delay_alu instid0(SALU_CYCLE_1)
	s_xor_b32 s3, exec_lo, s3
	s_cbranch_execnz .LBB8_93
.LBB8_79:
	s_and_not1_saveexec_b32 s3, s3
	s_cbranch_execnz .LBB8_96
.LBB8_80:
	s_or_b32 exec_lo, exec_lo, s3
	s_and_saveexec_b32 s3, s5
	s_delay_alu instid0(SALU_CYCLE_1)
	s_xor_b32 s3, exec_lo, s3
	s_cbranch_execnz .LBB8_97
.LBB8_81:
	s_and_not1_saveexec_b32 s3, s3
	s_cbranch_execnz .LBB8_100
.LBB8_82:
	s_or_b32 exec_lo, exec_lo, s3
	s_and_saveexec_b32 s3, s6
	s_delay_alu instid0(SALU_CYCLE_1)
	s_xor_b32 s3, exec_lo, s3
	s_cbranch_execnz .LBB8_101
.LBB8_83:
	s_and_not1_saveexec_b32 s3, s3
	s_cbranch_execz .LBB8_85
.LBB8_84:
	ds_load_b64 v[1:2], v9 offset:528
	s_waitcnt lgkmcnt(0)
	v_xor_b32_e32 v2, 0x80000000, v2
	ds_store_b64 v4, v[1:2] offset:24
.LBB8_85:
	s_or_b32 exec_lo, exec_lo, s3
	s_waitcnt lgkmcnt(0)
	s_barrier
	buffer_gl0_inv
	ds_load_b64 v[1:2], v11
	ds_load_b128 v[30:33], v3 offset:256
	ds_load_2addr_b64 v[34:37], v9 offset1:33
	ds_load_b128 v[38:41], v3 offset:272
	ds_load_b64 v[6:7], v9 offset:528
	v_cmp_eq_u32_e64 s3, 1, v5
	s_waitcnt lgkmcnt(0)
	s_barrier
	buffer_gl0_inv
	v_dual_mul_f32 v8, v31, v2 :: v_dual_mul_f32 v9, v33, v35
	v_dual_mul_f32 v2, v30, v2 :: v_dual_mul_f32 v11, v39, v37
	;; [unrolled: 1-line block ×3, first 2 shown]
	s_delay_alu instid0(VALU_DEP_3) | instskip(NEXT) | instid1(VALU_DEP_3)
	v_fma_f32 v8, v30, v1, -v8
	v_dual_fmac_f32 v2, v31, v1 :: v_dual_mul_f32 v1, v41, v7
	v_fma_f32 v9, v32, v34, -v9
	s_delay_alu instid0(VALU_DEP_4) | instskip(NEXT) | instid1(VALU_DEP_4)
	v_dual_fmac_f32 v10, v33, v34 :: v_dual_mul_f32 v7, v40, v7
	v_add_f32_e32 v8, 0, v8
	s_delay_alu instid0(VALU_DEP_4) | instskip(SKIP_1) | instid1(VALU_DEP_3)
	v_dual_add_f32 v2, 0, v2 :: v_dual_fmac_f32 v15, v39, v36
	v_fma_f32 v11, v38, v36, -v11
	v_dual_fmac_f32 v7, v41, v6 :: v_dual_add_f32 v8, v8, v9
	s_delay_alu instid0(VALU_DEP_3) | instskip(SKIP_1) | instid1(VALU_DEP_3)
	v_add_f32_e32 v2, v2, v10
	v_fma_f32 v1, v40, v6, -v1
	v_add_f32_e32 v6, v8, v11
	s_delay_alu instid0(VALU_DEP_3) | instskip(NEXT) | instid1(VALU_DEP_2)
	v_add_f32_e32 v2, v2, v15
	v_add_f32_e32 v1, v6, v1
	s_delay_alu instid0(VALU_DEP_2)
	v_add_f32_e32 v2, v2, v7
	ds_store_b64 v29, v[1:2]
	s_waitcnt lgkmcnt(0)
	s_barrier
	buffer_gl0_inv
	s_and_saveexec_b32 s4, s3
	s_cbranch_execz .LBB8_87
; %bb.86:
	v_lshlrev_b32_e32 v1, 3, v28
	ds_load_2addr_b64 v[6:9], v1 offset1:7
	ds_load_2addr_b64 v[30:33], v1 offset0:1 offset1:2
	ds_load_2addr_b64 v[34:37], v1 offset0:3 offset1:4
	;; [unrolled: 1-line block ×3, first 2 shown]
	s_waitcnt lgkmcnt(2)
	v_dual_add_f32 v2, v31, v7 :: v_dual_add_f32 v1, v30, v6
	s_delay_alu instid0(VALU_DEP_1) | instskip(SKIP_1) | instid1(VALU_DEP_1)
	v_dual_add_f32 v2, v2, v33 :: v_dual_add_f32 v1, v1, v32
	s_waitcnt lgkmcnt(1)
	v_dual_add_f32 v2, v2, v35 :: v_dual_add_f32 v1, v1, v34
	s_delay_alu instid0(VALU_DEP_1) | instskip(SKIP_1) | instid1(VALU_DEP_1)
	v_dual_add_f32 v2, v2, v37 :: v_dual_add_f32 v1, v1, v36
	s_waitcnt lgkmcnt(0)
	v_dual_add_f32 v2, v2, v39 :: v_dual_add_f32 v1, v1, v38
	s_delay_alu instid0(VALU_DEP_1) | instskip(NEXT) | instid1(VALU_DEP_1)
	v_dual_add_f32 v2, v2, v41 :: v_dual_add_f32 v1, v1, v40
	v_dual_add_f32 v19, v2, v9 :: v_dual_add_f32 v18, v1, v8
.LBB8_87:
	s_or_b32 exec_lo, exec_lo, s4
	s_lshl_b64 s[4:5], s[18:19], 3
	v_cmp_ne_u32_e32 vcc_lo, 1, v12
	v_sub_co_u32 v24, s4, v13, s4
	s_delay_alu instid0(VALU_DEP_1)
	v_subrev_co_ci_u32_e64 v25, s4, s5, v14, s4
	s_barrier
	buffer_gl0_inv
	s_cbranch_vccnz .LBB8_104
; %bb.88:
	v_mad_u64_u32 v[1:2], null, 0xc0, s24, v[24:25]
	s_lshl_b64 s[4:5], s[24:25], 6
	s_delay_alu instid0(VALU_DEP_1) | instskip(SKIP_2) | instid1(VALU_DEP_2)
	v_mad_u64_u32 v[6:7], null, 0xc0, s25, v[2:3]
	v_add_co_u32 v7, vcc_lo, v24, s4
	v_add_co_ci_u32_e32 v8, vcc_lo, s5, v25, vcc_lo
	v_add_co_u32 v9, vcc_lo, v7, s4
	s_delay_alu instid0(VALU_DEP_2)
	v_add_co_ci_u32_e32 v10, vcc_lo, s5, v8, vcc_lo
	v_mov_b32_e32 v2, v6
	s_clause 0x3
	global_load_b64 v[12:13], v[24:25], off
	global_load_b64 v[14:15], v[7:8], off
	;; [unrolled: 1-line block ×4, first 2 shown]
	v_mad_u32_u24 v6, v5, 33, v0
	v_add_nc_u32_e32 v7, 8, v5
	v_add_nc_u32_e32 v8, 16, v5
	;; [unrolled: 1-line block ×3, first 2 shown]
	s_delay_alu instid0(VALU_DEP_4)
	v_lshlrev_b32_e32 v9, 3, v6
	v_add_nc_u32_e32 v1, 0x108, v6
	v_add_nc_u32_e32 v2, 0x210, v6
	;; [unrolled: 1-line block ×3, first 2 shown]
	s_waitcnt vmcnt(3)
	ds_store_b64 v9, v[12:13]
	s_waitcnt vmcnt(2)
	ds_store_b64 v9, v[14:15] offset:2112
	s_waitcnt vmcnt(1)
	ds_store_b64 v9, v[30:31] offset:4224
	;; [unrolled: 2-line block ×3, first 2 shown]
	s_cbranch_execz .LBB8_105
	s_branch .LBB8_122
.LBB8_89:
	s_mov_b32 s7, exec_lo
	v_cmpx_eq_u32_e64 v6, v0
	s_cbranch_execz .LBB8_91
; %bb.90:
	v_mul_u32_u24_e32 v1, 34, v0
	s_delay_alu instid0(VALU_DEP_1)
	v_dual_mov_b32 v2, 0 :: v_dual_lshlrev_b32 v1, 3, v1
	ds_store_b32 v1, v2 offset:4
.LBB8_91:
	s_or_b32 exec_lo, exec_lo, s7
	s_and_not1_saveexec_b32 s3, s3
	s_cbranch_execz .LBB8_78
.LBB8_92:
	ds_load_b64 v[1:2], v11
	s_waitcnt lgkmcnt(0)
	v_xor_b32_e32 v2, 0x80000000, v2
	ds_store_b64 v4, v[1:2]
	s_or_b32 exec_lo, exec_lo, s3
	s_and_saveexec_b32 s3, s4
	s_delay_alu instid0(SALU_CYCLE_1)
	s_xor_b32 s3, exec_lo, s3
	s_cbranch_execz .LBB8_79
.LBB8_93:
	s_mov_b32 s4, exec_lo
	v_cmpx_eq_u32_e64 v7, v0
	s_cbranch_execz .LBB8_95
; %bb.94:
	v_mul_u32_u24_e32 v1, 34, v0
	s_delay_alu instid0(VALU_DEP_1)
	v_dual_mov_b32 v2, 0 :: v_dual_lshlrev_b32 v1, 3, v1
	ds_store_b32 v1, v2 offset:4
.LBB8_95:
	s_or_b32 exec_lo, exec_lo, s4
	s_and_not1_saveexec_b32 s3, s3
	s_cbranch_execz .LBB8_80
.LBB8_96:
	ds_load_b64 v[1:2], v9
	s_waitcnt lgkmcnt(0)
	v_xor_b32_e32 v2, 0x80000000, v2
	ds_store_b64 v4, v[1:2] offset:8
	s_or_b32 exec_lo, exec_lo, s3
	s_and_saveexec_b32 s3, s5
	s_delay_alu instid0(SALU_CYCLE_1)
	s_xor_b32 s3, exec_lo, s3
	s_cbranch_execz .LBB8_81
.LBB8_97:
	s_mov_b32 s4, exec_lo
	v_cmpx_eq_u32_e64 v8, v0
	s_cbranch_execz .LBB8_99
; %bb.98:
	v_mul_u32_u24_e32 v1, 34, v0
	s_delay_alu instid0(VALU_DEP_1)
	v_dual_mov_b32 v2, 0 :: v_dual_lshlrev_b32 v1, 3, v1
	ds_store_b32 v1, v2 offset:4
.LBB8_99:
	s_or_b32 exec_lo, exec_lo, s4
	s_and_not1_saveexec_b32 s3, s3
	s_cbranch_execz .LBB8_82
.LBB8_100:
	ds_load_b64 v[1:2], v9 offset:264
	s_waitcnt lgkmcnt(0)
	v_xor_b32_e32 v2, 0x80000000, v2
	ds_store_b64 v4, v[1:2] offset:16
	s_or_b32 exec_lo, exec_lo, s3
	s_and_saveexec_b32 s3, s6
	s_delay_alu instid0(SALU_CYCLE_1)
	s_xor_b32 s3, exec_lo, s3
	s_cbranch_execz .LBB8_83
.LBB8_101:
	s_mov_b32 s4, exec_lo
	v_cmpx_eq_u32_e64 v10, v0
	s_cbranch_execz .LBB8_103
; %bb.102:
	v_mul_u32_u24_e32 v1, 34, v0
	s_delay_alu instid0(VALU_DEP_1)
	v_dual_mov_b32 v2, 0 :: v_dual_lshlrev_b32 v1, 3, v1
	ds_store_b32 v1, v2 offset:4
.LBB8_103:
	s_or_b32 exec_lo, exec_lo, s4
	s_and_not1_saveexec_b32 s3, s3
	s_cbranch_execnz .LBB8_84
	s_branch .LBB8_85
.LBB8_104:
                                        ; implicit-def: $vgpr6
                                        ; implicit-def: $vgpr7
                                        ; implicit-def: $vgpr1
                                        ; implicit-def: $vgpr8
                                        ; implicit-def: $vgpr2
                                        ; implicit-def: $vgpr10
                                        ; implicit-def: $vgpr11
.LBB8_105:
	v_lshlrev_b32_e32 v9, 3, v0
	s_ashr_i32 s13, s12, 31
	v_or_b32_e32 v6, 32, v0
	s_lshl_b64 s[6:7], s[12:13], 3
	v_cmp_le_i32_e64 s4, s12, v5
	v_sub_co_u32 v1, vcc_lo, v24, v9
	v_subrev_co_ci_u32_e32 v2, vcc_lo, 0, v25, vcc_lo
	s_delay_alu instid0(VALU_DEP_2) | instskip(NEXT) | instid1(VALU_DEP_2)
	v_add_co_u32 v1, vcc_lo, v1, s6
	v_add_co_ci_u32_e32 v2, vcc_lo, s7, v2, vcc_lo
	s_delay_alu instid0(VALU_DEP_2) | instskip(NEXT) | instid1(VALU_DEP_2)
	v_add_co_u32 v1, vcc_lo, 0xfffffef8, v1
	v_add_co_ci_u32_e32 v2, vcc_lo, -1, v2, vcc_lo
	v_cmp_gt_i32_e32 vcc_lo, s12, v6
	v_mad_u32_u24 v6, v5, 33, v0
	s_delay_alu instid0(VALU_DEP_3) | instskip(NEXT) | instid1(VALU_DEP_2)
	v_dual_cndmask_b32 v2, v2, v25 :: v_dual_cndmask_b32 v1, v1, v24
	v_lshlrev_b32_e32 v12, 3, v6
	s_and_saveexec_b32 s5, s4
	s_delay_alu instid0(SALU_CYCLE_1)
	s_xor_b32 s4, exec_lo, s5
	s_cbranch_execz .LBB8_107
; %bb.106:
	v_mov_b32_e32 v7, 0
	s_delay_alu instid0(VALU_DEP_1)
	v_mov_b32_e32 v8, v7
	ds_store_b64 v12, v[7:8]
.LBB8_107:
	s_and_not1_saveexec_b32 s4, s4
	s_cbranch_execz .LBB8_109
; %bb.108:
	global_load_b64 v[7:8], v[1:2], off
	s_waitcnt vmcnt(0)
	ds_store_b64 v12, v[7:8]
.LBB8_109:
	s_or_b32 exec_lo, exec_lo, s4
	v_add_nc_u32_e32 v7, 8, v5
	s_delay_alu instid0(VALU_DEP_1) | instskip(NEXT) | instid1(VALU_DEP_1)
	v_cmp_le_i32_e64 s4, s12, v7
	s_and_saveexec_b32 s5, s4
	s_delay_alu instid0(SALU_CYCLE_1)
	s_xor_b32 s4, exec_lo, s5
	s_cbranch_execz .LBB8_111
; %bb.110:
	v_mul_u32_u24_e32 v8, 33, v7
	v_mov_b32_e32 v10, 0
	s_delay_alu instid0(VALU_DEP_2) | instskip(NEXT) | instid1(VALU_DEP_2)
	v_add_lshl_u32 v8, v8, v0, 3
	v_mov_b32_e32 v11, v10
	ds_store_b64 v8, v[10:11]
.LBB8_111:
	s_and_not1_saveexec_b32 s5, s4
	s_cbranch_execz .LBB8_113
; %bb.112:
	s_lshl_b64 s[18:19], s[24:25], 6
	s_delay_alu instid0(SALU_CYCLE_1) | instskip(NEXT) | instid1(VALU_DEP_1)
	v_add_co_u32 v10, s4, v1, s18
	v_add_co_ci_u32_e64 v11, s4, s19, v2, s4
	global_load_b64 v[10:11], v[10:11], off
	s_waitcnt vmcnt(0)
	ds_store_b64 v12, v[10:11] offset:2112
.LBB8_113:
	s_or_b32 exec_lo, exec_lo, s5
	v_add_nc_u32_e32 v8, 16, v5
	s_delay_alu instid0(VALU_DEP_1) | instskip(NEXT) | instid1(VALU_DEP_1)
	v_cmp_le_i32_e64 s4, s12, v8
	s_and_saveexec_b32 s5, s4
	s_delay_alu instid0(SALU_CYCLE_1)
	s_xor_b32 s4, exec_lo, s5
	s_cbranch_execz .LBB8_115
; %bb.114:
	v_mul_u32_u24_e32 v11, 33, v8
	v_mov_b32_e32 v10, 0
	s_delay_alu instid0(VALU_DEP_2) | instskip(NEXT) | instid1(VALU_DEP_2)
	v_add_lshl_u32 v0, v11, v0, 3
	v_mov_b32_e32 v11, v10
	ds_store_b64 v0, v[10:11]
.LBB8_115:
	s_and_not1_saveexec_b32 s5, s4
	s_cbranch_execz .LBB8_117
; %bb.116:
	s_lshl_b64 s[18:19], s[24:25], 7
	s_delay_alu instid0(SALU_CYCLE_1) | instskip(NEXT) | instid1(VALU_DEP_1)
	v_add_co_u32 v10, s4, v1, s18
	v_add_co_ci_u32_e64 v11, s4, s19, v2, s4
	global_load_b64 v[10:11], v[10:11], off
	s_waitcnt vmcnt(0)
	ds_store_b64 v12, v[10:11] offset:4224
.LBB8_117:
	s_or_b32 exec_lo, exec_lo, s5
	v_add_nc_u32_e32 v10, 24, v5
                                        ; implicit-def: $vgpr11
	s_delay_alu instid0(VALU_DEP_1) | instskip(NEXT) | instid1(VALU_DEP_1)
	v_cmp_le_i32_e64 s4, s12, v10
	s_and_saveexec_b32 s5, s4
	s_delay_alu instid0(SALU_CYCLE_1)
	s_xor_b32 s4, exec_lo, s5
	s_cbranch_execz .LBB8_119
; %bb.118:
	v_mov_b32_e32 v13, 0
	s_delay_alu instid0(VALU_DEP_1)
	v_dual_mov_b32 v14, v13 :: v_dual_add_nc_u32 v11, 0x318, v6
	ds_store_b64 v12, v[13:14] offset:6336
                                        ; implicit-def: $vgpr12
.LBB8_119:
	s_and_not1_saveexec_b32 s4, s4
	s_cbranch_execz .LBB8_121
; %bb.120:
	v_mad_u64_u32 v[13:14], null, 0xc0, s24, v[1:2]
	s_delay_alu instid0(VALU_DEP_1) | instskip(NEXT) | instid1(VALU_DEP_1)
	v_dual_mov_b32 v0, v14 :: v_dual_add_nc_u32 v11, 0x318, v6
	v_mad_u64_u32 v[14:15], null, 0xc0, s25, v[0:1]
	global_load_b64 v[13:14], v[13:14], off
	s_waitcnt vmcnt(0)
	ds_store_b64 v12, v[13:14] offset:6336
.LBB8_121:
	s_or_b32 exec_lo, exec_lo, s4
	v_add_co_u32 v0, s4, v1, v9
	s_delay_alu instid0(VALU_DEP_1) | instskip(NEXT) | instid1(VALU_DEP_2)
	v_add_co_ci_u32_e64 v1, s4, 0, v2, s4
	v_sub_co_u32 v0, s4, v0, s6
	s_delay_alu instid0(VALU_DEP_1) | instskip(NEXT) | instid1(VALU_DEP_2)
	v_subrev_co_ci_u32_e64 v1, s4, s7, v1, s4
	v_add_co_u32 v0, s4, 0x108, v0
	s_delay_alu instid0(VALU_DEP_1) | instskip(NEXT) | instid1(VALU_DEP_2)
	v_add_co_ci_u32_e64 v2, s4, 0, v1, s4
	v_dual_cndmask_b32 v24, v0, v24 :: v_dual_add_nc_u32 v1, 0x108, v6
	s_delay_alu instid0(VALU_DEP_2)
	v_dual_cndmask_b32 v25, v2, v25 :: v_dual_add_nc_u32 v2, 0x210, v6
.LBB8_122:
	v_lshlrev_b32_e32 v0, 3, v6
	v_lshlrev_b32_e32 v5, 3, v5
	s_delay_alu instid0(VALU_DEP_4)
	v_lshlrev_b32_e32 v1, 3, v1
	v_lshlrev_b32_e32 v6, 3, v7
	;; [unrolled: 1-line block ×6, first 2 shown]
	s_waitcnt lgkmcnt(0)
	s_barrier
	buffer_gl0_inv
	ds_load_b64 v[30:31], v0
	ds_load_b64 v[32:33], v5 offset:9088
	ds_load_b64 v[34:35], v1
	ds_load_b64 v[36:37], v6 offset:9088
	;; [unrolled: 2-line block ×4, first 2 shown]
	ds_load_b128 v[8:11], v3 offset:256
	ds_load_b128 v[0:3], v3 offset:272
	ds_load_2addr_b64 v[12:15], v4 offset1:1
	ds_load_2addr_b64 v[4:7], v4 offset0:2 offset1:3
	s_waitcnt lgkmcnt(0)
	s_barrier
	buffer_gl0_inv
	v_mul_f32_e32 v46, v33, v31
	v_mul_f32_e32 v31, v32, v31
	;; [unrolled: 1-line block ×4, first 2 shown]
	s_delay_alu instid0(VALU_DEP_4) | instskip(NEXT) | instid1(VALU_DEP_4)
	v_fma_f32 v32, v32, v30, -v46
	v_dual_fmac_f32 v31, v33, v30 :: v_dual_mul_f32 v30, v40, v39
	v_mul_f32_e32 v35, v36, v35
	v_fma_f32 v33, v36, v34, -v47
	s_delay_alu instid0(VALU_DEP_4) | instskip(NEXT) | instid1(VALU_DEP_4)
	v_dual_add_f32 v32, 0, v32 :: v_dual_mul_f32 v49, v45, v43
	v_fmac_f32_e32 v30, v41, v38
	s_delay_alu instid0(VALU_DEP_4) | instskip(SKIP_4) | instid1(VALU_DEP_4)
	v_dual_fmac_f32 v35, v37, v34 :: v_dual_mul_f32 v34, v44, v43
	v_add_f32_e32 v31, 0, v31
	v_fma_f32 v36, v40, v38, -v48
	v_add_f32_e32 v32, v32, v33
	v_fma_f32 v33, v44, v42, -v49
	v_dual_fmac_f32 v34, v45, v42 :: v_dual_add_f32 v31, v31, v35
	s_delay_alu instid0(VALU_DEP_1) | instskip(NEXT) | instid1(VALU_DEP_1)
	v_dual_add_f32 v32, v32, v36 :: v_dual_add_f32 v31, v31, v30
	v_dual_add_f32 v30, v32, v33 :: v_dual_add_f32 v31, v31, v34
	ds_store_b64 v29, v[30:31]
	s_waitcnt lgkmcnt(0)
	s_barrier
	buffer_gl0_inv
	s_and_saveexec_b32 s4, s3
	s_cbranch_execz .LBB8_124
; %bb.123:
	v_lshlrev_b32_e32 v42, 3, v28
	ds_load_2addr_b64 v[30:33], v42 offset1:1
	ds_load_2addr_b64 v[34:37], v42 offset0:2 offset1:3
	s_waitcnt lgkmcnt(1)
	v_dual_add_f32 v19, v19, v31 :: v_dual_add_f32 v18, v18, v30
	ds_load_2addr_b64 v[38:41], v42 offset0:4 offset1:5
	v_dual_add_f32 v19, v19, v33 :: v_dual_add_f32 v18, v18, v32
	ds_load_2addr_b64 v[30:33], v42 offset0:6 offset1:7
	s_waitcnt lgkmcnt(2)
	v_dual_add_f32 v19, v19, v35 :: v_dual_add_f32 v18, v18, v34
	s_delay_alu instid0(VALU_DEP_1) | instskip(SKIP_1) | instid1(VALU_DEP_1)
	v_dual_add_f32 v19, v19, v37 :: v_dual_add_f32 v18, v18, v36
	s_waitcnt lgkmcnt(1)
	v_dual_add_f32 v19, v19, v39 :: v_dual_add_f32 v18, v18, v38
	s_delay_alu instid0(VALU_DEP_1) | instskip(SKIP_1) | instid1(VALU_DEP_1)
	v_dual_add_f32 v19, v19, v41 :: v_dual_add_f32 v18, v18, v40
	s_waitcnt lgkmcnt(0)
	v_dual_add_f32 v19, v19, v31 :: v_dual_add_f32 v18, v18, v30
	s_delay_alu instid0(VALU_DEP_1)
	v_dual_add_f32 v19, v19, v33 :: v_dual_add_f32 v18, v18, v32
.LBB8_124:
	s_or_b32 exec_lo, exec_lo, s4
	v_dual_mul_f32 v30, v13, v9 :: v_dual_mul_f32 v31, v15, v11
	v_dual_mul_f32 v15, v15, v10 :: v_dual_mul_f32 v32, v5, v1
	s_delay_alu instid0(VALU_DEP_2) | instskip(SKIP_1) | instid1(VALU_DEP_4)
	v_fmac_f32_e32 v30, v12, v8
	v_mul_f32_e32 v13, v13, v8
	v_fmac_f32_e32 v31, v14, v10
	s_delay_alu instid0(VALU_DEP_4)
	v_fma_f32 v11, v14, v11, -v15
	s_barrier
	v_add_f32_e32 v10, 0, v30
	v_fma_f32 v8, v12, v9, -v13
	v_mul_f32_e32 v9, v7, v3
	v_dual_mul_f32 v7, v7, v2 :: v_dual_fmac_f32 v32, v4, v0
	buffer_gl0_inv
	v_add_f32_e32 v8, 0, v8
	v_dual_mul_f32 v5, v5, v0 :: v_dual_add_f32 v0, v10, v31
	v_fmac_f32_e32 v9, v6, v2
	v_fma_f32 v2, v6, v3, -v7
	s_delay_alu instid0(VALU_DEP_3) | instskip(SKIP_1) | instid1(VALU_DEP_1)
	v_fma_f32 v1, v4, v1, -v5
	v_add_f32_e32 v4, v8, v11
	v_add_f32_e32 v1, v4, v1
	s_delay_alu instid0(VALU_DEP_1) | instskip(NEXT) | instid1(VALU_DEP_1)
	v_dual_add_f32 v0, v0, v32 :: v_dual_add_f32 v1, v1, v2
	v_add_f32_e32 v0, v0, v9
	ds_store_b64 v29, v[0:1]
	s_waitcnt lgkmcnt(0)
	s_barrier
	buffer_gl0_inv
	s_and_saveexec_b32 s3, s2
	s_cbranch_execz .LBB8_126
; %bb.125:
	v_lshlrev_b32_e32 v12, 3, v28
	ds_load_2addr_b64 v[0:3], v12 offset1:1
	ds_load_2addr_b64 v[4:7], v12 offset0:2 offset1:3
	s_waitcnt lgkmcnt(1)
	v_add_f32_e32 v1, v19, v1
	ds_load_2addr_b64 v[8:11], v12 offset0:4 offset1:5
	v_add_f32_e32 v14, v1, v3
	s_waitcnt lgkmcnt(1)
	s_delay_alu instid0(VALU_DEP_1) | instskip(NEXT) | instid1(VALU_DEP_1)
	v_add_f32_e32 v5, v14, v5
	v_dual_add_f32 v0, v18, v0 :: v_dual_add_f32 v5, v5, v7
	s_delay_alu instid0(VALU_DEP_1) | instskip(SKIP_3) | instid1(VALU_DEP_1)
	v_add_f32_e32 v13, v0, v2
	ds_load_2addr_b64 v[0:3], v12 offset0:6 offset1:7
	v_add_f32_e32 v4, v13, v4
	s_waitcnt lgkmcnt(1)
	v_dual_add_f32 v5, v5, v9 :: v_dual_add_f32 v4, v4, v6
	s_delay_alu instid0(VALU_DEP_1) | instskip(SKIP_1) | instid1(VALU_DEP_1)
	v_dual_add_f32 v5, v5, v11 :: v_dual_add_f32 v4, v4, v8
	s_waitcnt lgkmcnt(0)
	v_dual_add_f32 v4, v4, v10 :: v_dual_add_f32 v1, v5, v1
	s_delay_alu instid0(VALU_DEP_1) | instskip(NEXT) | instid1(VALU_DEP_1)
	v_dual_add_f32 v0, v4, v0 :: v_dual_add_f32 v19, v1, v3
	v_add_f32_e32 v18, v0, v2
.LBB8_126:
	s_or_b32 exec_lo, exec_lo, s3
	s_mul_hi_u32 s2, s33, s15
	s_mul_i32 s29, s29, s15
	s_mul_i32 s3, s33, s15
	s_add_i32 s2, s2, s29
	s_mul_hi_u32 s5, s3, s28
	s_mul_i32 s4, s2, s28
	s_mul_i32 s2, s3, s28
	s_add_i32 s3, s5, s4
	s_mul_i32 s4, s14, s33
	s_lshl_b64 s[2:3], s[2:3], 3
	v_cmp_le_i32_e32 vcc_lo, s12, v26
	s_add_u32 s6, s8, s2
	s_addc_u32 s7, s9, s3
	s_ashr_i32 s5, s4, 31
	v_lshlrev_b32_e32 v73, 3, v26
	s_lshl_b64 s[2:3], s[4:5], 3
	s_delay_alu instid0(SALU_CYCLE_1)
	s_add_u32 s6, s6, s2
	s_addc_u32 s7, s7, s3
	s_and_b32 vcc_lo, s20, vcc_lo
	s_cmp_lt_i32 s14, 1
	s_barrier
	buffer_gl0_inv
	s_cbranch_scc1 .LBB8_133
; %bb.127:
	v_lshlrev_b32_e32 v4, 2, v72
	s_mul_i32 s3, s10, s37
	s_mul_hi_u32 s5, s10, s36
	s_mul_i32 s11, s11, s36
	s_mul_i32 s4, s10, s36
	v_mad_u64_u32 v[0:1], null, v4, s24, 0
	s_ashr_i32 s13, s12, 31
	v_and_b32_e32 v6, 15, v26
	s_lshl_b64 s[8:9], s[12:13], 3
	v_lshrrev_b32_e32 v7, 4, v27
	v_add_nc_u32_e32 v76, 0x2180, v73
	v_lshl_add_u32 v81, v72, 5, 0x2180
	v_mad_u64_u32 v[2:3], null, v4, s25, v[1:2]
	v_sub_co_u32 v3, s2, v24, s16
	s_delay_alu instid0(VALU_DEP_1) | instskip(SKIP_2) | instid1(VALU_DEP_4)
	v_subrev_co_ci_u32_e64 v4, s2, s17, v25, s2
	s_add_i32 s2, s5, s3
	v_mad_u32_u24 v82, 0x860, v72, v73
	v_mov_b32_e32 v1, v2
	s_add_i32 s5, s2, s11
	v_sub_co_u32 v2, s2, v3, v22
	s_delay_alu instid0(VALU_DEP_1) | instskip(NEXT) | instid1(VALU_DEP_3)
	v_sub_co_ci_u32_e64 v3, s2, v4, v23, s2
	v_lshlrev_b64 v[0:1], 3, v[0:1]
	s_lshl_b64 s[4:5], s[4:5], 3
	s_mul_i32 s3, s25, 0x68
	s_mov_b32 s10, 0
	v_add_nc_u32_e32 v77, 0x2380, v73
	s_delay_alu instid0(VALU_DEP_2) | instskip(NEXT) | instid1(VALU_DEP_1)
	v_add_co_u32 v0, s2, v2, v0
	v_add_co_ci_u32_e64 v1, s2, v3, v1, s2
	v_sub_co_u32 v74, s2, v20, s4
	s_delay_alu instid0(VALU_DEP_1) | instskip(NEXT) | instid1(VALU_DEP_4)
	v_subrev_co_ci_u32_e64 v75, s2, s5, v21, s2
	v_add_co_u32 v2, s2, v0, s8
	s_delay_alu instid0(VALU_DEP_1) | instskip(SKIP_1) | instid1(VALU_DEP_1)
	v_add_co_ci_u32_e64 v3, s2, s9, v1, s2
	v_add_co_u32 v0, s2, v0, v73
	v_add_co_ci_u32_e64 v1, s2, 0, v1, s2
	s_delay_alu instid0(VALU_DEP_4) | instskip(NEXT) | instid1(VALU_DEP_1)
	v_add_co_u32 v2, s2, 0xfffffef8, v2
	v_add_co_ci_u32_e64 v3, s2, -1, v3, s2
	s_delay_alu instid0(VALU_DEP_4) | instskip(NEXT) | instid1(VALU_DEP_1)
	v_add_co_u32 v0, s2, 0xffffff00, v0
	v_add_co_ci_u32_e64 v4, s2, -1, v1, s2
	v_dual_mov_b32 v1, 0 :: v_dual_and_b32 v8, 48, v26
	v_cmp_gt_u32_e64 s2, 64, v27
	s_delay_alu instid0(VALU_DEP_3)
	v_cndmask_b32_e32 v5, v4, v3, vcc_lo
	v_cndmask_b32_e32 v4, v0, v2, vcc_lo
	v_or_b32_e32 v2, 0x78, v73
	v_lshlrev_b32_e32 v0, 3, v8
	v_lshlrev_b32_e32 v3, 5, v7
	v_or_b32_e32 v84, v8, v6
	s_mul_hi_u32 s8, s24, 0x68
	v_mad_u32_u24 v79, 0x218, v6, v2
	v_mad_u32_u24 v78, 0x218, v6, v0
	v_lshlrev_b32_e32 v0, 3, v7
	v_mad_u32_u24 v80, 0x218, v6, v3
	s_lshl_b64 s[4:5], s[24:25], 3
	s_add_i32 s8, s8, s3
	s_mul_i32 s9, s24, 0x68
	v_mad_u32_u24 v83, 0x218, v6, v0
	s_branch .LBB8_129
.LBB8_128:                              ;   in Loop: Header=BB8_129 Depth=1
	s_or_b32 exec_lo, exec_lo, s11
	v_mul_f32_e32 v0, v3, v11
	v_dual_mul_f32 v11, v2, v11 :: v_dual_mul_f32 v86, v9, v29
	v_mul_f32_e32 v85, v7, v27
	v_mul_f32_e32 v27, v6, v27
	s_delay_alu instid0(VALU_DEP_4)
	v_fma_f32 v0, v2, v10, -v0
	v_mul_f32_e32 v2, v8, v29
	v_mul_f32_e32 v29, v5, v25
	;; [unrolled: 1-line block ×3, first 2 shown]
	v_fma_f32 v6, v6, v26, -v85
	v_dual_add_f32 v0, v18, v0 :: v_dual_fmac_f32 v11, v3, v10
	v_mul_f32_e32 v18, v23, v41
	v_mul_f32_e32 v41, v22, v41
	v_fma_f32 v3, v8, v28, -v86
	s_delay_alu instid0(VALU_DEP_4) | instskip(SKIP_3) | instid1(VALU_DEP_4)
	v_add_f32_e32 v0, v0, v6
	v_dual_mul_f32 v6, v21, v45 :: v_dual_fmac_f32 v27, v7, v26
	v_dual_add_f32 v7, v19, v11 :: v_dual_fmac_f32 v2, v9, v28
	v_fma_f32 v4, v4, v24, -v29
	v_add_f32_e32 v0, v0, v3
	v_fma_f32 v8, v22, v40, -v18
	s_delay_alu instid0(VALU_DEP_4)
	v_add_f32_e32 v7, v7, v27
	v_mul_f32_e32 v3, v20, v45
	v_fmac_f32_e32 v41, v23, v40
	v_add_f32_e32 v0, v0, v4
	v_dual_mul_f32 v4, v15, v43 :: v_dual_fmac_f32 v25, v5, v24
	v_add_f32_e32 v2, v7, v2
	v_fma_f32 v5, v20, v44, -v6
	s_delay_alu instid0(VALU_DEP_4) | instskip(SKIP_1) | instid1(VALU_DEP_4)
	v_add_f32_e32 v0, v0, v8
	v_mul_f32_e32 v6, v13, v39
	v_dual_fmac_f32 v3, v21, v44 :: v_dual_add_f32 v2, v2, v25
	v_fma_f32 v4, v14, v42, -v4
	s_delay_alu instid0(VALU_DEP_4) | instskip(NEXT) | instid1(VALU_DEP_4)
	v_dual_add_f32 v0, v0, v5 :: v_dual_mul_f32 v5, v14, v43
	v_fma_f32 v6, v12, v38, -v6
	s_delay_alu instid0(VALU_DEP_4)
	v_add_f32_e32 v2, v2, v41
	s_add_i32 s14, s14, -1
	s_add_i32 s10, s10, 64
	v_fmac_f32_e32 v5, v15, v42
	s_cmp_eq_u32 s14, 0
	v_add_f32_e32 v2, v2, v3
	v_mul_f32_e32 v3, v12, v39
	v_add_f32_e32 v0, v0, v4
	v_mul_f32_e32 v4, v37, v57
	s_waitcnt_vscnt null, 0x0
	s_delay_alu instid0(VALU_DEP_3) | instskip(SKIP_4) | instid1(VALU_DEP_3)
	v_dual_add_f32 v2, v2, v5 :: v_dual_fmac_f32 v3, v13, v38
	v_mul_f32_e32 v5, v36, v57
	v_add_f32_e32 v0, v0, v6
	v_mul_f32_e32 v6, v35, v63
	s_barrier
	v_dual_add_f32 v2, v2, v3 :: v_dual_fmac_f32 v5, v37, v56
	v_mul_f32_e32 v3, v34, v63
	v_fma_f32 v4, v36, v56, -v4
	v_mul_f32_e32 v7, v48, v67
	buffer_gl0_inv
	v_dual_add_f32 v2, v2, v5 :: v_dual_fmac_f32 v3, v35, v62
	v_mul_f32_e32 v5, v32, v61
	v_add_f32_e32 v0, v0, v4
	v_fma_f32 v4, v34, v62, -v6
	s_delay_alu instid0(VALU_DEP_4) | instskip(NEXT) | instid1(VALU_DEP_4)
	v_dual_fmac_f32 v7, v49, v66 :: v_dual_add_f32 v2, v2, v3
	v_fmac_f32_e32 v5, v33, v60
	s_delay_alu instid0(VALU_DEP_3) | instskip(NEXT) | instid1(VALU_DEP_2)
	v_dual_mul_f32 v3, v55, v65 :: v_dual_add_f32 v0, v0, v4
	v_add_f32_e32 v2, v2, v5
	v_mul_f32_e32 v5, v54, v65
	v_mul_f32_e32 v6, v33, v61
	s_delay_alu instid0(VALU_DEP_4) | instskip(NEXT) | instid1(VALU_DEP_3)
	v_fma_f32 v3, v54, v64, -v3
	v_fmac_f32_e32 v5, v55, v64
	s_delay_alu instid0(VALU_DEP_3) | instskip(SKIP_1) | instid1(VALU_DEP_2)
	v_fma_f32 v4, v32, v60, -v6
	v_mul_f32_e32 v6, v31, v59
	v_add_f32_e32 v0, v0, v4
	s_delay_alu instid0(VALU_DEP_2) | instskip(SKIP_1) | instid1(VALU_DEP_2)
	v_fma_f32 v4, v30, v58, -v6
	v_mul_f32_e32 v6, v30, v59
	v_add_f32_e32 v0, v0, v4
	v_mul_f32_e32 v4, v53, v71
	s_delay_alu instid0(VALU_DEP_3) | instskip(NEXT) | instid1(VALU_DEP_3)
	v_fmac_f32_e32 v6, v31, v58
	v_add_f32_e32 v0, v0, v3
	s_delay_alu instid0(VALU_DEP_3) | instskip(NEXT) | instid1(VALU_DEP_3)
	v_fma_f32 v3, v52, v70, -v4
	v_add_f32_e32 v2, v2, v6
	v_mul_f32_e32 v4, v52, v71
	v_mul_f32_e32 v6, v51, v69
	s_delay_alu instid0(VALU_DEP_4) | instskip(NEXT) | instid1(VALU_DEP_3)
	v_dual_add_f32 v0, v0, v3 :: v_dual_mul_f32 v3, v50, v69
	v_fmac_f32_e32 v4, v53, v70
	v_add_f32_e32 v2, v2, v5
	s_delay_alu instid0(VALU_DEP_4) | instskip(NEXT) | instid1(VALU_DEP_4)
	v_fma_f32 v5, v50, v68, -v6
	v_dual_mul_f32 v6, v49, v67 :: v_dual_fmac_f32 v3, v51, v68
	s_delay_alu instid0(VALU_DEP_3) | instskip(NEXT) | instid1(VALU_DEP_3)
	v_add_f32_e32 v2, v2, v4
	v_add_f32_e32 v0, v0, v5
	s_delay_alu instid0(VALU_DEP_3) | instskip(NEXT) | instid1(VALU_DEP_3)
	v_fma_f32 v4, v48, v66, -v6
	v_add_f32_e32 v2, v2, v3
	s_delay_alu instid0(VALU_DEP_2) | instskip(SKIP_1) | instid1(VALU_DEP_3)
	v_add_f32_e32 v18, v0, v4
	v_add_co_u32 v4, s3, v46, s9
	v_add_f32_e32 v19, v2, v7
	v_add_co_ci_u32_e64 v5, s3, s8, v47, s3
	s_cbranch_scc1 .LBB8_133
.LBB8_129:                              ; =>This Inner Loop Header: Depth=1
	s_and_saveexec_b32 s11, s1
	s_cbranch_execz .LBB8_131
; %bb.130:                              ;   in Loop: Header=BB8_129 Depth=1
	s_mul_i32 s3, s10, s37
	s_mul_hi_u32 s13, s10, s36
	s_mul_i32 s12, s10, s36
	s_add_i32 s13, s13, s3
	s_delay_alu instid0(SALU_CYCLE_1) | instskip(NEXT) | instid1(SALU_CYCLE_1)
	s_lshl_b64 s[12:13], s[12:13], 3
	v_add_co_u32 v2, s3, v74, s12
	s_delay_alu instid0(VALU_DEP_1)
	v_add_co_ci_u32_e64 v3, s3, s13, v75, s3
	global_load_b64 v[2:3], v[2:3], off
	s_waitcnt vmcnt(0)
	ds_store_b64 v76, v[2:3]
.LBB8_131:                              ;   in Loop: Header=BB8_129 Depth=1
	s_or_b32 exec_lo, exec_lo, s11
	s_waitcnt lgkmcnt(0)
	s_barrier
	buffer_gl0_inv
	global_load_b64 v[2:3], v[4:5], off
	v_add_co_u32 v4, s3, v4, s4
	s_delay_alu instid0(VALU_DEP_1) | instskip(SKIP_2) | instid1(VALU_DEP_1)
	v_add_co_ci_u32_e64 v5, s3, s5, v5, s3
	global_load_b64 v[6:7], v[4:5], off
	v_add_co_u32 v4, s3, v4, s4
	v_add_co_ci_u32_e64 v5, s3, s5, v5, s3
	s_delay_alu instid0(VALU_DEP_2) | instskip(NEXT) | instid1(VALU_DEP_1)
	v_add_co_u32 v12, s3, v4, s4
	v_add_co_ci_u32_e64 v13, s3, s5, v5, s3
	s_clause 0x1
	global_load_b64 v[8:9], v[4:5], off
	global_load_b64 v[4:5], v[12:13], off
	ds_load_b64 v[14:15], v77
	ds_load_b64 v[10:11], v81
	v_add_co_u32 v12, s3, v12, s9
	s_delay_alu instid0(VALU_DEP_1) | instskip(NEXT) | instid1(VALU_DEP_2)
	v_add_co_ci_u32_e64 v13, s3, s8, v13, s3
	v_add_co_u32 v30, s3, v12, s4
	s_delay_alu instid0(VALU_DEP_1) | instskip(NEXT) | instid1(VALU_DEP_2)
	v_add_co_ci_u32_e64 v31, s3, s5, v13, s3
	v_add_co_u32 v32, s3, v30, s4
	s_delay_alu instid0(VALU_DEP_1) | instskip(SKIP_3) | instid1(VALU_DEP_2)
	v_add_co_ci_u32_e64 v33, s3, s5, v31, s3
	s_waitcnt vmcnt(3) lgkmcnt(1)
	v_mul_f32_e32 v20, v3, v15
	v_mul_f32_e32 v0, v3, v14
	v_fmac_f32_e32 v20, v2, v14
	s_delay_alu instid0(VALU_DEP_2)
	v_fma_f32 v21, v2, v15, -v0
	s_waitcnt vmcnt(2)
	v_mul_f32_e32 v0, v7, v14
	v_mul_f32_e32 v22, v7, v15
	ds_store_b64 v82, v[20:21]
	ds_load_b64 v[26:27], v81 offset:8
	v_fma_f32 v23, v6, v15, -v0
	v_fmac_f32_e32 v22, v6, v14
	s_waitcnt vmcnt(1)
	v_mul_f32_e32 v20, v9, v15
	v_mul_f32_e32 v21, v9, v14
	s_waitcnt vmcnt(0)
	v_mul_f32_e32 v34, v5, v15
	v_mul_f32_e32 v0, v5, v14
	ds_store_b64 v82, v[22:23] offset:536
	v_fmac_f32_e32 v20, v8, v14
	v_fma_f32 v21, v8, v15, -v21
	v_fmac_f32_e32 v34, v4, v14
	v_fma_f32 v35, v4, v15, -v0
	ds_load_b64 v[28:29], v81 offset:16
	ds_store_b64 v82, v[20:21] offset:1072
	ds_load_b64 v[24:25], v81 offset:24
	ds_store_b64 v82, v[34:35] offset:1608
	v_add_co_u32 v34, s3, v32, s4
	s_waitcnt lgkmcnt(0)
	s_barrier
	buffer_gl0_inv
	ds_load_2addr_b64 v[85:88], v80 offset1:1
	ds_load_2addr_b64 v[89:92], v80 offset0:2 offset1:3
	s_waitcnt lgkmcnt(0)
	s_barrier
	buffer_gl0_inv
	global_load_b64 v[22:23], v[12:13], off
	v_add_co_ci_u32_e64 v35, s3, s5, v33, s3
	s_clause 0x1
	global_load_b64 v[20:21], v[30:31], off
	global_load_b64 v[14:15], v[32:33], off
	;; [unrolled: 1-line block ×3, first 2 shown]
	ds_load_b64 v[30:31], v77
	ds_load_b64 v[40:41], v81 offset:128
	v_add_co_u32 v32, s3, v34, s9
	s_delay_alu instid0(VALU_DEP_1) | instskip(NEXT) | instid1(VALU_DEP_2)
	v_add_co_ci_u32_e64 v33, s3, s8, v35, s3
	v_add_co_u32 v34, s3, v32, s4
	s_delay_alu instid0(VALU_DEP_1) | instskip(SKIP_1) | instid1(VALU_DEP_3)
	v_add_co_ci_u32_e64 v35, s3, s5, v33, s3
	v_add_f32_e32 v113, 0, v86
	v_add_co_u32 v46, s3, v34, s4
	s_delay_alu instid0(VALU_DEP_1)
	v_add_co_ci_u32_e64 v47, s3, s5, v35, s3
	s_waitcnt vmcnt(3) lgkmcnt(1)
	v_mul_f32_e32 v36, v23, v31
	v_mul_f32_e32 v0, v23, v30
	s_waitcnt vmcnt(2)
	v_mul_f32_e32 v38, v21, v31
	s_waitcnt vmcnt(1)
	v_dual_mul_f32 v39, v21, v30 :: v_dual_mul_f32 v48, v15, v31
	v_mul_f32_e32 v42, v15, v30
	s_waitcnt vmcnt(0)
	v_mul_f32_e32 v50, v13, v31
	v_mul_f32_e32 v43, v13, v30
	v_fmac_f32_e32 v36, v22, v30
	v_fma_f32 v37, v22, v31, -v0
	v_fmac_f32_e32 v38, v20, v30
	v_fma_f32 v39, v20, v31, -v39
	;; [unrolled: 2-line block ×4, first 2 shown]
	ds_store_b64 v82, v[36:37]
	ds_load_b64 v[44:45], v81 offset:136
	ds_store_b64 v82, v[38:39] offset:536
	ds_load_b64 v[42:43], v81 offset:144
	ds_store_b64 v82, v[48:49] offset:1072
	v_add_co_u32 v48, s3, v46, s4
	ds_load_b64 v[38:39], v81 offset:152
	ds_store_b64 v82, v[50:51] offset:1608
	s_waitcnt lgkmcnt(0)
	s_barrier
	buffer_gl0_inv
	ds_load_2addr_b64 v[93:96], v80 offset1:1
	ds_load_2addr_b64 v[97:100], v80 offset0:2 offset1:3
	s_waitcnt lgkmcnt(0)
	s_barrier
	buffer_gl0_inv
	global_load_b64 v[36:37], v[32:33], off
	v_add_co_ci_u32_e64 v49, s3, s5, v47, s3
	global_load_b64 v[34:35], v[34:35], off
	global_load_b64 v[32:33], v[46:47], off
	;; [unrolled: 1-line block ×3, first 2 shown]
	ds_load_b64 v[46:47], v77
	ds_load_b64 v[56:57], v81 offset:256
	v_add_co_u32 v48, s3, v48, s9
	s_delay_alu instid0(VALU_DEP_1) | instskip(NEXT) | instid1(VALU_DEP_2)
	v_add_co_ci_u32_e64 v49, s3, s8, v49, s3
	v_add_co_u32 v50, s3, v48, s4
	s_delay_alu instid0(VALU_DEP_1) | instskip(SKIP_1) | instid1(VALU_DEP_3)
	v_add_co_ci_u32_e64 v51, s3, s5, v49, s3
	v_add_f32_e32 v93, 0, v93
	v_add_co_u32 v64, s3, v50, s4
	s_delay_alu instid0(VALU_DEP_1) | instskip(NEXT) | instid1(VALU_DEP_3)
	v_add_co_ci_u32_e64 v65, s3, s5, v51, s3
	v_dual_add_f32 v93, v93, v95 :: v_dual_add_f32 v94, 0, v94
	s_waitcnt vmcnt(3) lgkmcnt(1)
	v_mul_f32_e32 v52, v37, v47
	v_mul_f32_e32 v0, v37, v46
	s_waitcnt vmcnt(2)
	v_mul_f32_e32 v54, v35, v47
	s_waitcnt vmcnt(1)
	v_dual_mul_f32 v55, v35, v46 :: v_dual_mul_f32 v58, v33, v47
	s_waitcnt vmcnt(0)
	v_dual_mul_f32 v59, v33, v46 :: v_dual_mul_f32 v66, v31, v47
	v_mul_f32_e32 v60, v31, v46
	v_fmac_f32_e32 v52, v36, v46
	v_fma_f32 v53, v36, v47, -v0
	v_fmac_f32_e32 v54, v34, v46
	v_fma_f32 v55, v34, v47, -v55
	;; [unrolled: 2-line block ×4, first 2 shown]
	ds_store_b64 v82, v[52:53]
	ds_load_b64 v[62:63], v81 offset:264
	ds_store_b64 v82, v[54:55] offset:536
	v_add_co_u32 v46, s3, v64, s4
	ds_load_b64 v[60:61], v81 offset:272
	ds_store_b64 v82, v[58:59] offset:1072
	ds_load_b64 v[58:59], v81 offset:280
	ds_store_b64 v82, v[66:67] offset:1608
	s_waitcnt lgkmcnt(0)
	s_barrier
	buffer_gl0_inv
	ds_load_2addr_b64 v[101:104], v80 offset1:1
	ds_load_2addr_b64 v[105:108], v80 offset0:2 offset1:3
	s_waitcnt lgkmcnt(0)
	s_barrier
	buffer_gl0_inv
	global_load_b64 v[54:55], v[48:49], off
	v_add_co_ci_u32_e64 v47, s3, s5, v65, s3
	global_load_b64 v[52:53], v[50:51], off
	global_load_b64 v[50:51], v[64:65], off
	global_load_b64 v[48:49], v[46:47], off
	ds_load_b64 v[66:67], v77
	ds_load_b64 v[64:65], v81 offset:384
	v_add_f32_e32 v0, 0, v85
	s_delay_alu instid0(VALU_DEP_1) | instskip(NEXT) | instid1(VALU_DEP_1)
	v_add_f32_e32 v0, v0, v87
	v_add_f32_e32 v0, v0, v89
	s_delay_alu instid0(VALU_DEP_1) | instskip(SKIP_2) | instid1(VALU_DEP_2)
	v_add_f32_e32 v89, v0, v91
	v_add_f32_e32 v91, v93, v97
	v_dual_add_f32 v93, 0, v102 :: v_dual_add_f32 v0, v94, v96
	v_add_f32_e32 v91, v91, v99
	s_delay_alu instid0(VALU_DEP_2) | instskip(SKIP_1) | instid1(VALU_DEP_1)
	v_dual_add_f32 v93, v93, v104 :: v_dual_add_f32 v0, v0, v98
	s_waitcnt vmcnt(3) lgkmcnt(1)
	v_dual_add_f32 v93, v93, v106 :: v_dual_mul_f32 v68, v55, v67
	v_mul_f32_e32 v69, v55, v66
	s_waitcnt vmcnt(2)
	v_mul_f32_e32 v85, v53, v67
	s_waitcnt vmcnt(1)
	v_dual_mul_f32 v70, v53, v66 :: v_dual_mul_f32 v109, v51, v67
	v_mul_f32_e32 v71, v51, v66
	s_waitcnt vmcnt(0)
	v_mul_f32_e32 v111, v49, v67
	v_mul_f32_e32 v112, v49, v66
	v_fma_f32 v69, v54, v67, -v69
	v_fmac_f32_e32 v68, v54, v66
	v_fmac_f32_e32 v85, v52, v66
	v_fma_f32 v86, v52, v67, -v70
	v_fmac_f32_e32 v109, v50, v66
	v_fma_f32 v110, v50, v67, -v71
	;; [unrolled: 2-line block ×3, first 2 shown]
	ds_store_b64 v82, v[68:69]
	ds_load_b64 v[70:71], v81 offset:392
	ds_store_b64 v82, v[85:86] offset:536
	ds_load_b64 v[68:69], v81 offset:400
	ds_store_b64 v82, v[109:110] offset:1072
	;; [unrolled: 2-line block ×3, first 2 shown]
	s_waitcnt lgkmcnt(0)
	s_barrier
	buffer_gl0_inv
	ds_load_2addr_b64 v[109:112], v80 offset1:1
	v_add_f32_e32 v85, v113, v88
	s_delay_alu instid0(VALU_DEP_1)
	v_add_f32_e32 v90, v85, v90
	ds_load_2addr_b64 v[85:88], v80 offset0:2 offset1:3
	s_waitcnt lgkmcnt(0)
	s_barrier
	buffer_gl0_inv
	v_add_f32_e32 v90, v90, v92
	v_add_f32_e32 v92, 0, v101
	s_delay_alu instid0(VALU_DEP_1) | instskip(SKIP_1) | instid1(VALU_DEP_2)
	v_add_f32_e32 v92, v92, v103
	v_dual_add_f32 v94, 0, v109 :: v_dual_add_f32 v95, 0, v110
	v_add_f32_e32 v96, v92, v105
	v_add_f32_e32 v92, v0, v100
	s_delay_alu instid0(VALU_DEP_3) | instskip(NEXT) | instid1(VALU_DEP_1)
	v_dual_add_f32 v94, v94, v111 :: v_dual_add_f32 v95, v95, v112
	v_dual_add_f32 v94, v94, v85 :: v_dual_add_f32 v95, v95, v86
	s_delay_alu instid0(VALU_DEP_4) | instskip(NEXT) | instid1(VALU_DEP_2)
	v_dual_add_f32 v85, v96, v107 :: v_dual_add_f32 v86, v93, v108
	v_dual_add_f32 v87, v94, v87 :: v_dual_add_f32 v88, v95, v88
	ds_store_2addr_b64 v83, v[89:90], v[91:92] offset1:16
	ds_store_2addr_b64 v83, v[85:86], v[87:88] offset0:32 offset1:48
	s_waitcnt lgkmcnt(0)
	s_barrier
	buffer_gl0_inv
	s_and_saveexec_b32 s11, s2
	s_cbranch_execz .LBB8_128
; %bb.132:                              ;   in Loop: Header=BB8_129 Depth=1
	ds_load_b64 v[96:97], v78
	ds_load_2addr_b64 v[85:88], v78 offset0:1 offset1:2
	ds_load_2addr_b64 v[89:92], v78 offset0:3 offset1:4
	s_waitcnt lgkmcnt(1)
	v_dual_add_f32 v0, v85, v96 :: v_dual_add_f32 v85, v86, v97
	ds_load_2addr_b64 v[93:96], v78 offset0:5 offset1:6
	v_dual_add_f32 v0, v0, v87 :: v_dual_add_f32 v97, v85, v88
	ds_load_2addr_b64 v[85:88], v78 offset0:7 offset1:8
	s_waitcnt lgkmcnt(2)
	v_dual_add_f32 v0, v0, v89 :: v_dual_add_f32 v89, v97, v90
	s_delay_alu instid0(VALU_DEP_1) | instskip(SKIP_3) | instid1(VALU_DEP_1)
	v_dual_add_f32 v0, v0, v91 :: v_dual_add_f32 v97, v89, v92
	ds_load_2addr_b64 v[89:92], v78 offset0:9 offset1:10
	s_waitcnt lgkmcnt(2)
	v_dual_add_f32 v0, v0, v93 :: v_dual_add_f32 v93, v97, v94
	v_dual_add_f32 v0, v0, v95 :: v_dual_add_f32 v97, v93, v96
	ds_load_2addr_b64 v[93:96], v78 offset0:11 offset1:12
	s_waitcnt lgkmcnt(2)
	v_dual_add_f32 v0, v0, v85 :: v_dual_add_f32 v85, v97, v86
	s_delay_alu instid0(VALU_DEP_1) | instskip(SKIP_3) | instid1(VALU_DEP_1)
	v_dual_add_f32 v0, v0, v87 :: v_dual_add_f32 v97, v85, v88
	ds_load_2addr_b64 v[85:88], v78 offset0:13 offset1:14
	s_waitcnt lgkmcnt(2)
	v_dual_add_f32 v0, v0, v89 :: v_dual_add_f32 v89, v97, v90
	v_dual_add_f32 v0, v0, v91 :: v_dual_add_f32 v91, v89, v92
	ds_load_b64 v[89:90], v79
	s_waitcnt lgkmcnt(2)
	v_dual_add_f32 v0, v0, v93 :: v_dual_add_f32 v91, v91, v94
	s_delay_alu instid0(VALU_DEP_1) | instskip(SKIP_1) | instid1(VALU_DEP_1)
	v_dual_add_f32 v0, v0, v95 :: v_dual_add_f32 v91, v91, v96
	s_waitcnt lgkmcnt(1)
	v_dual_add_f32 v85, v0, v85 :: v_dual_add_f32 v86, v91, v86
	s_delay_alu instid0(VALU_DEP_1) | instskip(NEXT) | instid1(VALU_DEP_2)
	v_dual_add_f32 v87, v85, v87 :: v_dual_add_nc_u32 v0, s10, v84
	v_add_f32_e32 v88, v86, v88
	s_delay_alu instid0(VALU_DEP_2) | instskip(SKIP_1) | instid1(VALU_DEP_2)
	v_lshlrev_b64 v[85:86], 3, v[0:1]
	s_waitcnt lgkmcnt(0)
	v_dual_add_f32 v87, v87, v89 :: v_dual_add_f32 v88, v88, v90
	s_delay_alu instid0(VALU_DEP_2) | instskip(NEXT) | instid1(VALU_DEP_1)
	v_add_co_u32 v85, s3, s6, v85
	v_add_co_ci_u32_e64 v86, s3, s7, v86, s3
	global_store_b64 v[85:86], v[87:88], off
	s_branch .LBB8_128
.LBB8_133:
	v_mad_u32_u24 v0, 0x218, v72, v73
	s_or_b32 s0, s0, vcc_lo
	s_delay_alu instid0(SALU_CYCLE_1)
	s_xor_b32 s0, s0, -1
	ds_store_b64 v0, v[18:19]
	s_waitcnt lgkmcnt(0)
	s_barrier
	buffer_gl0_inv
	s_and_saveexec_b32 s1, s0
	s_cbranch_execz .LBB8_135
; %bb.134:
	ds_load_2addr_b64 v[0:3], v73 offset1:67
	ds_load_2addr_b64 v[4:7], v73 offset0:134 offset1:201
	s_waitcnt lgkmcnt(1)
	v_dual_add_f32 v0, v2, v0 :: v_dual_add_f32 v1, v3, v1
	s_waitcnt lgkmcnt(0)
	s_delay_alu instid0(VALU_DEP_1) | instskip(SKIP_1) | instid1(VALU_DEP_2)
	v_dual_add_f32 v2, v0, v4 :: v_dual_add_f32 v3, v1, v5
	v_lshlrev_b64 v[0:1], 3, v[16:17]
	v_dual_add_f32 v2, v2, v6 :: v_dual_add_f32 v3, v3, v7
	s_delay_alu instid0(VALU_DEP_2) | instskip(NEXT) | instid1(VALU_DEP_3)
	v_add_co_u32 v0, vcc_lo, s6, v0
	v_add_co_ci_u32_e32 v1, vcc_lo, s7, v1, vcc_lo
	global_store_b64 v[0:1], v[2:3], off
.LBB8_135:
	s_nop 0
	s_sendmsg sendmsg(MSG_DEALLOC_VGPRS)
	s_endpgm
	.section	.rodata,"a",@progbits
	.p2align	6, 0x0
	.amdhsa_kernel _ZL26rocblas_hemvn_kernel_lowerILb1ELi64ELi4ELi33ELi32ELi16ElPK19rocblas_complex_numIfES3_PS1_EviT6_lT7_lT5_lS6_lS7_lS5_lT8_i
		.amdhsa_group_segment_fixed_size 9600
		.amdhsa_private_segment_fixed_size 0
		.amdhsa_kernarg_size 376
		.amdhsa_user_sgpr_count 14
		.amdhsa_user_sgpr_dispatch_ptr 0
		.amdhsa_user_sgpr_queue_ptr 0
		.amdhsa_user_sgpr_kernarg_segment_ptr 1
		.amdhsa_user_sgpr_dispatch_id 0
		.amdhsa_user_sgpr_private_segment_size 0
		.amdhsa_wavefront_size32 1
		.amdhsa_uses_dynamic_stack 0
		.amdhsa_enable_private_segment 0
		.amdhsa_system_sgpr_workgroup_id_x 1
		.amdhsa_system_sgpr_workgroup_id_y 0
		.amdhsa_system_sgpr_workgroup_id_z 1
		.amdhsa_system_sgpr_workgroup_info 0
		.amdhsa_system_vgpr_workitem_id 1
		.amdhsa_next_free_vgpr 114
		.amdhsa_next_free_sgpr 44
		.amdhsa_reserve_vcc 1
		.amdhsa_float_round_mode_32 0
		.amdhsa_float_round_mode_16_64 0
		.amdhsa_float_denorm_mode_32 3
		.amdhsa_float_denorm_mode_16_64 3
		.amdhsa_dx10_clamp 1
		.amdhsa_ieee_mode 1
		.amdhsa_fp16_overflow 0
		.amdhsa_workgroup_processor_mode 1
		.amdhsa_memory_ordered 1
		.amdhsa_forward_progress 0
		.amdhsa_shared_vgpr_count 0
		.amdhsa_exception_fp_ieee_invalid_op 0
		.amdhsa_exception_fp_denorm_src 0
		.amdhsa_exception_fp_ieee_div_zero 0
		.amdhsa_exception_fp_ieee_overflow 0
		.amdhsa_exception_fp_ieee_underflow 0
		.amdhsa_exception_fp_ieee_inexact 0
		.amdhsa_exception_int_div_zero 0
	.end_amdhsa_kernel
	.section	.text._ZL26rocblas_hemvn_kernel_lowerILb1ELi64ELi4ELi33ELi32ELi16ElPK19rocblas_complex_numIfES3_PS1_EviT6_lT7_lT5_lS6_lS7_lS5_lT8_i,"axG",@progbits,_ZL26rocblas_hemvn_kernel_lowerILb1ELi64ELi4ELi33ELi32ELi16ElPK19rocblas_complex_numIfES3_PS1_EviT6_lT7_lT5_lS6_lS7_lS5_lT8_i,comdat
.Lfunc_end8:
	.size	_ZL26rocblas_hemvn_kernel_lowerILb1ELi64ELi4ELi33ELi32ELi16ElPK19rocblas_complex_numIfES3_PS1_EviT6_lT7_lT5_lS6_lS7_lS5_lT8_i, .Lfunc_end8-_ZL26rocblas_hemvn_kernel_lowerILb1ELi64ELi4ELi33ELi32ELi16ElPK19rocblas_complex_numIfES3_PS1_EviT6_lT7_lT5_lS6_lS7_lS5_lT8_i
                                        ; -- End function
	.section	.AMDGPU.csdata,"",@progbits
; Kernel info:
; codeLenInByte = 8968
; NumSgprs: 46
; NumVgprs: 114
; ScratchSize: 0
; MemoryBound: 1
; FloatMode: 240
; IeeeMode: 1
; LDSByteSize: 9600 bytes/workgroup (compile time only)
; SGPRBlocks: 5
; VGPRBlocks: 14
; NumSGPRsForWavesPerEU: 46
; NumVGPRsForWavesPerEU: 114
; Occupancy: 12
; WaveLimiterHint : 0
; COMPUTE_PGM_RSRC2:SCRATCH_EN: 0
; COMPUTE_PGM_RSRC2:USER_SGPR: 14
; COMPUTE_PGM_RSRC2:TRAP_HANDLER: 0
; COMPUTE_PGM_RSRC2:TGID_X_EN: 1
; COMPUTE_PGM_RSRC2:TGID_Y_EN: 0
; COMPUTE_PGM_RSRC2:TGID_Z_EN: 1
; COMPUTE_PGM_RSRC2:TIDIG_COMP_CNT: 1
	.section	.text._ZL36rocblas_hemvn_kernel_lower_block_sumILi64ElPK19rocblas_complex_numIfEPS1_S1_EviT1_lS5_lT2_lT0_lPT3_i,"axG",@progbits,_ZL36rocblas_hemvn_kernel_lower_block_sumILi64ElPK19rocblas_complex_numIfEPS1_S1_EviT1_lS5_lT2_lT0_lPT3_i,comdat
	.globl	_ZL36rocblas_hemvn_kernel_lower_block_sumILi64ElPK19rocblas_complex_numIfEPS1_S1_EviT1_lS5_lT2_lT0_lPT3_i ; -- Begin function _ZL36rocblas_hemvn_kernel_lower_block_sumILi64ElPK19rocblas_complex_numIfEPS1_S1_EviT1_lS5_lT2_lT0_lPT3_i
	.p2align	8
	.type	_ZL36rocblas_hemvn_kernel_lower_block_sumILi64ElPK19rocblas_complex_numIfEPS1_S1_EviT1_lS5_lT2_lT0_lPT3_i,@function
_ZL36rocblas_hemvn_kernel_lower_block_sumILi64ElPK19rocblas_complex_numIfEPS1_S1_EviT1_lS5_lT2_lT0_lPT3_i: ; @_ZL36rocblas_hemvn_kernel_lower_block_sumILi64ElPK19rocblas_complex_numIfEPS1_S1_EviT1_lS5_lT2_lT0_lPT3_i
; %bb.0:
	s_load_b256 s[16:23], s[0:1], 0x8
	s_waitcnt lgkmcnt(0)
	s_mul_i32 s3, s15, s19
	s_mul_hi_u32 s4, s15, s18
	s_mul_i32 s2, s15, s18
	s_add_i32 s3, s4, s3
	s_mul_i32 s4, s15, s23
	s_lshl_b64 s[2:3], s[2:3], 3
	s_delay_alu instid0(SALU_CYCLE_1)
	s_add_u32 s2, s16, s2
	s_addc_u32 s3, s17, s3
	s_load_b64 s[10:11], s[2:3], 0x0
	s_mul_hi_u32 s3, s15, s22
	s_mul_i32 s2, s15, s22
	s_add_i32 s3, s3, s4
	s_delay_alu instid0(SALU_CYCLE_1) | instskip(NEXT) | instid1(SALU_CYCLE_1)
	s_lshl_b64 s[2:3], s[2:3], 3
	s_add_u32 s2, s20, s2
	s_addc_u32 s3, s21, s3
	s_load_b64 s[8:9], s[2:3], 0x0
	s_waitcnt lgkmcnt(0)
	s_or_b32 s2, s10, s11
	s_delay_alu instid0(SALU_CYCLE_1) | instskip(NEXT) | instid1(SALU_CYCLE_1)
	s_bitset0_b32 s2, 31
	s_cmp_eq_u32 s2, 0
	s_cselect_b32 s13, -1, 0
	s_cmp_lg_u32 s2, 0
	s_mov_b32 s2, -1
	s_cbranch_scc1 .LBB9_2
; %bb.1:
	v_cmp_neq_f32_e64 s2, s8, 1.0
	v_cmp_neq_f32_e64 s3, s9, 0
	s_delay_alu instid0(VALU_DEP_1)
	s_or_b32 s2, s2, s3
.LBB9_2:
	s_delay_alu instid0(SALU_CYCLE_1)
	s_and_not1_b32 vcc_lo, exec_lo, s2
	s_cbranch_vccnz .LBB9_19
; %bb.3:
	s_clause 0x3
	s_load_b64 s[2:3], s[0:1], 0x40
	s_load_b64 s[16:17], s[0:1], 0x28
	s_load_b128 s[4:7], s[0:1], 0x30
	s_load_b32 s12, s[0:1], 0x0
	v_lshl_or_b32 v0, s14, 6, v0
	s_waitcnt lgkmcnt(0)
	s_mul_i32 s3, s15, s3
	s_mul_hi_u32 s18, s15, s2
	s_mul_i32 s2, s15, s2
	s_add_i32 s3, s18, s3
	s_delay_alu instid0(SALU_CYCLE_1) | instskip(NEXT) | instid1(SALU_CYCLE_1)
	s_lshl_b64 s[2:3], s[2:3], 3
	s_add_u32 s16, s16, s2
	s_addc_u32 s17, s17, s3
	s_lshl_b64 s[4:5], s[4:5], 3
	v_cmp_gt_i32_e64 s2, s12, v0
	s_add_u32 s3, s16, s4
	s_addc_u32 s4, s17, s5
	s_and_not1_b32 vcc_lo, exec_lo, s13
	s_mov_b32 s5, -1
	s_cbranch_vccnz .LBB9_9
; %bb.4:
	s_and_saveexec_b32 s5, s2
	s_cbranch_execz .LBB9_8
; %bb.5:
	v_ashrrev_i32_e32 v1, 31, v0
	v_mul_lo_u32 v3, v0, s7
	v_cmp_neq_f32_e64 s2, s8, 0
	v_cmp_neq_f32_e64 s13, s9, 0
	s_delay_alu instid0(VALU_DEP_4) | instskip(SKIP_1) | instid1(VALU_DEP_3)
	v_mul_lo_u32 v4, v1, s6
	v_mad_u64_u32 v[1:2], null, v0, s6, 0
	s_or_b32 s2, s2, s13
	s_delay_alu instid0(SALU_CYCLE_1) | instskip(NEXT) | instid1(VALU_DEP_1)
	s_and_not1_b32 vcc_lo, exec_lo, s2
	v_add3_u32 v2, v2, v3, v4
	v_dual_mov_b32 v3, 0 :: v_dual_mov_b32 v4, 0
	s_delay_alu instid0(VALU_DEP_2)
	v_lshlrev_b64 v[1:2], 3, v[1:2]
	s_cbranch_vccnz .LBB9_7
; %bb.6:
	s_delay_alu instid0(VALU_DEP_1) | instskip(NEXT) | instid1(VALU_DEP_2)
	v_add_co_u32 v3, vcc_lo, s3, v1
	v_add_co_ci_u32_e32 v4, vcc_lo, s4, v2, vcc_lo
	global_load_b64 v[5:6], v[3:4], off
	s_waitcnt vmcnt(0)
	v_mul_f32_e32 v4, s8, v6
	s_delay_alu instid0(VALU_DEP_1) | instskip(NEXT) | instid1(VALU_DEP_1)
	v_dual_mul_f32 v3, s9, v6 :: v_dual_fmac_f32 v4, s9, v5
	v_fma_f32 v3, v5, s8, -v3
.LBB9_7:
	s_delay_alu instid0(VALU_DEP_1) | instskip(NEXT) | instid1(VALU_DEP_2)
	v_add_co_u32 v1, vcc_lo, s3, v1
	v_add_co_ci_u32_e32 v2, vcc_lo, s4, v2, vcc_lo
	global_store_b64 v[1:2], v[3:4], off
.LBB9_8:
	s_or_b32 exec_lo, exec_lo, s5
	s_mov_b32 s5, 0
.LBB9_9:
	s_delay_alu instid0(SALU_CYCLE_1)
	s_and_not1_b32 vcc_lo, exec_lo, s5
	s_cbranch_vccnz .LBB9_19
; %bb.10:
	s_mov_b32 s2, exec_lo
	v_cmpx_gt_i32_e64 s12, v0
	s_cbranch_execz .LBB9_19
; %bb.11:
	s_load_b32 s2, s[0:1], 0x58
	v_dual_mov_b32 v3, 0 :: v_dual_mov_b32 v4, 0
	s_waitcnt lgkmcnt(0)
	s_cmp_ge_i32 s14, s2
	s_cbranch_scc1 .LBB9_14
; %bb.12:
	s_load_b64 s[0:1], s[0:1], 0x48
	v_mad_u64_u32 v[1:2], null, s14, s12, v[0:1]
	s_ashr_i32 s13, s12, 31
	s_mul_hi_u32 s5, s12, s15
	s_mul_i32 s16, s13, s15
	s_mul_i32 s15, s12, s15
	s_add_i32 s5, s5, s16
	s_mul_hi_u32 s17, s15, s2
	s_delay_alu instid0(VALU_DEP_1)
	v_ashrrev_i32_e32 v2, 31, v1
	s_mul_i32 s5, s5, s2
	s_mul_i32 s16, s15, s2
	s_add_i32 s17, s17, s5
	v_dual_mov_b32 v3, 0 :: v_dual_mov_b32 v4, 0
	v_lshlrev_b64 v[1:2], 3, v[1:2]
	s_lshl_b64 s[16:17], s[16:17], 3
	s_waitcnt lgkmcnt(0)
	s_add_u32 s0, s0, s16
	s_addc_u32 s1, s1, s17
	s_delay_alu instid0(VALU_DEP_1) | instskip(SKIP_2) | instid1(VALU_DEP_2)
	v_add_co_u32 v1, vcc_lo, s0, v1
	v_add_co_ci_u32_e32 v2, vcc_lo, s1, v2, vcc_lo
	s_lshl_b64 s[0:1], s[12:13], 3
	v_add_co_u32 v1, vcc_lo, v1, 4
	s_delay_alu instid0(VALU_DEP_2)
	v_add_co_ci_u32_e32 v2, vcc_lo, 0, v2, vcc_lo
.LBB9_13:                               ; =>This Inner Loop Header: Depth=1
	global_load_b64 v[5:6], v[1:2], off offset:-4
	v_add_co_u32 v1, vcc_lo, v1, s0
	v_add_co_ci_u32_e32 v2, vcc_lo, s1, v2, vcc_lo
	s_add_i32 s14, s14, 1
	s_delay_alu instid0(SALU_CYCLE_1)
	s_cmp_ge_i32 s14, s2
	s_waitcnt vmcnt(0)
	v_dual_add_f32 v4, v4, v5 :: v_dual_add_f32 v3, v3, v6
	s_cbranch_scc0 .LBB9_13
.LBB9_14:
	v_ashrrev_i32_e32 v1, 31, v0
	s_delay_alu instid0(VALU_DEP_2)
	v_mul_f32_e32 v2, s10, v3
	v_mul_f32_e32 v7, s11, v3
	v_cmp_neq_f32_e64 s0, s8, 0
	v_cmp_neq_f32_e64 s1, s9, 0
	v_mul_lo_u32 v5, v0, s7
	v_fmac_f32_e32 v2, s11, v4
	v_mul_lo_u32 v6, v1, s6
	v_fma_f32 v1, v4, s10, -v7
	s_or_b32 s0, s0, s1
	s_delay_alu instid0(SALU_CYCLE_1)
	s_and_not1_b32 vcc_lo, exec_lo, s0
	s_mov_b32 s0, 0
	s_cbranch_vccz .LBB9_16
; %bb.15:
	v_mad_u64_u32 v[3:4], null, v0, s6, 0
	s_delay_alu instid0(VALU_DEP_1)
	v_add3_u32 v4, v4, v5, v6
	s_and_not1_b32 vcc_lo, exec_lo, s0
	s_cbranch_vccz .LBB9_17
	s_branch .LBB9_18
.LBB9_16:
                                        ; implicit-def: $vgpr3_vgpr4
.LBB9_17:
	v_mad_u64_u32 v[3:4], null, v0, s6, 0
	s_delay_alu instid0(VALU_DEP_1) | instskip(NEXT) | instid1(VALU_DEP_1)
	v_add3_u32 v4, v4, v5, v6
	v_lshlrev_b64 v[5:6], 3, v[3:4]
	s_delay_alu instid0(VALU_DEP_1) | instskip(NEXT) | instid1(VALU_DEP_2)
	v_add_co_u32 v5, vcc_lo, s3, v5
	v_add_co_ci_u32_e32 v6, vcc_lo, s4, v6, vcc_lo
	global_load_b64 v[5:6], v[5:6], off
	s_waitcnt vmcnt(0)
	v_mul_f32_e32 v0, s9, v6
	s_delay_alu instid0(VALU_DEP_1) | instskip(NEXT) | instid1(VALU_DEP_1)
	v_fma_f32 v0, v5, s8, -v0
	v_dual_mul_f32 v6, s8, v6 :: v_dual_add_f32 v1, v1, v0
	s_delay_alu instid0(VALU_DEP_1) | instskip(NEXT) | instid1(VALU_DEP_1)
	v_fmac_f32_e32 v6, s9, v5
	v_add_f32_e32 v2, v2, v6
.LBB9_18:
	s_delay_alu instid0(VALU_DEP_1) | instskip(NEXT) | instid1(VALU_DEP_1)
	v_lshlrev_b64 v[3:4], 3, v[3:4]
	v_add_co_u32 v3, vcc_lo, s3, v3
	s_delay_alu instid0(VALU_DEP_2)
	v_add_co_ci_u32_e32 v4, vcc_lo, s4, v4, vcc_lo
	global_store_b64 v[3:4], v[1:2], off
.LBB9_19:
	s_nop 0
	s_sendmsg sendmsg(MSG_DEALLOC_VGPRS)
	s_endpgm
	.section	.rodata,"a",@progbits
	.p2align	6, 0x0
	.amdhsa_kernel _ZL36rocblas_hemvn_kernel_lower_block_sumILi64ElPK19rocblas_complex_numIfEPS1_S1_EviT1_lS5_lT2_lT0_lPT3_i
		.amdhsa_group_segment_fixed_size 0
		.amdhsa_private_segment_fixed_size 0
		.amdhsa_kernarg_size 344
		.amdhsa_user_sgpr_count 14
		.amdhsa_user_sgpr_dispatch_ptr 0
		.amdhsa_user_sgpr_queue_ptr 0
		.amdhsa_user_sgpr_kernarg_segment_ptr 1
		.amdhsa_user_sgpr_dispatch_id 0
		.amdhsa_user_sgpr_private_segment_size 0
		.amdhsa_wavefront_size32 1
		.amdhsa_uses_dynamic_stack 0
		.amdhsa_enable_private_segment 0
		.amdhsa_system_sgpr_workgroup_id_x 1
		.amdhsa_system_sgpr_workgroup_id_y 0
		.amdhsa_system_sgpr_workgroup_id_z 1
		.amdhsa_system_sgpr_workgroup_info 0
		.amdhsa_system_vgpr_workitem_id 0
		.amdhsa_next_free_vgpr 8
		.amdhsa_next_free_sgpr 24
		.amdhsa_reserve_vcc 1
		.amdhsa_float_round_mode_32 0
		.amdhsa_float_round_mode_16_64 0
		.amdhsa_float_denorm_mode_32 3
		.amdhsa_float_denorm_mode_16_64 3
		.amdhsa_dx10_clamp 1
		.amdhsa_ieee_mode 1
		.amdhsa_fp16_overflow 0
		.amdhsa_workgroup_processor_mode 1
		.amdhsa_memory_ordered 1
		.amdhsa_forward_progress 0
		.amdhsa_shared_vgpr_count 0
		.amdhsa_exception_fp_ieee_invalid_op 0
		.amdhsa_exception_fp_denorm_src 0
		.amdhsa_exception_fp_ieee_div_zero 0
		.amdhsa_exception_fp_ieee_overflow 0
		.amdhsa_exception_fp_ieee_underflow 0
		.amdhsa_exception_fp_ieee_inexact 0
		.amdhsa_exception_int_div_zero 0
	.end_amdhsa_kernel
	.section	.text._ZL36rocblas_hemvn_kernel_lower_block_sumILi64ElPK19rocblas_complex_numIfEPS1_S1_EviT1_lS5_lT2_lT0_lPT3_i,"axG",@progbits,_ZL36rocblas_hemvn_kernel_lower_block_sumILi64ElPK19rocblas_complex_numIfEPS1_S1_EviT1_lS5_lT2_lT0_lPT3_i,comdat
.Lfunc_end9:
	.size	_ZL36rocblas_hemvn_kernel_lower_block_sumILi64ElPK19rocblas_complex_numIfEPS1_S1_EviT1_lS5_lT2_lT0_lPT3_i, .Lfunc_end9-_ZL36rocblas_hemvn_kernel_lower_block_sumILi64ElPK19rocblas_complex_numIfEPS1_S1_EviT1_lS5_lT2_lT0_lPT3_i
                                        ; -- End function
	.section	.AMDGPU.csdata,"",@progbits
; Kernel info:
; codeLenInByte = 944
; NumSgprs: 26
; NumVgprs: 8
; ScratchSize: 0
; MemoryBound: 0
; FloatMode: 240
; IeeeMode: 1
; LDSByteSize: 0 bytes/workgroup (compile time only)
; SGPRBlocks: 3
; VGPRBlocks: 0
; NumSGPRsForWavesPerEU: 26
; NumVGPRsForWavesPerEU: 8
; Occupancy: 16
; WaveLimiterHint : 0
; COMPUTE_PGM_RSRC2:SCRATCH_EN: 0
; COMPUTE_PGM_RSRC2:USER_SGPR: 14
; COMPUTE_PGM_RSRC2:TRAP_HANDLER: 0
; COMPUTE_PGM_RSRC2:TGID_X_EN: 1
; COMPUTE_PGM_RSRC2:TGID_Y_EN: 0
; COMPUTE_PGM_RSRC2:TGID_Z_EN: 1
; COMPUTE_PGM_RSRC2:TIDIG_COMP_CNT: 0
	.section	.text._ZL26rocblas_hemvn_kernel_lowerILb1ELi64ELi4ELi33ELi32ELi16EiPK19rocblas_complex_numIfES3_PS1_EviT6_lT7_lT5_lS6_lS7_lS5_lT8_i,"axG",@progbits,_ZL26rocblas_hemvn_kernel_lowerILb1ELi64ELi4ELi33ELi32ELi16EiPK19rocblas_complex_numIfES3_PS1_EviT6_lT7_lT5_lS6_lS7_lS5_lT8_i,comdat
	.globl	_ZL26rocblas_hemvn_kernel_lowerILb1ELi64ELi4ELi33ELi32ELi16EiPK19rocblas_complex_numIfES3_PS1_EviT6_lT7_lT5_lS6_lS7_lS5_lT8_i ; -- Begin function _ZL26rocblas_hemvn_kernel_lowerILb1ELi64ELi4ELi33ELi32ELi16EiPK19rocblas_complex_numIfES3_PS1_EviT6_lT7_lT5_lS6_lS7_lS5_lT8_i
	.p2align	8
	.type	_ZL26rocblas_hemvn_kernel_lowerILb1ELi64ELi4ELi33ELi32ELi16EiPK19rocblas_complex_numIfES3_PS1_EviT6_lT7_lT5_lS6_lS7_lS5_lT8_i,@function
_ZL26rocblas_hemvn_kernel_lowerILb1ELi64ELi4ELi33ELi32ELi16EiPK19rocblas_complex_numIfES3_PS1_EviT6_lT7_lT5_lS6_lS7_lS5_lT8_i: ; @_ZL26rocblas_hemvn_kernel_lowerILb1ELi64ELi4ELi33ELi32ELi16EiPK19rocblas_complex_numIfES3_PS1_EviT6_lT7_lT5_lS6_lS7_lS5_lT8_i
; %bb.0:
	s_load_b64 s[4:5], s[0:1], 0x84
	s_add_u32 s2, s0, 0x78
	s_addc_u32 s3, s1, 0
	s_waitcnt lgkmcnt(0)
	s_lshr_b32 s6, s4, 16
	s_and_b32 s4, s4, 0xffff
	s_and_b32 s5, s5, 0xffff
	s_mul_i32 s4, s6, s4
	s_delay_alu instid0(SALU_CYCLE_1) | instskip(NEXT) | instid1(SALU_CYCLE_1)
	s_mul_i32 s4, s4, s5
	s_cmpk_lg_i32 s4, 0x100
	s_cbranch_scc1 .LBB10_135
; %bb.1:
	s_load_b256 s[16:23], s[0:1], 0x8
	s_waitcnt lgkmcnt(0)
	s_mul_i32 s4, s15, s19
	s_mul_hi_u32 s5, s15, s18
	s_delay_alu instid0(SALU_CYCLE_1) | instskip(SKIP_1) | instid1(SALU_CYCLE_1)
	s_add_i32 s5, s5, s4
	s_mul_i32 s4, s15, s18
	s_lshl_b64 s[4:5], s[4:5], 3
	s_delay_alu instid0(SALU_CYCLE_1)
	s_add_u32 s4, s16, s4
	s_addc_u32 s5, s17, s5
	s_load_b64 s[12:13], s[4:5], 0x0
	s_load_b256 s[4:11], s[0:1], 0x50
	s_waitcnt lgkmcnt(0)
	s_or_b32 s12, s12, s13
	s_mov_b32 s13, -1
	s_bitset0_b32 s12, 31
	s_delay_alu instid0(SALU_CYCLE_1) | instskip(SKIP_1) | instid1(SALU_CYCLE_1)
	s_cmp_lg_u32 s12, 0
	s_cselect_b32 s12, -1, 0
	s_and_b32 vcc_lo, exec_lo, s12
	s_cbranch_vccnz .LBB10_3
; %bb.2:
	s_mul_i32 s9, s15, s9
	s_mul_hi_u32 s13, s15, s8
	s_mul_i32 s8, s15, s8
	s_add_i32 s9, s13, s9
	s_delay_alu instid0(SALU_CYCLE_1) | instskip(NEXT) | instid1(SALU_CYCLE_1)
	s_lshl_b64 s[8:9], s[8:9], 3
	s_add_u32 s6, s6, s8
	s_addc_u32 s7, s7, s9
	s_load_b64 s[6:7], s[6:7], 0x0
	s_waitcnt lgkmcnt(0)
	v_cmp_neq_f32_e64 s6, s6, 1.0
	v_cmp_neq_f32_e64 s7, s7, 0
	s_delay_alu instid0(VALU_DEP_1)
	s_or_b32 s13, s6, s7
.LBB10_3:
	s_delay_alu instid0(SALU_CYCLE_1)
	s_and_not1_b32 vcc_lo, exec_lo, s13
	s_cbranch_vccnz .LBB10_135
; %bb.4:
	s_and_not1_b32 vcc_lo, exec_lo, s12
	s_cbranch_vccnz .LBB10_135
; %bb.5:
	s_clause 0x2
	s_load_b128 s[16:19], s[0:1], 0x30
	s_load_b64 s[6:7], s[0:1], 0x40
	s_load_b32 s24, s[0:1], 0x48
	s_mul_i32 s5, s15, s5
	s_mul_hi_u32 s8, s15, s4
	s_mul_i32 s4, s15, s4
	s_add_i32 s5, s8, s5
	v_and_b32_e32 v25, 0x3ff, v0
	s_lshl_b64 s[4:5], s[4:5], 3
	s_load_b32 s25, s[0:1], 0x0
	s_load_b32 s26, s[2:3], 0x0
	v_bfe_u32 v71, v0, 10, 10
	s_waitcnt lgkmcnt(0)
	s_add_u32 s8, s18, s4
	s_addc_u32 s9, s19, s5
	s_lshl_b64 s[4:5], s[6:7], 3
	s_delay_alu instid0(SALU_CYCLE_1) | instskip(SKIP_2) | instid1(SALU_CYCLE_1)
	s_add_u32 s4, s8, s4
	s_addc_u32 s5, s9, s5
	s_lshl_b32 s8, s14, 6
	v_add_nc_u32_e32 v16, s8, v25
	s_ashr_i32 s27, s25, 31
	s_add_i32 s6, s26, -1
	s_lshr_b32 s2, s27, 26
	s_delay_alu instid0(VALU_DEP_1) | instskip(SKIP_3) | instid1(SALU_CYCLE_1)
	v_mul_lo_u32 v1, v16, s24
	s_add_i32 s3, s25, s2
	v_cmp_ne_u32_e64 s2, 0, v71
	s_and_not1_b32 s3, s3, 63
	s_sub_i32 s7, s25, s3
	v_cmp_eq_u32_e64 s3, 0, v71
	s_cmp_eq_u32 s14, s6
	s_delay_alu instid0(VALU_DEP_3) | instskip(SKIP_1) | instid1(VALU_DEP_1)
	v_ashrrev_i32_e32 v2, 31, v1
	s_cselect_b32 s12, s7, 0
	v_lshlrev_b64 v[0:1], 3, v[1:2]
	s_delay_alu instid0(VALU_DEP_1) | instskip(NEXT) | instid1(VALU_DEP_2)
	v_add_co_u32 v19, vcc_lo, s4, v0
	v_add_co_ci_u32_e32 v20, vcc_lo, s5, v1, vcc_lo
	s_mov_b32 s4, -1
	s_and_saveexec_b32 s5, s3
	s_cbranch_execz .LBB10_10
; %bb.6:
	v_cmp_le_i32_e32 vcc_lo, s12, v25
	s_cmp_lg_u32 s12, 0
	v_lshl_add_u32 v0, v25, 3, 0x2380
	s_cselect_b32 s6, -1, 0
	s_delay_alu instid0(SALU_CYCLE_1) | instskip(NEXT) | instid1(SALU_CYCLE_1)
	s_and_b32 s6, s6, vcc_lo
	s_and_saveexec_b32 s7, s6
	s_delay_alu instid0(SALU_CYCLE_1)
	s_xor_b32 s6, exec_lo, s7
	s_cbranch_execz .LBB10_8
; %bb.7:
	v_mov_b32_e32 v1, 0
	s_delay_alu instid0(VALU_DEP_1)
	v_mov_b32_e32 v2, v1
	ds_store_b64 v0, v[1:2]
                                        ; implicit-def: $vgpr0
.LBB10_8:
	s_and_not1_saveexec_b32 s6, s6
	s_cbranch_execz .LBB10_10
; %bb.9:
	global_load_b64 v[1:2], v[19:20], off
	s_waitcnt vmcnt(0)
	ds_store_b64 v0, v[1:2]
.LBB10_10:
	s_or_b32 exec_lo, exec_lo, s5
	s_load_b32 s18, s[0:1], 0x28
	v_lshl_add_u32 v26, v71, 6, v25
	v_and_b32_e32 v0, 31, v25
	s_mul_i32 s1, s15, s17
	s_mul_hi_u32 s5, s15, s16
	s_mul_i32 s0, s15, s16
	v_lshrrev_b32_e32 v5, 5, v26
	s_add_i32 s1, s5, s1
	s_delay_alu instid0(SALU_CYCLE_1) | instskip(NEXT) | instid1(SALU_CYCLE_1)
	s_lshl_b64 s[0:1], s[0:1], 3
	s_add_u32 s5, s20, s0
	s_addc_u32 s6, s21, s1
	s_lshl_b64 s[0:1], s[22:23], 3
	s_delay_alu instid0(SALU_CYCLE_1) | instskip(SKIP_2) | instid1(SALU_CYCLE_1)
	s_add_u32 s5, s5, s0
	s_addc_u32 s6, s6, s1
	s_ashr_i32 s9, s8, 31
	s_lshl_b64 s[0:1], s[8:9], 3
	s_waitcnt lgkmcnt(0)
	v_mad_u64_u32 v[1:2], null, v5, s18, v[0:1]
	s_add_u32 s5, s5, s0
	s_mul_i32 s0, s8, s18
	s_addc_u32 s6, s6, s1
	s_ashr_i32 s1, s0, 31
	s_delay_alu instid0(SALU_CYCLE_1) | instskip(NEXT) | instid1(VALU_DEP_1)
	s_lshl_b64 s[16:17], s[0:1], 3
	v_ashrrev_i32_e32 v2, 31, v1
	s_add_u32 s0, s16, s5
	s_addc_u32 s1, s17, s6
	s_cmp_lg_u32 s12, 0
	s_cselect_b32 s9, -1, 0
	v_lshlrev_b64 v[21:22], 3, v[1:2]
	s_cmp_eq_u32 s12, 0
	s_cselect_b32 s7, -1, 0
	s_delay_alu instid0(VALU_DEP_1) | instskip(NEXT) | instid1(VALU_DEP_2)
	v_add_co_u32 v1, vcc_lo, s0, v21
	v_add_co_ci_u32_e32 v2, vcc_lo, s1, v22, vcc_lo
	s_and_b32 vcc_lo, exec_lo, s9
	s_cbranch_vccnz .LBB10_12
; %bb.11:
	s_lshl_b32 s0, s18, 3
	s_ashr_i32 s19, s18, 31
	s_ashr_i32 s1, s0, 31
	v_mul_u32_u24_e32 v12, 33, v5
	s_lshl_b64 s[0:1], s[0:1], 3
	s_mov_b32 s4, 0
	v_add_co_u32 v3, vcc_lo, v1, s0
	v_add_co_ci_u32_e32 v4, vcc_lo, s1, v2, vcc_lo
	s_lshl_b64 s[0:1], s[18:19], 6
	v_add_lshl_u32 v12, v12, v0, 3
	s_delay_alu instid0(VALU_DEP_3) | instskip(NEXT) | instid1(VALU_DEP_3)
	v_add_co_u32 v6, vcc_lo, v3, s0
	v_add_co_ci_u32_e32 v7, vcc_lo, s1, v4, vcc_lo
	s_delay_alu instid0(VALU_DEP_2) | instskip(NEXT) | instid1(VALU_DEP_2)
	v_add_co_u32 v8, vcc_lo, v6, s0
	v_add_co_ci_u32_e32 v9, vcc_lo, s1, v7, vcc_lo
	s_clause 0x1
	global_load_b64 v[10:11], v[1:2], off
	global_load_b64 v[3:4], v[3:4], off
	;; [unrolled: 1-line block ×4, first 2 shown]
	s_waitcnt vmcnt(3)
	ds_store_b64 v12, v[10:11]
	s_waitcnt vmcnt(2)
	ds_store_b64 v12, v[3:4] offset:2112
	s_waitcnt vmcnt(1)
	ds_store_b64 v12, v[6:7] offset:4224
	;; [unrolled: 2-line block ×3, first 2 shown]
.LBB10_12:
	s_and_not1_b32 vcc_lo, exec_lo, s4
	s_cbranch_vccnz .LBB10_30
; %bb.13:
	v_lshlrev_b32_e32 v6, 3, v0
	s_ashr_i32 s13, s12, 31
	v_mul_u32_u24_e32 v7, 33, v5
	s_lshl_b64 s[4:5], s[12:13], 3
	v_cmp_le_i32_e64 s0, s12, v5
	v_sub_co_u32 v3, vcc_lo, v1, v6
	v_subrev_co_ci_u32_e32 v4, vcc_lo, 0, v2, vcc_lo
	v_add_lshl_u32 v7, v7, v0, 3
	s_delay_alu instid0(VALU_DEP_3) | instskip(NEXT) | instid1(VALU_DEP_3)
	v_add_co_u32 v3, vcc_lo, v3, s4
	v_add_co_ci_u32_e32 v4, vcc_lo, s5, v4, vcc_lo
	s_delay_alu instid0(VALU_DEP_2) | instskip(NEXT) | instid1(VALU_DEP_2)
	v_add_co_u32 v3, vcc_lo, v3, -8
	v_add_co_ci_u32_e32 v4, vcc_lo, -1, v4, vcc_lo
	v_cmp_gt_i32_e32 vcc_lo, s12, v0
	s_delay_alu instid0(VALU_DEP_2) | instskip(SKIP_1) | instid1(SALU_CYCLE_1)
	v_dual_cndmask_b32 v3, v3, v1 :: v_dual_cndmask_b32 v4, v4, v2
	s_and_saveexec_b32 s1, s0
	s_xor_b32 s0, exec_lo, s1
	s_cbranch_execz .LBB10_15
; %bb.14:
	v_mov_b32_e32 v8, 0
	s_delay_alu instid0(VALU_DEP_1)
	v_mov_b32_e32 v9, v8
	ds_store_b64 v7, v[8:9]
.LBB10_15:
	s_and_not1_saveexec_b32 s0, s0
	s_cbranch_execz .LBB10_17
; %bb.16:
	global_load_b64 v[8:9], v[3:4], off
	s_waitcnt vmcnt(0)
	ds_store_b64 v7, v[8:9]
.LBB10_17:
	s_or_b32 exec_lo, exec_lo, s0
	v_add_nc_u32_e32 v8, 8, v5
	s_delay_alu instid0(VALU_DEP_1) | instskip(NEXT) | instid1(VALU_DEP_1)
	v_cmp_le_i32_e64 s0, s12, v8
	s_and_saveexec_b32 s1, s0
	s_delay_alu instid0(SALU_CYCLE_1)
	s_xor_b32 s0, exec_lo, s1
	s_cbranch_execz .LBB10_19
; %bb.18:
	v_mul_u32_u24_e32 v9, 33, v8
	v_mov_b32_e32 v8, 0
	s_delay_alu instid0(VALU_DEP_2) | instskip(NEXT) | instid1(VALU_DEP_2)
	v_add_lshl_u32 v10, v9, v0, 3
	v_mov_b32_e32 v9, v8
	ds_store_b64 v10, v[8:9]
.LBB10_19:
	s_and_not1_saveexec_b32 s1, s0
	s_cbranch_execz .LBB10_21
; %bb.20:
	s_lshl_b32 s20, s18, 3
	s_delay_alu instid0(SALU_CYCLE_1) | instskip(NEXT) | instid1(SALU_CYCLE_1)
	s_ashr_i32 s21, s20, 31
	s_lshl_b64 s[20:21], s[20:21], 3
	s_delay_alu instid0(SALU_CYCLE_1) | instskip(NEXT) | instid1(VALU_DEP_1)
	v_add_co_u32 v8, s0, v3, s20
	v_add_co_ci_u32_e64 v9, s0, s21, v4, s0
	global_load_b64 v[8:9], v[8:9], off
	s_waitcnt vmcnt(0)
	ds_store_b64 v7, v[8:9] offset:2112
.LBB10_21:
	s_or_b32 exec_lo, exec_lo, s1
	v_add_nc_u32_e32 v8, 16, v5
	s_delay_alu instid0(VALU_DEP_1) | instskip(NEXT) | instid1(VALU_DEP_1)
	v_cmp_le_i32_e64 s0, s12, v8
	s_and_saveexec_b32 s1, s0
	s_delay_alu instid0(SALU_CYCLE_1)
	s_xor_b32 s0, exec_lo, s1
	s_cbranch_execz .LBB10_23
; %bb.22:
	v_mul_u32_u24_e32 v9, 33, v8
	v_mov_b32_e32 v8, 0
	s_delay_alu instid0(VALU_DEP_2) | instskip(NEXT) | instid1(VALU_DEP_2)
	v_add_lshl_u32 v10, v9, v0, 3
	v_mov_b32_e32 v9, v8
	ds_store_b64 v10, v[8:9]
.LBB10_23:
	s_and_not1_saveexec_b32 s1, s0
	s_cbranch_execz .LBB10_25
; %bb.24:
	s_lshl_b32 s20, s18, 4
	s_delay_alu instid0(SALU_CYCLE_1) | instskip(NEXT) | instid1(SALU_CYCLE_1)
	s_ashr_i32 s21, s20, 31
	s_lshl_b64 s[20:21], s[20:21], 3
	s_delay_alu instid0(SALU_CYCLE_1) | instskip(NEXT) | instid1(VALU_DEP_1)
	v_add_co_u32 v8, s0, v3, s20
	v_add_co_ci_u32_e64 v9, s0, s21, v4, s0
	global_load_b64 v[8:9], v[8:9], off
	s_waitcnt vmcnt(0)
	ds_store_b64 v7, v[8:9] offset:4224
.LBB10_25:
	s_or_b32 exec_lo, exec_lo, s1
	v_add_nc_u32_e32 v8, 24, v5
	s_delay_alu instid0(VALU_DEP_1) | instskip(NEXT) | instid1(VALU_DEP_1)
	v_cmp_le_i32_e64 s0, s12, v8
	s_and_saveexec_b32 s1, s0
	s_delay_alu instid0(SALU_CYCLE_1)
	s_xor_b32 s0, exec_lo, s1
	s_cbranch_execz .LBB10_27
; %bb.26:
	v_mov_b32_e32 v8, 0
	s_delay_alu instid0(VALU_DEP_1)
	v_mov_b32_e32 v9, v8
	ds_store_b64 v7, v[8:9] offset:6336
                                        ; implicit-def: $vgpr7
.LBB10_27:
	s_and_not1_saveexec_b32 s1, s0
	s_cbranch_execz .LBB10_29
; %bb.28:
	s_mul_i32 s20, s18, 24
	s_delay_alu instid0(SALU_CYCLE_1) | instskip(NEXT) | instid1(SALU_CYCLE_1)
	s_ashr_i32 s21, s20, 31
	s_lshl_b64 s[20:21], s[20:21], 3
	s_delay_alu instid0(SALU_CYCLE_1) | instskip(NEXT) | instid1(VALU_DEP_1)
	v_add_co_u32 v8, s0, v3, s20
	v_add_co_ci_u32_e64 v9, s0, s21, v4, s0
	global_load_b64 v[8:9], v[8:9], off
	s_waitcnt vmcnt(0)
	ds_store_b64 v7, v[8:9] offset:6336
.LBB10_29:
	s_or_b32 exec_lo, exec_lo, s1
	v_add_co_u32 v3, s0, v3, v6
	s_delay_alu instid0(VALU_DEP_1) | instskip(NEXT) | instid1(VALU_DEP_2)
	v_add_co_ci_u32_e64 v4, s0, 0, v4, s0
	v_sub_co_u32 v3, s0, v3, s4
	s_delay_alu instid0(VALU_DEP_1) | instskip(NEXT) | instid1(VALU_DEP_2)
	v_subrev_co_ci_u32_e64 v4, s0, s5, v4, s0
	v_add_co_u32 v3, s0, v3, 8
	s_delay_alu instid0(VALU_DEP_1) | instskip(NEXT) | instid1(VALU_DEP_1)
	v_add_co_ci_u32_e64 v4, s0, 0, v4, s0
	v_dual_cndmask_b32 v1, v3, v1 :: v_dual_cndmask_b32 v2, v4, v2
.LBB10_30:
	v_lshlrev_b32_e32 v6, 2, v5
	s_waitcnt lgkmcnt(0)
	s_barrier
	buffer_gl0_inv
	v_cmp_ge_u32_e64 s1, v6, v0
	s_delay_alu instid0(VALU_DEP_1) | instskip(NEXT) | instid1(SALU_CYCLE_1)
	s_and_saveexec_b32 s0, s1
	s_xor_b32 s0, exec_lo, s0
	s_cbranch_execz .LBB10_34
; %bb.31:
	s_mov_b32 s4, exec_lo
	v_cmpx_eq_u32_e64 v6, v0
	s_cbranch_execz .LBB10_33
; %bb.32:
	v_mul_u32_u24_e32 v3, 34, v0
	s_delay_alu instid0(VALU_DEP_1)
	v_dual_mov_b32 v4, 0 :: v_dual_lshlrev_b32 v3, 3, v3
	ds_store_b32 v3, v4 offset:4
.LBB10_33:
	s_or_b32 exec_lo, exec_lo, s4
.LBB10_34:
	s_or_saveexec_b32 s0, s0
	v_mul_u32_u24_e32 v27, 33, v0
	v_mul_u32_u24_e32 v3, 0x84, v5
	s_delay_alu instid0(VALU_DEP_2)
	v_add_lshl_u32 v4, v6, v27, 3
	s_xor_b32 exec_lo, exec_lo, s0
	s_cbranch_execz .LBB10_36
; %bb.35:
	s_delay_alu instid0(VALU_DEP_2)
	v_add_lshl_u32 v7, v3, v0, 3
	ds_load_b64 v[7:8], v7
	s_waitcnt lgkmcnt(0)
	v_xor_b32_e32 v8, 0x80000000, v8
	ds_store_b64 v4, v[7:8]
.LBB10_36:
	s_or_b32 exec_lo, exec_lo, s0
	v_or_b32_e32 v7, 1, v6
	s_delay_alu instid0(VALU_DEP_1) | instskip(NEXT) | instid1(VALU_DEP_1)
	v_cmp_ge_u32_e64 s4, v7, v0
	s_and_saveexec_b32 s0, s4
	s_delay_alu instid0(SALU_CYCLE_1)
	s_xor_b32 s0, exec_lo, s0
	s_cbranch_execz .LBB10_40
; %bb.37:
	s_mov_b32 s5, exec_lo
	v_cmpx_eq_u32_e64 v7, v0
	s_cbranch_execz .LBB10_39
; %bb.38:
	v_mul_u32_u24_e32 v8, 34, v0
	s_delay_alu instid0(VALU_DEP_1)
	v_dual_mov_b32 v9, 0 :: v_dual_lshlrev_b32 v8, 3, v8
	ds_store_b32 v8, v9 offset:4
.LBB10_39:
	s_or_b32 exec_lo, exec_lo, s5
.LBB10_40:
	s_or_saveexec_b32 s0, s0
	v_mul_u32_u24_e32 v9, 33, v7
	s_xor_b32 exec_lo, exec_lo, s0
	s_cbranch_execz .LBB10_42
; %bb.41:
	s_delay_alu instid0(VALU_DEP_1)
	v_add_lshl_u32 v8, v9, v0, 3
	ds_load_b64 v[10:11], v8
	s_waitcnt lgkmcnt(0)
	v_xor_b32_e32 v11, 0x80000000, v11
	ds_store_b64 v4, v[10:11] offset:8
.LBB10_42:
	s_or_b32 exec_lo, exec_lo, s0
	v_or_b32_e32 v8, 2, v6
	s_delay_alu instid0(VALU_DEP_1) | instskip(NEXT) | instid1(VALU_DEP_1)
	v_cmp_ge_u32_e64 s5, v8, v0
	s_and_saveexec_b32 s0, s5
	s_delay_alu instid0(SALU_CYCLE_1)
	s_xor_b32 s0, exec_lo, s0
	s_cbranch_execz .LBB10_46
; %bb.43:
	s_mov_b32 s6, exec_lo
	v_cmpx_eq_u32_e64 v8, v0
	s_cbranch_execz .LBB10_45
; %bb.44:
	v_mul_u32_u24_e32 v10, 34, v0
	s_delay_alu instid0(VALU_DEP_1)
	v_dual_mov_b32 v11, 0 :: v_dual_lshlrev_b32 v10, 3, v10
	ds_store_b32 v10, v11 offset:4
.LBB10_45:
	s_or_b32 exec_lo, exec_lo, s6
.LBB10_46:
	s_and_not1_saveexec_b32 s0, s0
	s_cbranch_execz .LBB10_48
; %bb.47:
	v_mul_u32_u24_e32 v10, 33, v8
	s_delay_alu instid0(VALU_DEP_1)
	v_add_lshl_u32 v10, v10, v0, 3
	ds_load_b64 v[10:11], v10
	s_waitcnt lgkmcnt(0)
	v_xor_b32_e32 v11, 0x80000000, v11
	ds_store_b64 v4, v[10:11] offset:16
.LBB10_48:
	s_or_b32 exec_lo, exec_lo, s0
	v_or_b32_e32 v10, 3, v6
	s_delay_alu instid0(VALU_DEP_1) | instskip(NEXT) | instid1(VALU_DEP_1)
	v_cmp_ge_u32_e64 s6, v10, v0
	s_and_saveexec_b32 s0, s6
	s_delay_alu instid0(SALU_CYCLE_1)
	s_xor_b32 s0, exec_lo, s0
	s_cbranch_execz .LBB10_52
; %bb.49:
	s_mov_b32 s13, exec_lo
	v_cmpx_eq_u32_e64 v10, v0
	s_cbranch_execz .LBB10_51
; %bb.50:
	v_mul_u32_u24_e32 v11, 34, v0
	s_delay_alu instid0(VALU_DEP_1)
	v_dual_mov_b32 v12, 0 :: v_dual_lshlrev_b32 v11, 3, v11
	ds_store_b32 v11, v12 offset:4
.LBB10_51:
	s_or_b32 exec_lo, exec_lo, s13
.LBB10_52:
	s_and_not1_saveexec_b32 s0, s0
	s_cbranch_execz .LBB10_54
; %bb.53:
	v_mul_u32_u24_e32 v11, 33, v10
	s_delay_alu instid0(VALU_DEP_1)
	v_add_lshl_u32 v11, v11, v0, 3
	ds_load_b64 v[11:12], v11
	s_waitcnt lgkmcnt(0)
	v_xor_b32_e32 v12, 0x80000000, v12
	ds_store_b64 v4, v[11:12] offset:24
.LBB10_54:
	s_or_b32 exec_lo, exec_lo, s0
	v_add_lshl_u32 v11, v3, v0, 3
	v_lshlrev_b32_e32 v3, 3, v6
	v_add_lshl_u32 v9, v9, v0, 3
	s_waitcnt lgkmcnt(0)
	s_barrier
	buffer_gl0_inv
	ds_load_b64 v[17:18], v11
	ds_load_b128 v[12:15], v3 offset:9088
	ds_load_2addr_b64 v[28:31], v9 offset1:33
	ds_load_b128 v[32:35], v3 offset:9104
	ds_load_b64 v[23:24], v9 offset:528
	v_cmp_gt_u32_e64 s0, 32, v26
	s_waitcnt lgkmcnt(0)
	s_barrier
	buffer_gl0_inv
	v_dual_mul_f32 v36, v13, v18 :: v_dual_mul_f32 v37, v15, v29
	v_dual_mul_f32 v18, v12, v18 :: v_dual_mul_f32 v29, v14, v29
	v_mul_f32_e32 v38, v33, v31
	s_delay_alu instid0(VALU_DEP_3) | instskip(NEXT) | instid1(VALU_DEP_3)
	v_fma_f32 v12, v12, v17, -v36
	v_dual_mul_f32 v31, v32, v31 :: v_dual_fmac_f32 v18, v13, v17
	v_fma_f32 v14, v14, v28, -v37
	s_delay_alu instid0(VALU_DEP_4) | instskip(NEXT) | instid1(VALU_DEP_4)
	v_fma_f32 v17, v32, v30, -v38
	v_add_f32_e32 v12, 0, v12
	v_mul_f32_e32 v13, v35, v24
	v_fmac_f32_e32 v31, v33, v30
	s_delay_alu instid0(VALU_DEP_3) | instskip(SKIP_1) | instid1(VALU_DEP_4)
	v_dual_add_f32 v12, v12, v14 :: v_dual_fmac_f32 v29, v15, v28
	v_dual_add_f32 v15, 0, v18 :: v_dual_mul_f32 v18, v34, v24
	v_fma_f32 v13, v34, v23, -v13
	s_delay_alu instid0(VALU_DEP_3) | instskip(NEXT) | instid1(VALU_DEP_3)
	v_dual_add_f32 v12, v12, v17 :: v_dual_mov_b32 v17, 0
	v_add_f32_e32 v14, v15, v29
	s_delay_alu instid0(VALU_DEP_4) | instskip(SKIP_1) | instid1(VALU_DEP_3)
	v_fmac_f32_e32 v18, v35, v23
	v_add_lshl_u32 v28, v5, v27, 3
	v_add_f32_e32 v14, v14, v31
	s_delay_alu instid0(VALU_DEP_1)
	v_dual_add_f32 v12, v12, v13 :: v_dual_add_f32 v13, v14, v18
	v_mov_b32_e32 v18, 0
	ds_store_b64 v28, v[12:13]
	s_waitcnt lgkmcnt(0)
	s_barrier
	buffer_gl0_inv
	s_and_saveexec_b32 s13, s0
	s_cbranch_execz .LBB10_56
; %bb.55:
	v_lshlrev_b32_e32 v17, 3, v27
	ds_load_2addr_b64 v[12:15], v17 offset1:7
	ds_load_2addr_b64 v[29:32], v17 offset0:1 offset1:2
	ds_load_2addr_b64 v[33:36], v17 offset0:3 offset1:4
	;; [unrolled: 1-line block ×3, first 2 shown]
	s_waitcnt lgkmcnt(2)
	v_dual_add_f32 v12, v29, v12 :: v_dual_add_f32 v13, v30, v13
	s_delay_alu instid0(VALU_DEP_1) | instskip(SKIP_1) | instid1(VALU_DEP_1)
	v_dual_add_f32 v12, v12, v31 :: v_dual_add_f32 v13, v13, v32
	s_waitcnt lgkmcnt(1)
	v_dual_add_f32 v12, v12, v33 :: v_dual_add_f32 v13, v13, v34
	s_delay_alu instid0(VALU_DEP_1) | instskip(SKIP_1) | instid1(VALU_DEP_1)
	v_dual_add_f32 v12, v12, v35 :: v_dual_add_f32 v13, v13, v36
	s_waitcnt lgkmcnt(0)
	v_dual_add_f32 v12, v12, v37 :: v_dual_add_f32 v13, v13, v38
	s_delay_alu instid0(VALU_DEP_1) | instskip(NEXT) | instid1(VALU_DEP_1)
	v_dual_add_f32 v12, v12, v39 :: v_dual_add_f32 v13, v13, v40
	v_dual_add_f32 v17, v12, v14 :: v_dual_add_f32 v18, v13, v15
.LBB10_56:
	s_or_b32 exec_lo, exec_lo, s13
	s_lshl_b32 s20, s18, 5
	v_cndmask_b32_e64 v12, 0, 1, s7
	s_ashr_i32 s21, s20, 31
	s_delay_alu instid0(SALU_CYCLE_1)
	s_lshl_b64 s[20:21], s[20:21], 3
	s_barrier
	v_add_co_u32 v1, vcc_lo, v1, s20
	v_add_co_ci_u32_e32 v2, vcc_lo, s21, v2, vcc_lo
	buffer_gl0_inv
	v_add_co_u32 v13, vcc_lo, 0x100, v1
	v_add_co_ci_u32_e32 v14, vcc_lo, 0, v2, vcc_lo
	s_and_not1_b32 vcc_lo, exec_lo, s7
	s_cbranch_vccnz .LBB10_58
; %bb.57:
	s_lshl_b32 s22, s18, 3
	s_ashr_i32 s19, s18, 31
	s_ashr_i32 s23, s22, 31
	v_mul_u32_u24_e32 v15, 33, v5
	s_lshl_b64 s[22:23], s[22:23], 3
	s_delay_alu instid0(SALU_CYCLE_1) | instskip(SKIP_3) | instid1(VALU_DEP_3)
	v_add_co_u32 v23, vcc_lo, v1, s22
	v_add_co_ci_u32_e32 v24, vcc_lo, s23, v2, vcc_lo
	s_lshl_b64 s[22:23], s[18:19], 6
	v_add_lshl_u32 v15, v15, v0, 3
	v_add_co_u32 v29, vcc_lo, v23, s22
	s_delay_alu instid0(VALU_DEP_3) | instskip(NEXT) | instid1(VALU_DEP_2)
	v_add_co_ci_u32_e32 v30, vcc_lo, s23, v24, vcc_lo
	v_add_co_u32 v31, vcc_lo, v29, s22
	s_delay_alu instid0(VALU_DEP_2)
	v_add_co_ci_u32_e32 v32, vcc_lo, s23, v30, vcc_lo
	s_clause 0x3
	global_load_b64 v[1:2], v[1:2], off offset:256
	global_load_b64 v[23:24], v[23:24], off offset:256
	;; [unrolled: 1-line block ×4, first 2 shown]
	s_waitcnt vmcnt(3)
	ds_store_b64 v15, v[1:2]
	s_waitcnt vmcnt(2)
	ds_store_b64 v15, v[23:24] offset:2112
	s_waitcnt vmcnt(1)
	ds_store_b64 v15, v[29:30] offset:4224
	s_waitcnt vmcnt(0)
	ds_store_b64 v15, v[31:32] offset:6336
	s_cbranch_execz .LBB10_59
	s_branch .LBB10_76
.LBB10_58:
.LBB10_59:
	v_lshlrev_b32_e32 v15, 3, v0
	s_ashr_i32 s13, s12, 31
	v_or_b32_e32 v23, 32, v0
	s_lshl_b64 s[22:23], s[12:13], 3
	s_sub_i32 s13, s12, 32
	v_sub_co_u32 v1, vcc_lo, v13, v15
	v_subrev_co_ci_u32_e32 v2, vcc_lo, 0, v14, vcc_lo
	v_cmp_le_i32_e64 s7, s13, v5
	s_delay_alu instid0(VALU_DEP_3) | instskip(NEXT) | instid1(VALU_DEP_3)
	v_add_co_u32 v1, vcc_lo, v1, s22
	v_add_co_ci_u32_e32 v2, vcc_lo, s23, v2, vcc_lo
	s_delay_alu instid0(VALU_DEP_2) | instskip(NEXT) | instid1(VALU_DEP_2)
	v_add_co_u32 v1, vcc_lo, 0xfffffef8, v1
	v_add_co_ci_u32_e32 v2, vcc_lo, -1, v2, vcc_lo
	v_cmp_gt_i32_e32 vcc_lo, s12, v23
	v_mul_u32_u24_e32 v23, 33, v5
	s_delay_alu instid0(VALU_DEP_3) | instskip(NEXT) | instid1(VALU_DEP_2)
	v_dual_cndmask_b32 v2, v2, v14 :: v_dual_cndmask_b32 v1, v1, v13
	v_add_lshl_u32 v23, v23, v0, 3
	s_and_saveexec_b32 s19, s7
	s_delay_alu instid0(SALU_CYCLE_1)
	s_xor_b32 s7, exec_lo, s19
	s_cbranch_execz .LBB10_61
; %bb.60:
	v_mov_b32_e32 v29, 0
	s_delay_alu instid0(VALU_DEP_1)
	v_mov_b32_e32 v30, v29
	ds_store_b64 v23, v[29:30]
.LBB10_61:
	s_and_not1_saveexec_b32 s7, s7
	s_cbranch_execz .LBB10_63
; %bb.62:
	global_load_b64 v[29:30], v[1:2], off
	s_waitcnt vmcnt(0)
	ds_store_b64 v23, v[29:30]
.LBB10_63:
	s_or_b32 exec_lo, exec_lo, s7
	v_add_nc_u32_e32 v24, 8, v5
	s_delay_alu instid0(VALU_DEP_1) | instskip(NEXT) | instid1(VALU_DEP_1)
	v_cmp_le_i32_e64 s7, s13, v24
	s_and_saveexec_b32 s19, s7
	s_delay_alu instid0(SALU_CYCLE_1)
	s_xor_b32 s7, exec_lo, s19
	s_cbranch_execz .LBB10_65
; %bb.64:
	v_mul_u32_u24_e32 v24, 33, v24
	v_mov_b32_e32 v29, 0
	s_delay_alu instid0(VALU_DEP_2) | instskip(NEXT) | instid1(VALU_DEP_2)
	v_add_lshl_u32 v24, v24, v0, 3
	v_mov_b32_e32 v30, v29
	ds_store_b64 v24, v[29:30]
.LBB10_65:
	s_and_not1_saveexec_b32 s19, s7
	s_cbranch_execz .LBB10_67
; %bb.66:
	s_lshl_b32 s28, s18, 3
	s_delay_alu instid0(SALU_CYCLE_1) | instskip(NEXT) | instid1(SALU_CYCLE_1)
	s_ashr_i32 s29, s28, 31
	s_lshl_b64 s[28:29], s[28:29], 3
	s_delay_alu instid0(SALU_CYCLE_1) | instskip(NEXT) | instid1(VALU_DEP_1)
	v_add_co_u32 v29, s7, v1, s28
	v_add_co_ci_u32_e64 v30, s7, s29, v2, s7
	global_load_b64 v[29:30], v[29:30], off
	s_waitcnt vmcnt(0)
	ds_store_b64 v23, v[29:30] offset:2112
.LBB10_67:
	s_or_b32 exec_lo, exec_lo, s19
	v_add_nc_u32_e32 v24, 16, v5
	s_delay_alu instid0(VALU_DEP_1) | instskip(NEXT) | instid1(VALU_DEP_1)
	v_cmp_le_i32_e64 s7, s13, v24
	s_and_saveexec_b32 s19, s7
	s_delay_alu instid0(SALU_CYCLE_1)
	s_xor_b32 s7, exec_lo, s19
	s_cbranch_execz .LBB10_69
; %bb.68:
	v_mul_u32_u24_e32 v24, 33, v24
	v_mov_b32_e32 v29, 0
	s_delay_alu instid0(VALU_DEP_2) | instskip(NEXT) | instid1(VALU_DEP_2)
	v_add_lshl_u32 v24, v24, v0, 3
	v_mov_b32_e32 v30, v29
	ds_store_b64 v24, v[29:30]
.LBB10_69:
	s_and_not1_saveexec_b32 s19, s7
	s_cbranch_execz .LBB10_71
; %bb.70:
	s_lshl_b32 s28, s18, 4
	s_delay_alu instid0(SALU_CYCLE_1) | instskip(NEXT) | instid1(SALU_CYCLE_1)
	s_ashr_i32 s29, s28, 31
	s_lshl_b64 s[28:29], s[28:29], 3
	s_delay_alu instid0(SALU_CYCLE_1) | instskip(NEXT) | instid1(VALU_DEP_1)
	v_add_co_u32 v29, s7, v1, s28
	v_add_co_ci_u32_e64 v30, s7, s29, v2, s7
	global_load_b64 v[29:30], v[29:30], off
	s_waitcnt vmcnt(0)
	ds_store_b64 v23, v[29:30] offset:4224
.LBB10_71:
	s_or_b32 exec_lo, exec_lo, s19
	v_add_nc_u32_e32 v24, 24, v5
	s_delay_alu instid0(VALU_DEP_1) | instskip(NEXT) | instid1(VALU_DEP_1)
	v_cmp_le_i32_e64 s7, s13, v24
	s_and_saveexec_b32 s13, s7
	s_delay_alu instid0(SALU_CYCLE_1)
	s_xor_b32 s7, exec_lo, s13
	s_cbranch_execz .LBB10_73
; %bb.72:
	v_mov_b32_e32 v29, 0
	s_delay_alu instid0(VALU_DEP_1)
	v_mov_b32_e32 v30, v29
	ds_store_b64 v23, v[29:30] offset:6336
                                        ; implicit-def: $vgpr23
.LBB10_73:
	s_and_not1_saveexec_b32 s13, s7
	s_cbranch_execz .LBB10_75
; %bb.74:
	s_mul_i32 s28, s18, 24
	s_delay_alu instid0(SALU_CYCLE_1) | instskip(NEXT) | instid1(SALU_CYCLE_1)
	s_ashr_i32 s29, s28, 31
	s_lshl_b64 s[28:29], s[28:29], 3
	s_delay_alu instid0(SALU_CYCLE_1) | instskip(NEXT) | instid1(VALU_DEP_1)
	v_add_co_u32 v29, s7, v1, s28
	v_add_co_ci_u32_e64 v30, s7, s29, v2, s7
	global_load_b64 v[29:30], v[29:30], off
	s_waitcnt vmcnt(0)
	ds_store_b64 v23, v[29:30] offset:6336
.LBB10_75:
	s_or_b32 exec_lo, exec_lo, s13
	v_add_co_u32 v1, s7, v1, v15
	s_delay_alu instid0(VALU_DEP_1) | instskip(NEXT) | instid1(VALU_DEP_2)
	v_add_co_ci_u32_e64 v2, s7, 0, v2, s7
	v_sub_co_u32 v1, s7, v1, s22
	s_delay_alu instid0(VALU_DEP_1) | instskip(NEXT) | instid1(VALU_DEP_2)
	v_subrev_co_ci_u32_e64 v2, s7, s23, v2, s7
	v_add_co_u32 v1, s7, 0x108, v1
	s_delay_alu instid0(VALU_DEP_1) | instskip(NEXT) | instid1(VALU_DEP_1)
	v_add_co_ci_u32_e64 v2, s7, 0, v2, s7
	v_dual_cndmask_b32 v13, v1, v13 :: v_dual_cndmask_b32 v14, v2, v14
.LBB10_76:
	v_add_nc_u32_e32 v3, 0x2380, v3
	s_waitcnt lgkmcnt(0)
	s_barrier
	buffer_gl0_inv
	s_and_saveexec_b32 s7, s1
	s_delay_alu instid0(SALU_CYCLE_1)
	s_xor_b32 s1, exec_lo, s7
	s_cbranch_execnz .LBB10_89
; %bb.77:
	s_and_not1_saveexec_b32 s1, s1
	s_cbranch_execnz .LBB10_92
.LBB10_78:
	s_or_b32 exec_lo, exec_lo, s1
	s_and_saveexec_b32 s1, s4
	s_delay_alu instid0(SALU_CYCLE_1)
	s_xor_b32 s1, exec_lo, s1
	s_cbranch_execnz .LBB10_93
.LBB10_79:
	s_and_not1_saveexec_b32 s1, s1
	s_cbranch_execnz .LBB10_96
.LBB10_80:
	s_or_b32 exec_lo, exec_lo, s1
	s_and_saveexec_b32 s1, s5
	s_delay_alu instid0(SALU_CYCLE_1)
	s_xor_b32 s1, exec_lo, s1
	s_cbranch_execnz .LBB10_97
.LBB10_81:
	s_and_not1_saveexec_b32 s1, s1
	s_cbranch_execnz .LBB10_100
.LBB10_82:
	s_or_b32 exec_lo, exec_lo, s1
	s_and_saveexec_b32 s1, s6
	s_delay_alu instid0(SALU_CYCLE_1)
	s_xor_b32 s1, exec_lo, s1
	s_cbranch_execnz .LBB10_101
.LBB10_83:
	s_and_not1_saveexec_b32 s1, s1
	s_cbranch_execz .LBB10_85
.LBB10_84:
	ds_load_b64 v[1:2], v9 offset:528
	s_waitcnt lgkmcnt(0)
	v_xor_b32_e32 v2, 0x80000000, v2
	ds_store_b64 v4, v[1:2] offset:24
.LBB10_85:
	s_or_b32 exec_lo, exec_lo, s1
	s_waitcnt lgkmcnt(0)
	s_barrier
	buffer_gl0_inv
	ds_load_b64 v[1:2], v11
	ds_load_b128 v[29:32], v3 offset:256
	ds_load_2addr_b64 v[33:36], v9 offset1:33
	ds_load_b128 v[37:40], v3 offset:272
	ds_load_b64 v[6:7], v9 offset:528
	v_cmp_eq_u32_e64 s1, 1, v5
	s_waitcnt lgkmcnt(0)
	s_barrier
	buffer_gl0_inv
	v_mul_f32_e32 v8, v30, v2
	v_dual_mul_f32 v2, v29, v2 :: v_dual_mul_f32 v11, v38, v36
	v_mul_f32_e32 v9, v32, v34
	v_mul_f32_e32 v15, v37, v36
	s_delay_alu instid0(VALU_DEP_4) | instskip(NEXT) | instid1(VALU_DEP_4)
	v_fma_f32 v8, v29, v1, -v8
	v_fmac_f32_e32 v2, v30, v1
	v_dual_mul_f32 v10, v31, v34 :: v_dual_mul_f32 v1, v40, v7
	v_fma_f32 v9, v31, v33, -v9
	s_delay_alu instid0(VALU_DEP_4) | instskip(NEXT) | instid1(VALU_DEP_3)
	v_dual_add_f32 v8, 0, v8 :: v_dual_fmac_f32 v15, v38, v35
	v_dual_fmac_f32 v10, v32, v33 :: v_dual_mul_f32 v7, v39, v7
	v_fma_f32 v11, v37, v35, -v11
	s_delay_alu instid0(VALU_DEP_3) | instskip(SKIP_1) | instid1(VALU_DEP_4)
	v_add_f32_e32 v8, v8, v9
	v_fma_f32 v1, v39, v6, -v1
	v_fmac_f32_e32 v7, v40, v6
	s_delay_alu instid0(VALU_DEP_3) | instskip(NEXT) | instid1(VALU_DEP_1)
	v_add_f32_e32 v6, v8, v11
	v_dual_add_f32 v2, 0, v2 :: v_dual_add_f32 v1, v6, v1
	s_delay_alu instid0(VALU_DEP_1) | instskip(NEXT) | instid1(VALU_DEP_1)
	v_add_f32_e32 v2, v2, v10
	v_add_f32_e32 v2, v2, v15
	s_delay_alu instid0(VALU_DEP_1)
	v_add_f32_e32 v2, v2, v7
	ds_store_b64 v28, v[1:2]
	s_waitcnt lgkmcnt(0)
	s_barrier
	buffer_gl0_inv
	s_and_saveexec_b32 s4, s1
	s_cbranch_execz .LBB10_87
; %bb.86:
	v_lshlrev_b32_e32 v1, 3, v27
	ds_load_2addr_b64 v[6:9], v1 offset1:7
	ds_load_2addr_b64 v[29:32], v1 offset0:1 offset1:2
	ds_load_2addr_b64 v[33:36], v1 offset0:3 offset1:4
	;; [unrolled: 1-line block ×3, first 2 shown]
	s_waitcnt lgkmcnt(2)
	v_dual_add_f32 v1, v29, v6 :: v_dual_add_f32 v2, v30, v7
	s_delay_alu instid0(VALU_DEP_1) | instskip(SKIP_1) | instid1(VALU_DEP_1)
	v_dual_add_f32 v2, v2, v32 :: v_dual_add_f32 v1, v1, v31
	s_waitcnt lgkmcnt(1)
	v_dual_add_f32 v2, v2, v34 :: v_dual_add_f32 v1, v1, v33
	s_delay_alu instid0(VALU_DEP_1) | instskip(SKIP_1) | instid1(VALU_DEP_1)
	v_dual_add_f32 v2, v2, v36 :: v_dual_add_f32 v1, v1, v35
	s_waitcnt lgkmcnt(0)
	v_dual_add_f32 v2, v2, v38 :: v_dual_add_f32 v1, v1, v37
	s_delay_alu instid0(VALU_DEP_1) | instskip(NEXT) | instid1(VALU_DEP_1)
	v_dual_add_f32 v2, v2, v40 :: v_dual_add_f32 v1, v1, v39
	v_dual_add_f32 v18, v2, v9 :: v_dual_add_f32 v17, v1, v8
.LBB10_87:
	s_or_b32 exec_lo, exec_lo, s4
	v_cmp_ne_u32_e32 vcc_lo, 1, v12
	v_sub_co_u32 v23, s4, v13, s20
	s_delay_alu instid0(VALU_DEP_1)
	v_subrev_co_ci_u32_e64 v24, s4, s21, v14, s4
	s_barrier
	buffer_gl0_inv
	s_cbranch_vccnz .LBB10_104
; %bb.88:
	s_lshl_b32 s4, s18, 3
	s_ashr_i32 s19, s18, 31
	s_ashr_i32 s5, s4, 31
	v_add_nc_u32_e32 v10, 24, v5
	s_lshl_b64 s[4:5], s[4:5], 3
	s_delay_alu instid0(SALU_CYCLE_1)
	v_add_co_u32 v1, vcc_lo, v23, s4
	v_add_co_ci_u32_e32 v2, vcc_lo, s5, v24, vcc_lo
	s_lshl_b64 s[4:5], s[18:19], 6
	s_delay_alu instid0(VALU_DEP_2) | instid1(SALU_CYCLE_1)
	v_add_co_u32 v6, vcc_lo, v1, s4
	s_delay_alu instid0(VALU_DEP_2) | instskip(NEXT) | instid1(VALU_DEP_2)
	v_add_co_ci_u32_e32 v7, vcc_lo, s5, v2, vcc_lo
	v_add_co_u32 v8, vcc_lo, v6, s4
	s_delay_alu instid0(VALU_DEP_2)
	v_add_co_ci_u32_e32 v9, vcc_lo, s5, v7, vcc_lo
	s_clause 0x3
	global_load_b64 v[12:13], v[23:24], off
	global_load_b64 v[14:15], v[1:2], off
	;; [unrolled: 1-line block ×4, first 2 shown]
	v_mad_u32_u24 v6, v5, 33, v0
	v_add_nc_u32_e32 v7, 8, v5
	v_add_nc_u32_e32 v8, 16, v5
	s_delay_alu instid0(VALU_DEP_3)
	v_lshlrev_b32_e32 v9, 3, v6
	v_add_nc_u32_e32 v1, 0x108, v6
	v_add_nc_u32_e32 v2, 0x210, v6
	;; [unrolled: 1-line block ×3, first 2 shown]
	s_waitcnt vmcnt(3)
	ds_store_b64 v9, v[12:13]
	s_waitcnt vmcnt(2)
	ds_store_b64 v9, v[14:15] offset:2112
	s_waitcnt vmcnt(1)
	ds_store_b64 v9, v[29:30] offset:4224
	;; [unrolled: 2-line block ×3, first 2 shown]
	s_cbranch_execz .LBB10_105
	s_branch .LBB10_122
.LBB10_89:
	s_mov_b32 s7, exec_lo
	v_cmpx_eq_u32_e64 v6, v0
	s_cbranch_execz .LBB10_91
; %bb.90:
	v_mul_u32_u24_e32 v1, 34, v0
	s_delay_alu instid0(VALU_DEP_1)
	v_dual_mov_b32 v2, 0 :: v_dual_lshlrev_b32 v1, 3, v1
	ds_store_b32 v1, v2 offset:4
.LBB10_91:
	s_or_b32 exec_lo, exec_lo, s7
	s_and_not1_saveexec_b32 s1, s1
	s_cbranch_execz .LBB10_78
.LBB10_92:
	ds_load_b64 v[1:2], v11
	s_waitcnt lgkmcnt(0)
	v_xor_b32_e32 v2, 0x80000000, v2
	ds_store_b64 v4, v[1:2]
	s_or_b32 exec_lo, exec_lo, s1
	s_and_saveexec_b32 s1, s4
	s_delay_alu instid0(SALU_CYCLE_1)
	s_xor_b32 s1, exec_lo, s1
	s_cbranch_execz .LBB10_79
.LBB10_93:
	s_mov_b32 s4, exec_lo
	v_cmpx_eq_u32_e64 v7, v0
	s_cbranch_execz .LBB10_95
; %bb.94:
	v_mul_u32_u24_e32 v1, 34, v0
	s_delay_alu instid0(VALU_DEP_1)
	v_dual_mov_b32 v2, 0 :: v_dual_lshlrev_b32 v1, 3, v1
	ds_store_b32 v1, v2 offset:4
.LBB10_95:
	s_or_b32 exec_lo, exec_lo, s4
	s_and_not1_saveexec_b32 s1, s1
	s_cbranch_execz .LBB10_80
.LBB10_96:
	ds_load_b64 v[1:2], v9
	s_waitcnt lgkmcnt(0)
	v_xor_b32_e32 v2, 0x80000000, v2
	ds_store_b64 v4, v[1:2] offset:8
	s_or_b32 exec_lo, exec_lo, s1
	s_and_saveexec_b32 s1, s5
	s_delay_alu instid0(SALU_CYCLE_1)
	s_xor_b32 s1, exec_lo, s1
	s_cbranch_execz .LBB10_81
.LBB10_97:
	s_mov_b32 s4, exec_lo
	v_cmpx_eq_u32_e64 v8, v0
	s_cbranch_execz .LBB10_99
; %bb.98:
	v_mul_u32_u24_e32 v1, 34, v0
	s_delay_alu instid0(VALU_DEP_1)
	v_dual_mov_b32 v2, 0 :: v_dual_lshlrev_b32 v1, 3, v1
	ds_store_b32 v1, v2 offset:4
.LBB10_99:
	s_or_b32 exec_lo, exec_lo, s4
	s_and_not1_saveexec_b32 s1, s1
	s_cbranch_execz .LBB10_82
.LBB10_100:
	ds_load_b64 v[1:2], v9 offset:264
	s_waitcnt lgkmcnt(0)
	v_xor_b32_e32 v2, 0x80000000, v2
	ds_store_b64 v4, v[1:2] offset:16
	s_or_b32 exec_lo, exec_lo, s1
	s_and_saveexec_b32 s1, s6
	s_delay_alu instid0(SALU_CYCLE_1)
	s_xor_b32 s1, exec_lo, s1
	s_cbranch_execz .LBB10_83
.LBB10_101:
	s_mov_b32 s4, exec_lo
	v_cmpx_eq_u32_e64 v10, v0
	s_cbranch_execz .LBB10_103
; %bb.102:
	v_mul_u32_u24_e32 v1, 34, v0
	s_delay_alu instid0(VALU_DEP_1)
	v_dual_mov_b32 v2, 0 :: v_dual_lshlrev_b32 v1, 3, v1
	ds_store_b32 v1, v2 offset:4
.LBB10_103:
	s_or_b32 exec_lo, exec_lo, s4
	s_and_not1_saveexec_b32 s1, s1
	s_cbranch_execnz .LBB10_84
	s_branch .LBB10_85
.LBB10_104:
                                        ; implicit-def: $vgpr6
                                        ; implicit-def: $vgpr7
                                        ; implicit-def: $vgpr1
                                        ; implicit-def: $vgpr8
                                        ; implicit-def: $vgpr2
                                        ; implicit-def: $vgpr10
                                        ; implicit-def: $vgpr11
.LBB10_105:
	v_lshlrev_b32_e32 v9, 3, v0
	s_ashr_i32 s13, s12, 31
	v_or_b32_e32 v6, 32, v0
	s_lshl_b64 s[6:7], s[12:13], 3
	v_cmp_le_i32_e64 s4, s12, v5
	v_sub_co_u32 v1, vcc_lo, v23, v9
	v_subrev_co_ci_u32_e32 v2, vcc_lo, 0, v24, vcc_lo
	s_delay_alu instid0(VALU_DEP_2) | instskip(NEXT) | instid1(VALU_DEP_2)
	v_add_co_u32 v1, vcc_lo, v1, s6
	v_add_co_ci_u32_e32 v2, vcc_lo, s7, v2, vcc_lo
	s_delay_alu instid0(VALU_DEP_2) | instskip(NEXT) | instid1(VALU_DEP_2)
	v_add_co_u32 v1, vcc_lo, 0xfffffef8, v1
	v_add_co_ci_u32_e32 v2, vcc_lo, -1, v2, vcc_lo
	v_cmp_gt_i32_e32 vcc_lo, s12, v6
	v_mad_u32_u24 v6, v5, 33, v0
	s_delay_alu instid0(VALU_DEP_3) | instskip(NEXT) | instid1(VALU_DEP_2)
	v_dual_cndmask_b32 v2, v2, v24 :: v_dual_cndmask_b32 v1, v1, v23
	v_lshlrev_b32_e32 v12, 3, v6
	s_and_saveexec_b32 s5, s4
	s_delay_alu instid0(SALU_CYCLE_1)
	s_xor_b32 s4, exec_lo, s5
	s_cbranch_execz .LBB10_107
; %bb.106:
	v_mov_b32_e32 v7, 0
	s_delay_alu instid0(VALU_DEP_1)
	v_mov_b32_e32 v8, v7
	ds_store_b64 v12, v[7:8]
.LBB10_107:
	s_and_not1_saveexec_b32 s4, s4
	s_cbranch_execz .LBB10_109
; %bb.108:
	global_load_b64 v[7:8], v[1:2], off
	s_waitcnt vmcnt(0)
	ds_store_b64 v12, v[7:8]
.LBB10_109:
	s_or_b32 exec_lo, exec_lo, s4
	v_add_nc_u32_e32 v7, 8, v5
	s_delay_alu instid0(VALU_DEP_1) | instskip(NEXT) | instid1(VALU_DEP_1)
	v_cmp_le_i32_e64 s4, s12, v7
	s_and_saveexec_b32 s5, s4
	s_delay_alu instid0(SALU_CYCLE_1)
	s_xor_b32 s4, exec_lo, s5
	s_cbranch_execz .LBB10_111
; %bb.110:
	v_mul_u32_u24_e32 v8, 33, v7
	v_mov_b32_e32 v10, 0
	s_delay_alu instid0(VALU_DEP_2) | instskip(NEXT) | instid1(VALU_DEP_2)
	v_add_lshl_u32 v8, v8, v0, 3
	v_mov_b32_e32 v11, v10
	ds_store_b64 v8, v[10:11]
.LBB10_111:
	s_and_not1_saveexec_b32 s5, s4
	s_cbranch_execz .LBB10_113
; %bb.112:
	s_lshl_b32 s20, s18, 3
	s_delay_alu instid0(SALU_CYCLE_1) | instskip(NEXT) | instid1(SALU_CYCLE_1)
	s_ashr_i32 s21, s20, 31
	s_lshl_b64 s[20:21], s[20:21], 3
	s_delay_alu instid0(SALU_CYCLE_1) | instskip(NEXT) | instid1(VALU_DEP_1)
	v_add_co_u32 v10, s4, v1, s20
	v_add_co_ci_u32_e64 v11, s4, s21, v2, s4
	global_load_b64 v[10:11], v[10:11], off
	s_waitcnt vmcnt(0)
	ds_store_b64 v12, v[10:11] offset:2112
.LBB10_113:
	s_or_b32 exec_lo, exec_lo, s5
	v_add_nc_u32_e32 v8, 16, v5
	s_delay_alu instid0(VALU_DEP_1) | instskip(NEXT) | instid1(VALU_DEP_1)
	v_cmp_le_i32_e64 s4, s12, v8
	s_and_saveexec_b32 s5, s4
	s_delay_alu instid0(SALU_CYCLE_1)
	s_xor_b32 s4, exec_lo, s5
	s_cbranch_execz .LBB10_115
; %bb.114:
	v_mul_u32_u24_e32 v11, 33, v8
	v_mov_b32_e32 v10, 0
	s_delay_alu instid0(VALU_DEP_2) | instskip(NEXT) | instid1(VALU_DEP_2)
	v_add_lshl_u32 v13, v11, v0, 3
	v_mov_b32_e32 v11, v10
	ds_store_b64 v13, v[10:11]
.LBB10_115:
	s_and_not1_saveexec_b32 s5, s4
	s_cbranch_execz .LBB10_117
; %bb.116:
	s_lshl_b32 s20, s18, 4
	s_delay_alu instid0(SALU_CYCLE_1) | instskip(NEXT) | instid1(SALU_CYCLE_1)
	s_ashr_i32 s21, s20, 31
	s_lshl_b64 s[20:21], s[20:21], 3
	s_delay_alu instid0(SALU_CYCLE_1) | instskip(NEXT) | instid1(VALU_DEP_1)
	v_add_co_u32 v10, s4, v1, s20
	v_add_co_ci_u32_e64 v11, s4, s21, v2, s4
	global_load_b64 v[10:11], v[10:11], off
	s_waitcnt vmcnt(0)
	ds_store_b64 v12, v[10:11] offset:4224
.LBB10_117:
	s_or_b32 exec_lo, exec_lo, s5
	v_add_nc_u32_e32 v10, 24, v5
                                        ; implicit-def: $vgpr11
	s_delay_alu instid0(VALU_DEP_1) | instskip(NEXT) | instid1(VALU_DEP_1)
	v_cmp_le_i32_e64 s4, s12, v10
	s_and_saveexec_b32 s5, s4
	s_delay_alu instid0(SALU_CYCLE_1)
	s_xor_b32 s4, exec_lo, s5
	s_cbranch_execz .LBB10_119
; %bb.118:
	v_mad_u32_u24 v11, v10, 33, v0
	v_mov_b32_e32 v12, 0
	s_delay_alu instid0(VALU_DEP_1)
	v_dual_mov_b32 v13, v12 :: v_dual_lshlrev_b32 v0, 3, v11
	ds_store_b64 v0, v[12:13]
                                        ; implicit-def: $vgpr12
.LBB10_119:
	s_and_not1_saveexec_b32 s5, s4
	s_cbranch_execz .LBB10_121
; %bb.120:
	s_mul_i32 s20, s18, 24
	v_add_nc_u32_e32 v11, 0x318, v6
	s_ashr_i32 s21, s20, 31
	s_delay_alu instid0(SALU_CYCLE_1) | instskip(NEXT) | instid1(SALU_CYCLE_1)
	s_lshl_b64 s[20:21], s[20:21], 3
	v_add_co_u32 v13, s4, v1, s20
	s_delay_alu instid0(VALU_DEP_1)
	v_add_co_ci_u32_e64 v14, s4, s21, v2, s4
	global_load_b64 v[13:14], v[13:14], off
	s_waitcnt vmcnt(0)
	ds_store_b64 v12, v[13:14] offset:6336
.LBB10_121:
	s_or_b32 exec_lo, exec_lo, s5
	v_add_co_u32 v0, s4, v1, v9
	s_delay_alu instid0(VALU_DEP_1) | instskip(NEXT) | instid1(VALU_DEP_2)
	v_add_co_ci_u32_e64 v1, s4, 0, v2, s4
	v_sub_co_u32 v0, s4, v0, s6
	s_delay_alu instid0(VALU_DEP_1) | instskip(NEXT) | instid1(VALU_DEP_2)
	v_subrev_co_ci_u32_e64 v1, s4, s7, v1, s4
	v_add_co_u32 v0, s4, 0x108, v0
	s_delay_alu instid0(VALU_DEP_1) | instskip(SKIP_1) | instid1(VALU_DEP_2)
	v_add_co_ci_u32_e64 v2, s4, 0, v1, s4
	v_add_nc_u32_e32 v1, 0x108, v6
	v_dual_cndmask_b32 v23, v0, v23 :: v_dual_cndmask_b32 v24, v2, v24
	v_add_nc_u32_e32 v2, 0x210, v6
.LBB10_122:
	v_lshlrev_b32_e32 v0, 3, v6
	v_lshlrev_b32_e32 v5, 3, v5
	;; [unrolled: 1-line block ×8, first 2 shown]
	s_waitcnt lgkmcnt(0)
	s_barrier
	buffer_gl0_inv
	ds_load_b64 v[29:30], v0
	ds_load_b64 v[31:32], v5 offset:9088
	ds_load_b64 v[33:34], v1
	ds_load_b64 v[35:36], v6 offset:9088
	;; [unrolled: 2-line block ×4, first 2 shown]
	ds_load_b128 v[8:11], v3 offset:256
	ds_load_b128 v[0:3], v3 offset:272
	ds_load_2addr_b64 v[12:15], v4 offset1:1
	ds_load_2addr_b64 v[4:7], v4 offset0:2 offset1:3
	s_waitcnt lgkmcnt(0)
	s_barrier
	buffer_gl0_inv
	v_mul_f32_e32 v45, v32, v30
	v_mul_f32_e32 v30, v31, v30
	;; [unrolled: 1-line block ×5, first 2 shown]
	v_fma_f32 v31, v31, v29, -v45
	v_fmac_f32_e32 v30, v32, v29
	v_fma_f32 v32, v35, v33, -v46
	v_dual_mul_f32 v29, v39, v38 :: v_dual_fmac_f32 v34, v36, v33
	s_delay_alu instid0(VALU_DEP_3) | instskip(SKIP_2) | instid1(VALU_DEP_4)
	v_dual_add_f32 v31, 0, v31 :: v_dual_add_f32 v30, 0, v30
	v_fma_f32 v35, v39, v37, -v47
	v_mul_f32_e32 v48, v44, v42
	v_fmac_f32_e32 v29, v40, v37
	s_delay_alu instid0(VALU_DEP_4) | instskip(NEXT) | instid1(VALU_DEP_3)
	v_dual_add_f32 v31, v31, v32 :: v_dual_add_f32 v30, v30, v34
	v_fma_f32 v32, v43, v41, -v48
	s_delay_alu instid0(VALU_DEP_2) | instskip(NEXT) | instid1(VALU_DEP_3)
	v_add_f32_e32 v31, v31, v35
	v_dual_mul_f32 v33, v43, v42 :: v_dual_add_f32 v30, v30, v29
	s_delay_alu instid0(VALU_DEP_1) | instskip(NEXT) | instid1(VALU_DEP_1)
	v_fmac_f32_e32 v33, v44, v41
	v_dual_add_f32 v29, v31, v32 :: v_dual_add_f32 v30, v30, v33
	ds_store_b64 v28, v[29:30]
	s_waitcnt lgkmcnt(0)
	s_barrier
	buffer_gl0_inv
	s_and_saveexec_b32 s4, s1
	s_cbranch_execz .LBB10_124
; %bb.123:
	v_lshlrev_b32_e32 v41, 3, v27
	ds_load_2addr_b64 v[29:32], v41 offset1:1
	ds_load_2addr_b64 v[33:36], v41 offset0:2 offset1:3
	s_waitcnt lgkmcnt(1)
	v_dual_add_f32 v18, v18, v30 :: v_dual_add_f32 v17, v17, v29
	ds_load_2addr_b64 v[37:40], v41 offset0:4 offset1:5
	v_dual_add_f32 v18, v18, v32 :: v_dual_add_f32 v17, v17, v31
	ds_load_2addr_b64 v[29:32], v41 offset0:6 offset1:7
	s_waitcnt lgkmcnt(2)
	v_dual_add_f32 v18, v18, v34 :: v_dual_add_f32 v17, v17, v33
	s_delay_alu instid0(VALU_DEP_1) | instskip(SKIP_1) | instid1(VALU_DEP_1)
	v_dual_add_f32 v18, v18, v36 :: v_dual_add_f32 v17, v17, v35
	s_waitcnt lgkmcnt(1)
	v_dual_add_f32 v18, v18, v38 :: v_dual_add_f32 v17, v17, v37
	s_delay_alu instid0(VALU_DEP_1) | instskip(SKIP_1) | instid1(VALU_DEP_1)
	v_dual_add_f32 v18, v18, v40 :: v_dual_add_f32 v17, v17, v39
	s_waitcnt lgkmcnt(0)
	v_dual_add_f32 v18, v18, v30 :: v_dual_add_f32 v17, v17, v29
	s_delay_alu instid0(VALU_DEP_1)
	v_dual_add_f32 v18, v18, v32 :: v_dual_add_f32 v17, v17, v31
.LBB10_124:
	s_or_b32 exec_lo, exec_lo, s4
	v_dual_mul_f32 v29, v13, v9 :: v_dual_mul_f32 v30, v15, v11
	v_mul_f32_e32 v13, v13, v8
	s_barrier
	buffer_gl0_inv
	v_dual_fmac_f32 v30, v14, v10 :: v_dual_fmac_f32 v29, v12, v8
	v_mul_f32_e32 v15, v15, v10
	v_fma_f32 v8, v12, v9, -v13
	v_mul_f32_e32 v31, v5, v1
	s_delay_alu instid0(VALU_DEP_4) | instskip(NEXT) | instid1(VALU_DEP_4)
	v_dual_mul_f32 v9, v7, v3 :: v_dual_add_f32 v10, 0, v29
	v_fma_f32 v11, v14, v11, -v15
	s_delay_alu instid0(VALU_DEP_4) | instskip(SKIP_1) | instid1(VALU_DEP_4)
	v_add_f32_e32 v8, 0, v8
	v_mul_f32_e32 v5, v5, v0
	v_dual_fmac_f32 v31, v4, v0 :: v_dual_add_f32 v0, v10, v30
	v_mul_f32_e32 v7, v7, v2
	v_fmac_f32_e32 v9, v6, v2
	s_delay_alu instid0(VALU_DEP_4) | instskip(SKIP_3) | instid1(VALU_DEP_3)
	v_fma_f32 v1, v4, v1, -v5
	v_add_f32_e32 v4, v8, v11
	v_add_f32_e32 v0, v0, v31
	v_fma_f32 v2, v6, v3, -v7
	v_add_f32_e32 v1, v4, v1
	s_delay_alu instid0(VALU_DEP_1)
	v_dual_add_f32 v0, v0, v9 :: v_dual_add_f32 v1, v1, v2
	ds_store_b64 v28, v[0:1]
	s_waitcnt lgkmcnt(0)
	s_barrier
	buffer_gl0_inv
	s_and_saveexec_b32 s1, s0
	s_cbranch_execz .LBB10_126
; %bb.125:
	v_lshlrev_b32_e32 v12, 3, v27
	ds_load_2addr_b64 v[0:3], v12 offset1:1
	ds_load_2addr_b64 v[4:7], v12 offset0:2 offset1:3
	s_waitcnt lgkmcnt(1)
	v_add_f32_e32 v1, v18, v1
	ds_load_2addr_b64 v[8:11], v12 offset0:4 offset1:5
	v_add_f32_e32 v14, v1, v3
	s_waitcnt lgkmcnt(1)
	s_delay_alu instid0(VALU_DEP_1) | instskip(NEXT) | instid1(VALU_DEP_1)
	v_dual_add_f32 v0, v17, v0 :: v_dual_add_f32 v5, v14, v5
	v_add_f32_e32 v13, v0, v2
	ds_load_2addr_b64 v[0:3], v12 offset0:6 offset1:7
	v_add_f32_e32 v5, v5, v7
	s_waitcnt lgkmcnt(1)
	s_delay_alu instid0(VALU_DEP_1) | instskip(NEXT) | instid1(VALU_DEP_1)
	v_add_f32_e32 v5, v5, v9
	v_add_f32_e32 v5, v5, v11
	s_waitcnt lgkmcnt(0)
	s_delay_alu instid0(VALU_DEP_1) | instskip(NEXT) | instid1(VALU_DEP_1)
	v_add_f32_e32 v1, v5, v1
	v_add_f32_e32 v18, v1, v3
	;; [unrolled: 1-line block ×3, first 2 shown]
	s_delay_alu instid0(VALU_DEP_1) | instskip(NEXT) | instid1(VALU_DEP_1)
	v_add_f32_e32 v4, v4, v6
	v_add_f32_e32 v4, v4, v8
	s_delay_alu instid0(VALU_DEP_1) | instskip(NEXT) | instid1(VALU_DEP_1)
	v_add_f32_e32 v4, v4, v10
	v_add_f32_e32 v0, v4, v0
	s_delay_alu instid0(VALU_DEP_1)
	v_add_f32_e32 v17, v0, v2
.LBB10_126:
	s_or_b32 exec_lo, exec_lo, s1
	s_mul_hi_u32 s0, s25, s15
	s_mul_i32 s27, s27, s15
	s_mul_i32 s1, s25, s15
	s_add_i32 s0, s0, s27
	s_mul_hi_u32 s5, s1, s26
	s_mul_i32 s4, s0, s26
	s_mul_i32 s0, s1, s26
	s_add_i32 s1, s5, s4
	s_mul_i32 s4, s14, s25
	s_lshl_b64 s[0:1], s[0:1], 3
	v_cmp_le_i32_e32 vcc_lo, s12, v25
	s_add_u32 s6, s10, s0
	s_addc_u32 s7, s11, s1
	s_ashr_i32 s5, s4, 31
	v_lshlrev_b32_e32 v72, 3, v25
	s_lshl_b64 s[0:1], s[4:5], 3
	s_delay_alu instid0(SALU_CYCLE_1)
	s_add_u32 s10, s6, s0
	s_addc_u32 s11, s7, s1
	s_and_b32 vcc_lo, s9, vcc_lo
	s_cmp_lt_i32 s14, 1
	s_barrier
	buffer_gl0_inv
	s_cbranch_scc1 .LBB10_133
; %bb.127:
	v_mul_lo_u32 v0, v71, s18
	v_sub_co_u32 v2, s0, v23, s16
	s_delay_alu instid0(VALU_DEP_1) | instskip(SKIP_1) | instid1(VALU_DEP_2)
	v_subrev_co_ci_u32_e64 v3, s0, s17, v24, s0
	s_mul_i32 s4, s8, s24
	v_sub_co_u32 v2, s0, v2, v21
	s_delay_alu instid0(VALU_DEP_4) | instskip(NEXT) | instid1(VALU_DEP_3)
	v_lshl_add_u32 v0, v0, 2, v25
	v_sub_co_ci_u32_e64 v3, s0, v3, v22, s0
	s_ashr_i32 s5, s4, 31
	s_ashr_i32 s13, s12, 31
	s_delay_alu instid0(VALU_DEP_2)
	v_ashrrev_i32_e32 v1, 31, v0
	s_lshl_b64 s[4:5], s[4:5], 3
	s_lshl_b64 s[6:7], s[12:13], 3
	v_and_b32_e32 v6, 15, v25
	v_lshrrev_b32_e32 v7, 4, v26
	v_lshlrev_b64 v[0:1], 3, v[0:1]
	v_add_nc_u32_e32 v76, 0x2380, v72
	v_lshl_add_u32 v80, v71, 5, 0x2180
	v_mad_u32_u24 v81, 0x860, v71, v72
	s_ashr_i32 s19, s18, 31
	s_lshl_b32 s8, s24, 6
	v_add_co_u32 v0, s0, v2, v0
	s_delay_alu instid0(VALU_DEP_1) | instskip(SKIP_1) | instid1(VALU_DEP_2)
	v_add_co_ci_u32_e64 v1, s0, v3, v1, s0
	s_mul_hi_i32 s9, s18, 0x68
	v_sub_co_u32 v2, s0, v0, v72
	s_delay_alu instid0(VALU_DEP_1) | instskip(SKIP_1) | instid1(VALU_DEP_1)
	v_subrev_co_ci_u32_e64 v3, s0, 0, v1, s0
	v_sub_co_u32 v73, s0, v19, s4
	v_subrev_co_ci_u32_e64 v74, s0, s5, v20, s0
	s_delay_alu instid0(VALU_DEP_4) | instskip(NEXT) | instid1(VALU_DEP_1)
	v_add_co_u32 v2, s0, v2, s6
	v_add_co_ci_u32_e64 v3, s0, s7, v3, s0
	v_add_co_u32 v0, s0, 0xffffff00, v0
	s_delay_alu instid0(VALU_DEP_1) | instskip(SKIP_2) | instid1(VALU_DEP_1)
	v_add_co_ci_u32_e64 v4, s0, -1, v1, s0
	v_mov_b32_e32 v1, 0
	v_add_co_u32 v2, s0, 0xfffffef8, v2
	v_add_co_ci_u32_e64 v3, s0, -1, v3, s0
	v_and_b32_e32 v8, 48, v25
	v_add_nc_u32_e32 v75, 0x2180, v72
	v_cmp_gt_u32_e64 s0, 64, v26
	s_delay_alu instid0(VALU_DEP_4)
	v_cndmask_b32_e32 v5, v4, v3, vcc_lo
	v_cndmask_b32_e32 v4, v0, v2, vcc_lo
	v_lshlrev_b32_e32 v0, 3, v8
	v_or_b32_e32 v2, 0x78, v72
	v_lshlrev_b32_e32 v3, 5, v7
	s_lshl_b64 s[4:5], s[18:19], 3
	s_mul_i32 s12, s18, 0x68
	v_mad_u32_u24 v77, 0x218, v6, v0
	v_lshlrev_b32_e32 v0, 3, v7
	v_mad_u32_u24 v78, 0x218, v6, v2
	v_mad_u32_u24 v79, 0x218, v6, v3
	s_mov_b32 s6, 0
	s_delay_alu instid0(VALU_DEP_3)
	v_mad_u32_u24 v82, 0x218, v6, v0
	v_or_b32_e32 v0, v8, v6
	s_branch .LBB10_129
.LBB10_128:                             ;   in Loop: Header=BB10_129 Depth=1
	s_or_b32 exec_lo, exec_lo, s7
	v_mul_f32_e32 v83, v3, v11
	v_dual_mul_f32 v11, v2, v11 :: v_dual_mul_f32 v84, v7, v26
	v_mul_f32_e32 v26, v6, v26
	v_add_nc_u32_e32 v0, 64, v0
	s_delay_alu instid0(VALU_DEP_4)
	v_fma_f32 v2, v2, v10, -v83
	v_mul_f32_e32 v83, v5, v24
	v_fma_f32 v6, v6, v25, -v84
	v_fmac_f32_e32 v26, v7, v25
	s_add_i32 s14, s14, -1
	v_dual_add_f32 v2, v17, v2 :: v_dual_mul_f32 v17, v22, v40
	v_mul_f32_e32 v85, v9, v28
	v_dual_mul_f32 v28, v8, v28 :: v_dual_fmac_f32 v11, v3, v10
	v_mul_f32_e32 v24, v4, v24
	s_delay_alu instid0(VALU_DEP_4) | instskip(NEXT) | instid1(VALU_DEP_4)
	v_add_f32_e32 v2, v2, v6
	v_fma_f32 v3, v8, v27, -v85
	s_delay_alu instid0(VALU_DEP_4) | instskip(SKIP_2) | instid1(VALU_DEP_4)
	v_fmac_f32_e32 v28, v9, v27
	v_dual_add_f32 v7, v18, v11 :: v_dual_mul_f32 v40, v21, v40
	v_fma_f32 v4, v4, v23, -v83
	v_dual_add_f32 v2, v2, v3 :: v_dual_mul_f32 v3, v19, v44
	s_delay_alu instid0(VALU_DEP_3) | instskip(SKIP_2) | instid1(VALU_DEP_4)
	v_dual_add_f32 v7, v7, v26 :: v_dual_fmac_f32 v24, v5, v23
	v_mul_f32_e32 v6, v20, v44
	v_fma_f32 v8, v21, v39, -v17
	v_dual_add_f32 v2, v2, v4 :: v_dual_fmac_f32 v3, v20, v43
	s_delay_alu instid0(VALU_DEP_4) | instskip(SKIP_3) | instid1(VALU_DEP_4)
	v_add_f32_e32 v5, v7, v28
	v_mul_f32_e32 v4, v15, v42
	v_dual_fmac_f32 v40, v22, v39 :: v_dual_mul_f32 v7, v13, v38
	v_fma_f32 v6, v19, v43, -v6
	v_add_f32_e32 v5, v5, v24
	s_delay_alu instid0(VALU_DEP_4)
	v_fma_f32 v4, v14, v41, -v4
	s_add_i32 s6, s6, s8
	v_fma_f32 v7, v12, v37, -v7
	s_cmp_eq_u32 s14, 0
	v_add_f32_e32 v5, v5, v40
	v_add_f32_e32 v2, v2, v8
	s_waitcnt_vscnt null, 0x0
	s_barrier
	buffer_gl0_inv
	v_add_f32_e32 v3, v5, v3
	v_mul_f32_e32 v5, v12, v38
	v_add_f32_e32 v2, v2, v6
	v_mul_f32_e32 v6, v14, v42
	s_delay_alu instid0(VALU_DEP_3) | instskip(NEXT) | instid1(VALU_DEP_3)
	v_dual_mul_f32 v8, v47, v66 :: v_dual_fmac_f32 v5, v13, v37
	v_add_f32_e32 v2, v2, v4
	v_mul_f32_e32 v4, v36, v56
	s_delay_alu instid0(VALU_DEP_2) | instskip(SKIP_1) | instid1(VALU_DEP_3)
	v_add_f32_e32 v2, v2, v7
	v_mul_f32_e32 v7, v34, v62
	v_fma_f32 v4, v35, v55, -v4
	s_delay_alu instid0(VALU_DEP_1) | instskip(NEXT) | instid1(VALU_DEP_3)
	v_add_f32_e32 v2, v2, v4
	v_fma_f32 v4, v33, v61, -v7
	v_dual_mul_f32 v7, v32, v60 :: v_dual_fmac_f32 v6, v15, v41
	s_delay_alu instid0(VALU_DEP_2) | instskip(NEXT) | instid1(VALU_DEP_2)
	v_add_f32_e32 v2, v2, v4
	v_fma_f32 v4, v31, v59, -v7
	s_delay_alu instid0(VALU_DEP_3) | instskip(SKIP_1) | instid1(VALU_DEP_2)
	v_add_f32_e32 v3, v3, v6
	v_dual_mul_f32 v6, v35, v56 :: v_dual_mul_f32 v7, v30, v58
	v_add_f32_e32 v3, v3, v5
	s_delay_alu instid0(VALU_DEP_2) | instskip(NEXT) | instid1(VALU_DEP_1)
	v_dual_mul_f32 v5, v33, v62 :: v_dual_fmac_f32 v6, v36, v55
	v_fmac_f32_e32 v5, v34, v61
	s_delay_alu instid0(VALU_DEP_2) | instskip(SKIP_1) | instid1(VALU_DEP_2)
	v_add_f32_e32 v3, v3, v6
	v_mul_f32_e32 v6, v31, v60
	v_dual_add_f32 v3, v3, v5 :: v_dual_add_f32 v2, v2, v4
	v_fma_f32 v4, v29, v57, -v7
	v_mul_f32_e32 v5, v54, v64
	s_delay_alu instid0(VALU_DEP_4) | instskip(NEXT) | instid1(VALU_DEP_1)
	v_dual_mul_f32 v7, v29, v58 :: v_dual_fmac_f32 v6, v32, v59
	v_fmac_f32_e32 v7, v30, v57
	s_delay_alu instid0(VALU_DEP_2) | instskip(SKIP_3) | instid1(VALU_DEP_4)
	v_dual_add_f32 v3, v3, v6 :: v_dual_mul_f32 v6, v53, v64
	v_add_f32_e32 v2, v2, v4
	v_fma_f32 v4, v53, v63, -v5
	v_mul_f32_e32 v5, v52, v70
	v_add_f32_e32 v3, v3, v7
	v_fmac_f32_e32 v6, v54, v63
	v_mul_f32_e32 v7, v50, v68
	v_add_f32_e32 v2, v2, v4
	v_fma_f32 v4, v51, v69, -v5
	v_mul_f32_e32 v5, v51, v70
	v_add_f32_e32 v3, v3, v6
	v_fma_f32 v6, v49, v67, -v7
	s_delay_alu instid0(VALU_DEP_3) | instskip(SKIP_1) | instid1(VALU_DEP_2)
	v_dual_add_f32 v2, v2, v4 :: v_dual_fmac_f32 v5, v52, v69
	v_dual_mul_f32 v4, v49, v68 :: v_dual_mul_f32 v7, v48, v66
	v_dual_add_f32 v2, v2, v6 :: v_dual_add_f32 v3, v3, v5
	s_delay_alu instid0(VALU_DEP_2) | instskip(NEXT) | instid1(VALU_DEP_3)
	v_fmac_f32_e32 v4, v50, v67
	v_fma_f32 v5, v47, v65, -v7
	s_delay_alu instid0(VALU_DEP_2) | instskip(SKIP_1) | instid1(VALU_DEP_3)
	v_dual_fmac_f32 v8, v48, v65 :: v_dual_add_f32 v3, v3, v4
	v_add_co_u32 v4, s1, v45, s12
	v_add_f32_e32 v17, v2, v5
	v_add_co_ci_u32_e64 v5, s1, s9, v46, s1
	s_delay_alu instid0(VALU_DEP_4)
	v_add_f32_e32 v18, v3, v8
	s_cbranch_scc1 .LBB10_133
.LBB10_129:                             ; =>This Inner Loop Header: Depth=1
	s_and_saveexec_b32 s13, s3
	s_cbranch_execz .LBB10_131
; %bb.130:                              ;   in Loop: Header=BB10_129 Depth=1
	s_ashr_i32 s7, s6, 31
	s_delay_alu instid0(SALU_CYCLE_1) | instskip(NEXT) | instid1(SALU_CYCLE_1)
	s_lshl_b64 s[16:17], s[6:7], 3
	v_add_co_u32 v2, s1, v73, s16
	s_delay_alu instid0(VALU_DEP_1)
	v_add_co_ci_u32_e64 v3, s1, s17, v74, s1
	global_load_b64 v[2:3], v[2:3], off
	s_waitcnt vmcnt(0)
	ds_store_b64 v75, v[2:3]
.LBB10_131:                             ;   in Loop: Header=BB10_129 Depth=1
	s_or_b32 exec_lo, exec_lo, s13
	s_waitcnt lgkmcnt(0)
	s_barrier
	buffer_gl0_inv
	global_load_b64 v[2:3], v[4:5], off
	v_add_co_u32 v4, s1, v4, s4
	s_delay_alu instid0(VALU_DEP_1) | instskip(SKIP_2) | instid1(VALU_DEP_1)
	v_add_co_ci_u32_e64 v5, s1, s5, v5, s1
	global_load_b64 v[6:7], v[4:5], off
	v_add_co_u32 v4, s1, v4, s4
	v_add_co_ci_u32_e64 v5, s1, s5, v5, s1
	s_delay_alu instid0(VALU_DEP_2) | instskip(NEXT) | instid1(VALU_DEP_1)
	v_add_co_u32 v12, s1, v4, s4
	v_add_co_ci_u32_e64 v13, s1, s5, v5, s1
	s_clause 0x1
	global_load_b64 v[8:9], v[4:5], off
	global_load_b64 v[4:5], v[12:13], off
	ds_load_b64 v[14:15], v76
	ds_load_b64 v[10:11], v80
	v_add_co_u32 v12, s1, v12, s12
	s_delay_alu instid0(VALU_DEP_1) | instskip(NEXT) | instid1(VALU_DEP_2)
	v_add_co_ci_u32_e64 v13, s1, s9, v13, s1
	v_add_co_u32 v29, s1, v12, s4
	s_delay_alu instid0(VALU_DEP_1) | instskip(NEXT) | instid1(VALU_DEP_2)
	v_add_co_ci_u32_e64 v30, s1, s5, v13, s1
	v_add_co_u32 v31, s1, v29, s4
	s_delay_alu instid0(VALU_DEP_1) | instskip(SKIP_3) | instid1(VALU_DEP_2)
	v_add_co_ci_u32_e64 v32, s1, s5, v30, s1
	s_waitcnt vmcnt(3) lgkmcnt(1)
	v_mul_f32_e32 v19, v3, v15
	v_mul_f32_e32 v20, v3, v14
	v_fmac_f32_e32 v19, v2, v14
	s_delay_alu instid0(VALU_DEP_2)
	v_fma_f32 v20, v2, v15, -v20
	s_waitcnt vmcnt(2)
	v_mul_f32_e32 v21, v7, v15
	v_mul_f32_e32 v22, v7, v14
	ds_store_b64 v81, v[19:20]
	ds_load_b64 v[25:26], v80 offset:8
	v_fmac_f32_e32 v21, v6, v14
	s_waitcnt vmcnt(1)
	v_mul_f32_e32 v19, v9, v15
	v_mul_f32_e32 v20, v9, v14
	s_waitcnt vmcnt(0)
	v_mul_f32_e32 v33, v5, v15
	v_mul_f32_e32 v23, v5, v14
	v_fma_f32 v22, v6, v15, -v22
	v_fmac_f32_e32 v19, v8, v14
	v_fma_f32 v20, v8, v15, -v20
	v_fmac_f32_e32 v33, v4, v14
	v_fma_f32 v34, v4, v15, -v23
	ds_store_b64 v81, v[21:22] offset:536
	ds_load_b64 v[27:28], v80 offset:16
	ds_store_b64 v81, v[19:20] offset:1072
	ds_load_b64 v[23:24], v80 offset:24
	ds_store_b64 v81, v[33:34] offset:1608
	v_add_co_u32 v33, s1, v31, s4
	s_waitcnt lgkmcnt(0)
	s_barrier
	buffer_gl0_inv
	ds_load_2addr_b64 v[83:86], v79 offset1:1
	ds_load_2addr_b64 v[87:90], v79 offset0:2 offset1:3
	s_waitcnt lgkmcnt(0)
	s_barrier
	buffer_gl0_inv
	global_load_b64 v[21:22], v[12:13], off
	v_add_co_ci_u32_e64 v34, s1, s5, v32, s1
	s_clause 0x1
	global_load_b64 v[19:20], v[29:30], off
	global_load_b64 v[14:15], v[31:32], off
	global_load_b64 v[12:13], v[33:34], off
	ds_load_b64 v[29:30], v76
	ds_load_b64 v[39:40], v80 offset:128
	v_add_co_u32 v31, s1, v33, s12
	s_delay_alu instid0(VALU_DEP_1) | instskip(NEXT) | instid1(VALU_DEP_2)
	v_add_co_ci_u32_e64 v32, s1, s9, v34, s1
	v_add_co_u32 v33, s1, v31, s4
	s_delay_alu instid0(VALU_DEP_1) | instskip(SKIP_1) | instid1(VALU_DEP_3)
	v_add_co_ci_u32_e64 v34, s1, s5, v32, s1
	v_add_f32_e32 v112, 0, v84
	v_add_co_u32 v45, s1, v33, s4
	s_delay_alu instid0(VALU_DEP_1)
	v_add_co_ci_u32_e64 v46, s1, s5, v34, s1
	v_add_f32_e32 v111, 0, v83
	s_waitcnt vmcnt(3) lgkmcnt(1)
	v_mul_f32_e32 v35, v22, v30
	s_waitcnt vmcnt(2)
	v_dual_mul_f32 v36, v22, v29 :: v_dual_mul_f32 v37, v20, v30
	s_waitcnt vmcnt(1)
	v_dual_mul_f32 v38, v20, v29 :: v_dual_mul_f32 v47, v15, v30
	v_mul_f32_e32 v41, v15, v29
	s_waitcnt vmcnt(0)
	v_mul_f32_e32 v49, v13, v30
	v_mul_f32_e32 v42, v13, v29
	v_fmac_f32_e32 v35, v21, v29
	v_fma_f32 v36, v21, v30, -v36
	v_fmac_f32_e32 v37, v19, v29
	v_fma_f32 v38, v19, v30, -v38
	;; [unrolled: 2-line block ×4, first 2 shown]
	ds_store_b64 v81, v[35:36]
	ds_load_b64 v[43:44], v80 offset:136
	ds_store_b64 v81, v[37:38] offset:536
	ds_load_b64 v[41:42], v80 offset:144
	ds_store_b64 v81, v[47:48] offset:1072
	v_add_co_u32 v47, s1, v45, s4
	ds_load_b64 v[37:38], v80 offset:152
	ds_store_b64 v81, v[49:50] offset:1608
	s_waitcnt lgkmcnt(0)
	s_barrier
	buffer_gl0_inv
	ds_load_2addr_b64 v[91:94], v79 offset1:1
	ds_load_2addr_b64 v[95:98], v79 offset0:2 offset1:3
	s_waitcnt lgkmcnt(0)
	s_barrier
	buffer_gl0_inv
	global_load_b64 v[35:36], v[31:32], off
	v_add_co_ci_u32_e64 v48, s1, s5, v46, s1
	global_load_b64 v[33:34], v[33:34], off
	global_load_b64 v[31:32], v[45:46], off
	;; [unrolled: 1-line block ×3, first 2 shown]
	ds_load_b64 v[45:46], v76
	ds_load_b64 v[55:56], v80 offset:256
	v_add_co_u32 v47, s1, v47, s12
	s_delay_alu instid0(VALU_DEP_1) | instskip(NEXT) | instid1(VALU_DEP_2)
	v_add_co_ci_u32_e64 v48, s1, s9, v48, s1
	v_add_co_u32 v49, s1, v47, s4
	s_delay_alu instid0(VALU_DEP_1) | instskip(SKIP_1) | instid1(VALU_DEP_3)
	v_add_co_ci_u32_e64 v50, s1, s5, v48, s1
	v_add_f32_e32 v91, 0, v91
	v_add_co_u32 v63, s1, v49, s4
	s_delay_alu instid0(VALU_DEP_1) | instskip(NEXT) | instid1(VALU_DEP_3)
	v_add_co_ci_u32_e64 v64, s1, s5, v50, s1
	v_dual_add_f32 v92, 0, v92 :: v_dual_add_f32 v91, v91, v93
	s_waitcnt vmcnt(3) lgkmcnt(1)
	v_mul_f32_e32 v51, v36, v46
	s_waitcnt vmcnt(2)
	v_dual_mul_f32 v52, v36, v45 :: v_dual_mul_f32 v53, v34, v46
	s_waitcnt vmcnt(1)
	v_dual_mul_f32 v54, v34, v45 :: v_dual_mul_f32 v57, v32, v46
	;; [unrolled: 2-line block ×3, first 2 shown]
	v_mul_f32_e32 v59, v30, v45
	v_fmac_f32_e32 v51, v35, v45
	v_fma_f32 v52, v35, v46, -v52
	v_fmac_f32_e32 v53, v33, v45
	v_fma_f32 v54, v33, v46, -v54
	v_fmac_f32_e32 v57, v31, v45
	v_fma_f32 v58, v31, v46, -v58
	v_fmac_f32_e32 v65, v29, v45
	v_fma_f32 v66, v29, v46, -v59
	ds_store_b64 v81, v[51:52]
	ds_load_b64 v[61:62], v80 offset:264
	ds_store_b64 v81, v[53:54] offset:536
	v_add_co_u32 v45, s1, v63, s4
	ds_load_b64 v[59:60], v80 offset:272
	ds_store_b64 v81, v[57:58] offset:1072
	ds_load_b64 v[57:58], v80 offset:280
	ds_store_b64 v81, v[65:66] offset:1608
	s_waitcnt lgkmcnt(0)
	s_barrier
	buffer_gl0_inv
	ds_load_2addr_b64 v[99:102], v79 offset1:1
	ds_load_2addr_b64 v[103:106], v79 offset0:2 offset1:3
	s_waitcnt lgkmcnt(0)
	s_barrier
	buffer_gl0_inv
	global_load_b64 v[53:54], v[47:48], off
	v_add_co_ci_u32_e64 v46, s1, s5, v64, s1
	global_load_b64 v[51:52], v[49:50], off
	global_load_b64 v[49:50], v[63:64], off
	;; [unrolled: 1-line block ×3, first 2 shown]
	ds_load_b64 v[65:66], v76
	ds_load_b64 v[63:64], v80 offset:384
	s_waitcnt vmcnt(3) lgkmcnt(1)
	v_mul_f32_e32 v67, v54, v66
	s_waitcnt vmcnt(2)
	v_dual_mul_f32 v68, v54, v65 :: v_dual_mul_f32 v83, v52, v66
	v_mul_f32_e32 v69, v52, v65
	s_waitcnt vmcnt(1)
	v_mul_f32_e32 v107, v50, v66
	s_waitcnt vmcnt(0)
	v_dual_mul_f32 v70, v50, v65 :: v_dual_mul_f32 v109, v48, v66
	v_mul_f32_e32 v110, v48, v65
	v_fma_f32 v68, v53, v66, -v68
	v_fmac_f32_e32 v67, v53, v65
	v_fmac_f32_e32 v83, v51, v65
	v_fma_f32 v84, v51, v66, -v69
	v_fmac_f32_e32 v107, v49, v65
	v_fma_f32 v108, v49, v66, -v70
	;; [unrolled: 2-line block ×3, first 2 shown]
	ds_store_b64 v81, v[67:68]
	ds_load_b64 v[69:70], v80 offset:392
	ds_store_b64 v81, v[83:84] offset:536
	ds_load_b64 v[67:68], v80 offset:400
	ds_store_b64 v81, v[107:108] offset:1072
	;; [unrolled: 2-line block ×3, first 2 shown]
	s_waitcnt lgkmcnt(0)
	s_barrier
	buffer_gl0_inv
	ds_load_2addr_b64 v[107:110], v79 offset1:1
	v_dual_add_f32 v83, v111, v85 :: v_dual_add_f32 v84, v112, v86
	s_delay_alu instid0(VALU_DEP_1)
	v_dual_add_f32 v87, v83, v87 :: v_dual_add_f32 v88, v84, v88
	ds_load_2addr_b64 v[83:86], v79 offset0:2 offset1:3
	s_waitcnt lgkmcnt(0)
	s_barrier
	v_dual_add_f32 v87, v87, v89 :: v_dual_add_f32 v88, v88, v90
	v_dual_add_f32 v89, v92, v94 :: v_dual_add_f32 v90, v91, v95
	;; [unrolled: 1-line block ×3, first 2 shown]
	buffer_gl0_inv
	v_add_f32_e32 v95, v89, v96
	v_add_f32_e32 v89, v90, v97
	v_dual_add_f32 v93, 0, v107 :: v_dual_add_f32 v94, 0, v108
	v_dual_add_f32 v91, v91, v101 :: v_dual_add_f32 v92, v92, v102
	s_delay_alu instid0(VALU_DEP_2) | instskip(NEXT) | instid1(VALU_DEP_2)
	v_dual_add_f32 v90, v95, v98 :: v_dual_add_f32 v93, v93, v109
	v_dual_add_f32 v94, v94, v110 :: v_dual_add_f32 v91, v91, v103
	s_delay_alu instid0(VALU_DEP_2) | instskip(NEXT) | instid1(VALU_DEP_2)
	;; [unrolled: 3-line block ×3, first 2 shown]
	v_dual_add_f32 v84, v92, v106 :: v_dual_add_f32 v85, v93, v85
	v_add_f32_e32 v86, v94, v86
	ds_store_2addr_b64 v82, v[87:88], v[89:90] offset1:16
	ds_store_2addr_b64 v82, v[83:84], v[85:86] offset0:32 offset1:48
	s_waitcnt lgkmcnt(0)
	s_barrier
	buffer_gl0_inv
	s_and_saveexec_b32 s7, s0
	s_cbranch_execz .LBB10_128
; %bb.132:                              ;   in Loop: Header=BB10_129 Depth=1
	ds_load_b64 v[94:95], v77
	ds_load_2addr_b64 v[83:86], v77 offset0:1 offset1:2
	ds_load_2addr_b64 v[87:90], v77 offset0:3 offset1:4
	s_waitcnt lgkmcnt(1)
	v_dual_add_f32 v83, v83, v94 :: v_dual_add_f32 v84, v84, v95
	ds_load_2addr_b64 v[91:94], v77 offset0:5 offset1:6
	v_add_f32_e32 v83, v83, v85
	v_add_f32_e32 v95, v84, v86
	s_waitcnt lgkmcnt(1)
	s_delay_alu instid0(VALU_DEP_2) | instskip(SKIP_3) | instid1(VALU_DEP_2)
	v_add_f32_e32 v87, v83, v87
	ds_load_2addr_b64 v[83:86], v77 offset0:7 offset1:8
	v_add_f32_e32 v88, v95, v88
	v_add_f32_e32 v87, v87, v89
	;; [unrolled: 1-line block ×3, first 2 shown]
	s_waitcnt lgkmcnt(1)
	s_delay_alu instid0(VALU_DEP_2) | instskip(SKIP_3) | instid1(VALU_DEP_2)
	v_add_f32_e32 v91, v87, v91
	ds_load_2addr_b64 v[87:90], v77 offset0:9 offset1:10
	v_add_f32_e32 v92, v95, v92
	v_add_f32_e32 v91, v91, v93
	;; [unrolled: 1-line block ×3, first 2 shown]
	s_waitcnt lgkmcnt(1)
	s_delay_alu instid0(VALU_DEP_2) | instskip(SKIP_4) | instid1(VALU_DEP_1)
	v_add_f32_e32 v83, v91, v83
	ds_load_2addr_b64 v[91:94], v77 offset0:11 offset1:12
	v_add_f32_e32 v84, v95, v84
	v_add_f32_e32 v95, v83, v85
	s_waitcnt lgkmcnt(1)
	v_add_f32_e32 v87, v95, v87
	s_delay_alu instid0(VALU_DEP_1) | instskip(SKIP_1) | instid1(VALU_DEP_1)
	v_add_f32_e32 v89, v87, v89
	s_waitcnt lgkmcnt(0)
	v_add_f32_e32 v89, v89, v91
	s_delay_alu instid0(VALU_DEP_1) | instskip(SKIP_2) | instid1(VALU_DEP_1)
	v_dual_add_f32 v89, v89, v93 :: v_dual_add_f32 v96, v84, v86
	ds_load_2addr_b64 v[83:86], v77 offset0:13 offset1:14
	v_add_f32_e32 v88, v96, v88
	v_add_f32_e32 v90, v88, v90
	ds_load_b64 v[87:88], v78
	v_add_f32_e32 v90, v90, v92
	s_waitcnt lgkmcnt(1)
	s_delay_alu instid0(VALU_DEP_1) | instskip(NEXT) | instid1(VALU_DEP_1)
	v_dual_add_f32 v90, v90, v94 :: v_dual_add_f32 v83, v89, v83
	v_dual_add_f32 v84, v90, v84 :: v_dual_add_f32 v85, v83, v85
	s_delay_alu instid0(VALU_DEP_1) | instskip(SKIP_2) | instid1(VALU_DEP_2)
	v_add_f32_e32 v86, v84, v86
	v_lshlrev_b64 v[83:84], 3, v[0:1]
	s_waitcnt lgkmcnt(0)
	v_dual_add_f32 v85, v85, v87 :: v_dual_add_f32 v86, v86, v88
	s_delay_alu instid0(VALU_DEP_2) | instskip(NEXT) | instid1(VALU_DEP_1)
	v_add_co_u32 v83, s1, s10, v83
	v_add_co_ci_u32_e64 v84, s1, s11, v84, s1
	global_store_b64 v[83:84], v[85:86], off
	s_branch .LBB10_128
.LBB10_133:
	v_mad_u32_u24 v0, 0x218, v71, v72
	s_or_b32 s0, s2, vcc_lo
	s_delay_alu instid0(SALU_CYCLE_1)
	s_xor_b32 s0, s0, -1
	ds_store_b64 v0, v[17:18]
	s_waitcnt lgkmcnt(0)
	s_barrier
	buffer_gl0_inv
	s_and_saveexec_b32 s1, s0
	s_cbranch_execz .LBB10_135
; %bb.134:
	ds_load_2addr_b64 v[0:3], v72 offset1:67
	ds_load_2addr_b64 v[4:7], v72 offset0:134 offset1:201
	v_ashrrev_i32_e32 v17, 31, v16
	s_waitcnt lgkmcnt(1)
	v_dual_add_f32 v0, v2, v0 :: v_dual_add_f32 v1, v3, v1
	s_waitcnt lgkmcnt(0)
	s_delay_alu instid0(VALU_DEP_1) | instskip(SKIP_1) | instid1(VALU_DEP_2)
	v_dual_add_f32 v2, v0, v4 :: v_dual_add_f32 v3, v1, v5
	v_lshlrev_b64 v[0:1], 3, v[16:17]
	v_dual_add_f32 v2, v2, v6 :: v_dual_add_f32 v3, v3, v7
	s_delay_alu instid0(VALU_DEP_2) | instskip(NEXT) | instid1(VALU_DEP_3)
	v_add_co_u32 v0, vcc_lo, s10, v0
	v_add_co_ci_u32_e32 v1, vcc_lo, s11, v1, vcc_lo
	global_store_b64 v[0:1], v[2:3], off
.LBB10_135:
	s_nop 0
	s_sendmsg sendmsg(MSG_DEALLOC_VGPRS)
	s_endpgm
	.section	.rodata,"a",@progbits
	.p2align	6, 0x0
	.amdhsa_kernel _ZL26rocblas_hemvn_kernel_lowerILb1ELi64ELi4ELi33ELi32ELi16EiPK19rocblas_complex_numIfES3_PS1_EviT6_lT7_lT5_lS6_lS7_lS5_lT8_i
		.amdhsa_group_segment_fixed_size 9600
		.amdhsa_private_segment_fixed_size 0
		.amdhsa_kernarg_size 376
		.amdhsa_user_sgpr_count 14
		.amdhsa_user_sgpr_dispatch_ptr 0
		.amdhsa_user_sgpr_queue_ptr 0
		.amdhsa_user_sgpr_kernarg_segment_ptr 1
		.amdhsa_user_sgpr_dispatch_id 0
		.amdhsa_user_sgpr_private_segment_size 0
		.amdhsa_wavefront_size32 1
		.amdhsa_uses_dynamic_stack 0
		.amdhsa_enable_private_segment 0
		.amdhsa_system_sgpr_workgroup_id_x 1
		.amdhsa_system_sgpr_workgroup_id_y 0
		.amdhsa_system_sgpr_workgroup_id_z 1
		.amdhsa_system_sgpr_workgroup_info 0
		.amdhsa_system_vgpr_workitem_id 1
		.amdhsa_next_free_vgpr 113
		.amdhsa_next_free_sgpr 30
		.amdhsa_reserve_vcc 1
		.amdhsa_float_round_mode_32 0
		.amdhsa_float_round_mode_16_64 0
		.amdhsa_float_denorm_mode_32 3
		.amdhsa_float_denorm_mode_16_64 3
		.amdhsa_dx10_clamp 1
		.amdhsa_ieee_mode 1
		.amdhsa_fp16_overflow 0
		.amdhsa_workgroup_processor_mode 1
		.amdhsa_memory_ordered 1
		.amdhsa_forward_progress 0
		.amdhsa_shared_vgpr_count 0
		.amdhsa_exception_fp_ieee_invalid_op 0
		.amdhsa_exception_fp_denorm_src 0
		.amdhsa_exception_fp_ieee_div_zero 0
		.amdhsa_exception_fp_ieee_overflow 0
		.amdhsa_exception_fp_ieee_underflow 0
		.amdhsa_exception_fp_ieee_inexact 0
		.amdhsa_exception_int_div_zero 0
	.end_amdhsa_kernel
	.section	.text._ZL26rocblas_hemvn_kernel_lowerILb1ELi64ELi4ELi33ELi32ELi16EiPK19rocblas_complex_numIfES3_PS1_EviT6_lT7_lT5_lS6_lS7_lS5_lT8_i,"axG",@progbits,_ZL26rocblas_hemvn_kernel_lowerILb1ELi64ELi4ELi33ELi32ELi16EiPK19rocblas_complex_numIfES3_PS1_EviT6_lT7_lT5_lS6_lS7_lS5_lT8_i,comdat
.Lfunc_end10:
	.size	_ZL26rocblas_hemvn_kernel_lowerILb1ELi64ELi4ELi33ELi32ELi16EiPK19rocblas_complex_numIfES3_PS1_EviT6_lT7_lT5_lS6_lS7_lS5_lT8_i, .Lfunc_end10-_ZL26rocblas_hemvn_kernel_lowerILb1ELi64ELi4ELi33ELi32ELi16EiPK19rocblas_complex_numIfES3_PS1_EviT6_lT7_lT5_lS6_lS7_lS5_lT8_i
                                        ; -- End function
	.section	.AMDGPU.csdata,"",@progbits
; Kernel info:
; codeLenInByte = 9024
; NumSgprs: 32
; NumVgprs: 113
; ScratchSize: 0
; MemoryBound: 1
; FloatMode: 240
; IeeeMode: 1
; LDSByteSize: 9600 bytes/workgroup (compile time only)
; SGPRBlocks: 3
; VGPRBlocks: 14
; NumSGPRsForWavesPerEU: 32
; NumVGPRsForWavesPerEU: 113
; Occupancy: 12
; WaveLimiterHint : 1
; COMPUTE_PGM_RSRC2:SCRATCH_EN: 0
; COMPUTE_PGM_RSRC2:USER_SGPR: 14
; COMPUTE_PGM_RSRC2:TRAP_HANDLER: 0
; COMPUTE_PGM_RSRC2:TGID_X_EN: 1
; COMPUTE_PGM_RSRC2:TGID_Y_EN: 0
; COMPUTE_PGM_RSRC2:TGID_Z_EN: 1
; COMPUTE_PGM_RSRC2:TIDIG_COMP_CNT: 1
	.section	.text._ZL36rocblas_hemvn_kernel_lower_block_sumILi64EiPK19rocblas_complex_numIfEPS1_S1_EviT1_lS5_lT2_lT0_lPT3_i,"axG",@progbits,_ZL36rocblas_hemvn_kernel_lower_block_sumILi64EiPK19rocblas_complex_numIfEPS1_S1_EviT1_lS5_lT2_lT0_lPT3_i,comdat
	.globl	_ZL36rocblas_hemvn_kernel_lower_block_sumILi64EiPK19rocblas_complex_numIfEPS1_S1_EviT1_lS5_lT2_lT0_lPT3_i ; -- Begin function _ZL36rocblas_hemvn_kernel_lower_block_sumILi64EiPK19rocblas_complex_numIfEPS1_S1_EviT1_lS5_lT2_lT0_lPT3_i
	.p2align	8
	.type	_ZL36rocblas_hemvn_kernel_lower_block_sumILi64EiPK19rocblas_complex_numIfEPS1_S1_EviT1_lS5_lT2_lT0_lPT3_i,@function
_ZL36rocblas_hemvn_kernel_lower_block_sumILi64EiPK19rocblas_complex_numIfEPS1_S1_EviT1_lS5_lT2_lT0_lPT3_i: ; @_ZL36rocblas_hemvn_kernel_lower_block_sumILi64EiPK19rocblas_complex_numIfEPS1_S1_EviT1_lS5_lT2_lT0_lPT3_i
; %bb.0:
	s_load_b256 s[4:11], s[0:1], 0x8
	s_waitcnt lgkmcnt(0)
	s_mul_i32 s3, s15, s7
	s_mul_hi_u32 s7, s15, s6
	s_mul_i32 s2, s15, s6
	s_add_i32 s3, s7, s3
	s_delay_alu instid0(SALU_CYCLE_1) | instskip(NEXT) | instid1(SALU_CYCLE_1)
	s_lshl_b64 s[2:3], s[2:3], 3
	s_add_u32 s2, s4, s2
	s_addc_u32 s3, s5, s3
	s_mul_i32 s4, s15, s11
	s_load_b64 s[6:7], s[2:3], 0x0
	s_mul_hi_u32 s3, s15, s10
	s_mul_i32 s2, s15, s10
	s_add_i32 s3, s3, s4
	s_delay_alu instid0(SALU_CYCLE_1) | instskip(NEXT) | instid1(SALU_CYCLE_1)
	s_lshl_b64 s[2:3], s[2:3], 3
	s_add_u32 s2, s8, s2
	s_addc_u32 s3, s9, s3
	s_load_b64 s[4:5], s[2:3], 0x0
	s_waitcnt lgkmcnt(0)
	s_or_b32 s2, s6, s7
	s_delay_alu instid0(SALU_CYCLE_1) | instskip(NEXT) | instid1(SALU_CYCLE_1)
	s_bitset0_b32 s2, 31
	s_cmp_eq_u32 s2, 0
	s_cselect_b32 s9, -1, 0
	s_cmp_lg_u32 s2, 0
	s_mov_b32 s2, -1
	s_cbranch_scc1 .LBB11_2
; %bb.1:
	v_cmp_neq_f32_e64 s2, s4, 1.0
	v_cmp_neq_f32_e64 s3, s5, 0
	s_delay_alu instid0(VALU_DEP_1)
	s_or_b32 s2, s2, s3
.LBB11_2:
	s_delay_alu instid0(SALU_CYCLE_1)
	s_and_not1_b32 vcc_lo, exec_lo, s2
	s_cbranch_vccnz .LBB11_19
; %bb.3:
	s_clause 0x3
	s_load_b64 s[2:3], s[0:1], 0x40
	s_load_b128 s[16:19], s[0:1], 0x28
	s_load_b32 s11, s[0:1], 0x38
	s_load_b32 s8, s[0:1], 0x0
	v_lshl_or_b32 v0, s14, 6, v0
	s_waitcnt lgkmcnt(0)
	s_mul_i32 s3, s15, s3
	s_mul_hi_u32 s10, s15, s2
	s_mul_i32 s2, s15, s2
	s_add_i32 s3, s10, s3
	s_delay_alu instid0(SALU_CYCLE_1) | instskip(NEXT) | instid1(SALU_CYCLE_1)
	s_lshl_b64 s[2:3], s[2:3], 3
	s_add_u32 s10, s16, s2
	s_addc_u32 s16, s17, s3
	s_lshl_b64 s[12:13], s[18:19], 3
	v_cmp_gt_i32_e64 s2, s8, v0
	s_add_u32 s3, s10, s12
	s_addc_u32 s10, s16, s13
	s_and_not1_b32 vcc_lo, exec_lo, s9
	s_mov_b32 s9, -1
	s_cbranch_vccnz .LBB11_9
; %bb.4:
	s_and_saveexec_b32 s9, s2
	s_cbranch_execz .LBB11_8
; %bb.5:
	v_mul_lo_u32 v1, v0, s11
	v_cmp_neq_f32_e64 s2, s4, 0
	v_cmp_neq_f32_e64 s12, s5, 0
	v_dual_mov_b32 v3, 0 :: v_dual_mov_b32 v4, 0
	s_delay_alu instid0(VALU_DEP_2) | instskip(NEXT) | instid1(VALU_DEP_4)
	s_or_b32 s2, s2, s12
	v_ashrrev_i32_e32 v2, 31, v1
	s_and_not1_b32 vcc_lo, exec_lo, s2
	s_delay_alu instid0(VALU_DEP_1)
	v_lshlrev_b64 v[1:2], 3, v[1:2]
	s_cbranch_vccnz .LBB11_7
; %bb.6:
	s_delay_alu instid0(VALU_DEP_1) | instskip(NEXT) | instid1(VALU_DEP_2)
	v_add_co_u32 v3, vcc_lo, s3, v1
	v_add_co_ci_u32_e32 v4, vcc_lo, s10, v2, vcc_lo
	global_load_b64 v[5:6], v[3:4], off
	s_waitcnt vmcnt(0)
	v_mul_f32_e32 v4, s4, v6
	s_delay_alu instid0(VALU_DEP_1) | instskip(NEXT) | instid1(VALU_DEP_1)
	v_dual_mul_f32 v3, s5, v6 :: v_dual_fmac_f32 v4, s5, v5
	v_fma_f32 v3, v5, s4, -v3
.LBB11_7:
	s_delay_alu instid0(VALU_DEP_1) | instskip(NEXT) | instid1(VALU_DEP_2)
	v_add_co_u32 v1, vcc_lo, s3, v1
	v_add_co_ci_u32_e32 v2, vcc_lo, s10, v2, vcc_lo
	global_store_b64 v[1:2], v[3:4], off
.LBB11_8:
	s_or_b32 exec_lo, exec_lo, s9
	s_mov_b32 s9, 0
.LBB11_9:
	s_delay_alu instid0(SALU_CYCLE_1)
	s_and_not1_b32 vcc_lo, exec_lo, s9
	s_cbranch_vccnz .LBB11_19
; %bb.10:
	s_mov_b32 s2, exec_lo
	v_cmpx_gt_i32_e64 s8, v0
	s_cbranch_execz .LBB11_19
; %bb.11:
	s_load_b32 s2, s[0:1], 0x58
	v_dual_mov_b32 v3, 0 :: v_dual_mov_b32 v4, 0
	s_waitcnt lgkmcnt(0)
	s_cmp_ge_i32 s14, s2
	s_cbranch_scc1 .LBB11_14
; %bb.12:
	s_load_b64 s[0:1], s[0:1], 0x48
	v_mad_u64_u32 v[1:2], null, s14, s8, v[0:1]
	s_ashr_i32 s9, s8, 31
	s_mul_hi_u32 s12, s8, s15
	s_mul_i32 s13, s9, s15
	s_mul_i32 s15, s8, s15
	s_add_i32 s12, s12, s13
	s_mul_hi_u32 s13, s15, s2
	s_delay_alu instid0(VALU_DEP_1)
	v_ashrrev_i32_e32 v2, 31, v1
	s_mul_i32 s16, s12, s2
	s_mul_i32 s12, s15, s2
	s_add_i32 s13, s13, s16
	v_dual_mov_b32 v3, 0 :: v_dual_mov_b32 v4, 0
	v_lshlrev_b64 v[1:2], 3, v[1:2]
	s_lshl_b64 s[12:13], s[12:13], 3
	s_waitcnt lgkmcnt(0)
	s_add_u32 s0, s0, s12
	s_addc_u32 s1, s1, s13
	s_delay_alu instid0(VALU_DEP_1) | instskip(SKIP_2) | instid1(VALU_DEP_2)
	v_add_co_u32 v1, vcc_lo, s0, v1
	v_add_co_ci_u32_e32 v2, vcc_lo, s1, v2, vcc_lo
	s_lshl_b64 s[0:1], s[8:9], 3
	v_add_co_u32 v1, vcc_lo, v1, 4
	s_delay_alu instid0(VALU_DEP_2)
	v_add_co_ci_u32_e32 v2, vcc_lo, 0, v2, vcc_lo
.LBB11_13:                              ; =>This Inner Loop Header: Depth=1
	global_load_b64 v[5:6], v[1:2], off offset:-4
	v_add_co_u32 v1, vcc_lo, v1, s0
	v_add_co_ci_u32_e32 v2, vcc_lo, s1, v2, vcc_lo
	s_add_i32 s14, s14, 1
	s_delay_alu instid0(SALU_CYCLE_1)
	s_cmp_ge_i32 s14, s2
	s_waitcnt vmcnt(0)
	v_dual_add_f32 v4, v4, v5 :: v_dual_add_f32 v3, v3, v6
	s_cbranch_scc0 .LBB11_13
.LBB11_14:
	v_mul_lo_u32 v2, v0, s11
	s_delay_alu instid0(VALU_DEP_2) | instskip(SKIP_3) | instid1(VALU_DEP_4)
	v_mul_f32_e32 v1, s6, v3
	v_mul_f32_e32 v0, s7, v3
	v_cmp_neq_f32_e64 s0, s4, 0
	v_cmp_neq_f32_e64 s1, s5, 0
	v_fmac_f32_e32 v1, s7, v4
	s_delay_alu instid0(VALU_DEP_4) | instskip(SKIP_1) | instid1(VALU_DEP_4)
	v_fma_f32 v0, v4, s6, -v0
	v_ashrrev_i32_e32 v3, 31, v2
	s_or_b32 s0, s0, s1
	s_delay_alu instid0(SALU_CYCLE_1)
	s_and_not1_b32 vcc_lo, exec_lo, s0
	s_mov_b32 s0, 0
	s_cbranch_vccnz .LBB11_16
; %bb.15:
	s_mov_b32 s0, -1
.LBB11_16:
	s_delay_alu instid0(SALU_CYCLE_1)
	s_and_not1_b32 vcc_lo, exec_lo, s0
	s_cbranch_vccnz .LBB11_18
; %bb.17:
	v_lshlrev_b64 v[4:5], 3, v[2:3]
	s_delay_alu instid0(VALU_DEP_1) | instskip(NEXT) | instid1(VALU_DEP_2)
	v_add_co_u32 v4, vcc_lo, s3, v4
	v_add_co_ci_u32_e32 v5, vcc_lo, s10, v5, vcc_lo
	global_load_b64 v[4:5], v[4:5], off
	s_waitcnt vmcnt(0)
	v_mul_f32_e32 v6, s5, v5
	v_mul_f32_e32 v5, s4, v5
	s_delay_alu instid0(VALU_DEP_1) | instskip(NEXT) | instid1(VALU_DEP_3)
	v_fmac_f32_e32 v5, s5, v4
	v_fma_f32 v6, v4, s4, -v6
	s_delay_alu instid0(VALU_DEP_1)
	v_dual_add_f32 v1, v1, v5 :: v_dual_add_f32 v0, v0, v6
.LBB11_18:
	v_lshlrev_b64 v[2:3], 3, v[2:3]
	s_delay_alu instid0(VALU_DEP_1) | instskip(NEXT) | instid1(VALU_DEP_2)
	v_add_co_u32 v2, vcc_lo, s3, v2
	v_add_co_ci_u32_e32 v3, vcc_lo, s10, v3, vcc_lo
	global_store_b64 v[2:3], v[0:1], off
.LBB11_19:
	s_nop 0
	s_sendmsg sendmsg(MSG_DEALLOC_VGPRS)
	s_endpgm
	.section	.rodata,"a",@progbits
	.p2align	6, 0x0
	.amdhsa_kernel _ZL36rocblas_hemvn_kernel_lower_block_sumILi64EiPK19rocblas_complex_numIfEPS1_S1_EviT1_lS5_lT2_lT0_lPT3_i
		.amdhsa_group_segment_fixed_size 0
		.amdhsa_private_segment_fixed_size 0
		.amdhsa_kernarg_size 344
		.amdhsa_user_sgpr_count 14
		.amdhsa_user_sgpr_dispatch_ptr 0
		.amdhsa_user_sgpr_queue_ptr 0
		.amdhsa_user_sgpr_kernarg_segment_ptr 1
		.amdhsa_user_sgpr_dispatch_id 0
		.amdhsa_user_sgpr_private_segment_size 0
		.amdhsa_wavefront_size32 1
		.amdhsa_uses_dynamic_stack 0
		.amdhsa_enable_private_segment 0
		.amdhsa_system_sgpr_workgroup_id_x 1
		.amdhsa_system_sgpr_workgroup_id_y 0
		.amdhsa_system_sgpr_workgroup_id_z 1
		.amdhsa_system_sgpr_workgroup_info 0
		.amdhsa_system_vgpr_workitem_id 0
		.amdhsa_next_free_vgpr 7
		.amdhsa_next_free_sgpr 20
		.amdhsa_reserve_vcc 1
		.amdhsa_float_round_mode_32 0
		.amdhsa_float_round_mode_16_64 0
		.amdhsa_float_denorm_mode_32 3
		.amdhsa_float_denorm_mode_16_64 3
		.amdhsa_dx10_clamp 1
		.amdhsa_ieee_mode 1
		.amdhsa_fp16_overflow 0
		.amdhsa_workgroup_processor_mode 1
		.amdhsa_memory_ordered 1
		.amdhsa_forward_progress 0
		.amdhsa_shared_vgpr_count 0
		.amdhsa_exception_fp_ieee_invalid_op 0
		.amdhsa_exception_fp_denorm_src 0
		.amdhsa_exception_fp_ieee_div_zero 0
		.amdhsa_exception_fp_ieee_overflow 0
		.amdhsa_exception_fp_ieee_underflow 0
		.amdhsa_exception_fp_ieee_inexact 0
		.amdhsa_exception_int_div_zero 0
	.end_amdhsa_kernel
	.section	.text._ZL36rocblas_hemvn_kernel_lower_block_sumILi64EiPK19rocblas_complex_numIfEPS1_S1_EviT1_lS5_lT2_lT0_lPT3_i,"axG",@progbits,_ZL36rocblas_hemvn_kernel_lower_block_sumILi64EiPK19rocblas_complex_numIfEPS1_S1_EviT1_lS5_lT2_lT0_lPT3_i,comdat
.Lfunc_end11:
	.size	_ZL36rocblas_hemvn_kernel_lower_block_sumILi64EiPK19rocblas_complex_numIfEPS1_S1_EviT1_lS5_lT2_lT0_lPT3_i, .Lfunc_end11-_ZL36rocblas_hemvn_kernel_lower_block_sumILi64EiPK19rocblas_complex_numIfEPS1_S1_EviT1_lS5_lT2_lT0_lPT3_i
                                        ; -- End function
	.section	.AMDGPU.csdata,"",@progbits
; Kernel info:
; codeLenInByte = 872
; NumSgprs: 22
; NumVgprs: 7
; ScratchSize: 0
; MemoryBound: 0
; FloatMode: 240
; IeeeMode: 1
; LDSByteSize: 0 bytes/workgroup (compile time only)
; SGPRBlocks: 2
; VGPRBlocks: 0
; NumSGPRsForWavesPerEU: 22
; NumVGPRsForWavesPerEU: 7
; Occupancy: 16
; WaveLimiterHint : 0
; COMPUTE_PGM_RSRC2:SCRATCH_EN: 0
; COMPUTE_PGM_RSRC2:USER_SGPR: 14
; COMPUTE_PGM_RSRC2:TRAP_HANDLER: 0
; COMPUTE_PGM_RSRC2:TGID_X_EN: 1
; COMPUTE_PGM_RSRC2:TGID_Y_EN: 0
; COMPUTE_PGM_RSRC2:TGID_Z_EN: 1
; COMPUTE_PGM_RSRC2:TIDIG_COMP_CNT: 0
	.section	.text._ZL26rocblas_hemvn_kernel_lowerILb1ELi64ELi4ELi33ELi32ELi16El19rocblas_complex_numIfEPKS1_PS1_EviT6_lT7_lT5_lS6_lS7_lS5_lT8_i,"axG",@progbits,_ZL26rocblas_hemvn_kernel_lowerILb1ELi64ELi4ELi33ELi32ELi16El19rocblas_complex_numIfEPKS1_PS1_EviT6_lT7_lT5_lS6_lS7_lS5_lT8_i,comdat
	.globl	_ZL26rocblas_hemvn_kernel_lowerILb1ELi64ELi4ELi33ELi32ELi16El19rocblas_complex_numIfEPKS1_PS1_EviT6_lT7_lT5_lS6_lS7_lS5_lT8_i ; -- Begin function _ZL26rocblas_hemvn_kernel_lowerILb1ELi64ELi4ELi33ELi32ELi16El19rocblas_complex_numIfEPKS1_PS1_EviT6_lT7_lT5_lS6_lS7_lS5_lT8_i
	.p2align	8
	.type	_ZL26rocblas_hemvn_kernel_lowerILb1ELi64ELi4ELi33ELi32ELi16El19rocblas_complex_numIfEPKS1_PS1_EviT6_lT7_lT5_lS6_lS7_lS5_lT8_i,@function
_ZL26rocblas_hemvn_kernel_lowerILb1ELi64ELi4ELi33ELi32ELi16El19rocblas_complex_numIfEPKS1_PS1_EviT6_lT7_lT5_lS6_lS7_lS5_lT8_i: ; @_ZL26rocblas_hemvn_kernel_lowerILb1ELi64ELi4ELi33ELi32ELi16El19rocblas_complex_numIfEPKS1_PS1_EviT6_lT7_lT5_lS6_lS7_lS5_lT8_i
; %bb.0:
	s_load_b64 s[4:5], s[0:1], 0x84
	s_add_u32 s2, s0, 0x78
	s_addc_u32 s3, s1, 0
	s_waitcnt lgkmcnt(0)
	s_lshr_b32 s6, s4, 16
	s_and_b32 s4, s4, 0xffff
	s_and_b32 s5, s5, 0xffff
	s_mul_i32 s4, s6, s4
	s_delay_alu instid0(SALU_CYCLE_1) | instskip(NEXT) | instid1(SALU_CYCLE_1)
	s_mul_i32 s4, s4, s5
	s_cmpk_lg_i32 s4, 0x100
	s_cbranch_scc1 .LBB12_135
; %bb.1:
	s_load_b64 s[4:5], s[0:1], 0x4
	s_waitcnt lgkmcnt(0)
	s_or_b32 s4, s4, s5
	s_mov_b32 s5, -1
	s_bitset0_b32 s4, 31
	s_delay_alu instid0(SALU_CYCLE_1) | instskip(SKIP_1) | instid1(SALU_CYCLE_1)
	s_cmp_lg_u32 s4, 0
	s_cselect_b32 s4, -1, 0
	s_and_b32 vcc_lo, exec_lo, s4
	s_cbranch_vccnz .LBB12_3
; %bb.2:
	s_load_b64 s[6:7], s[0:1], 0x58
	s_waitcnt lgkmcnt(0)
	v_cmp_neq_f32_e64 s5, s6, 1.0
	v_cmp_neq_f32_e64 s6, s7, 0
	s_delay_alu instid0(VALU_DEP_1)
	s_or_b32 s5, s5, s6
.LBB12_3:
	s_delay_alu instid0(SALU_CYCLE_1)
	s_and_not1_b32 vcc_lo, exec_lo, s5
	s_cbranch_vccnz .LBB12_135
; %bb.4:
	s_and_not1_b32 vcc_lo, exec_lo, s4
	s_cbranch_vccnz .LBB12_135
; %bb.5:
	s_load_b512 s[16:31], s[0:1], 0x18
	v_and_b32_e32 v26, 0x3ff, v0
	v_bfe_u32 v72, v0, 10, 10
	s_waitcnt lgkmcnt(0)
	s_mul_i32 s5, s15, s31
	s_mul_hi_u32 s6, s15, s30
	s_mul_i32 s4, s15, s30
	s_add_i32 s5, s6, s5
	s_load_b32 s30, s[0:1], 0x0
	s_lshl_b64 s[4:5], s[4:5], 3
	s_delay_alu instid0(SALU_CYCLE_1)
	s_add_u32 s6, s24, s4
	s_addc_u32 s7, s25, s5
	s_lshl_b64 s[4:5], s[26:27], 3
	s_load_b32 s24, s[2:3], 0x0
	s_add_u32 s4, s6, s4
	s_addc_u32 s5, s7, s5
	s_lshl_b32 s10, s14, 6
	s_delay_alu instid0(SALU_CYCLE_1) | instskip(NEXT) | instid1(VALU_DEP_1)
	v_add_nc_u32_e32 v16, s10, v26
	v_ashrrev_i32_e32 v17, 31, v16
	v_mul_lo_u32 v3, v16, s29
	v_mad_u64_u32 v[1:2], null, v16, s28, 0
	s_waitcnt lgkmcnt(0)
	s_ashr_i32 s25, s30, 31
	v_mul_lo_u32 v4, v17, s28
	s_lshr_b32 s2, s25, 26
	s_delay_alu instid0(SALU_CYCLE_1) | instskip(SKIP_4) | instid1(VALU_DEP_2)
	s_add_i32 s3, s30, s2
	v_cmp_ne_u32_e64 s2, 0, v72
	s_and_not1_b32 s3, s3, 63
	s_add_i32 s6, s24, -1
	s_sub_i32 s7, s30, s3
	v_add3_u32 v2, v2, v3, v4
	v_cmp_eq_u32_e64 s3, 0, v72
	s_cmp_eq_u32 s14, s6
	s_cselect_b32 s12, s7, 0
	s_delay_alu instid0(VALU_DEP_2) | instskip(NEXT) | instid1(VALU_DEP_1)
	v_lshlrev_b64 v[0:1], 3, v[1:2]
	v_add_co_u32 v20, vcc_lo, s4, v0
	s_delay_alu instid0(VALU_DEP_2)
	v_add_co_ci_u32_e32 v21, vcc_lo, s5, v1, vcc_lo
	s_mov_b32 s4, -1
	s_and_saveexec_b32 s5, s3
	s_cbranch_execz .LBB12_10
; %bb.6:
	v_cmp_le_i32_e32 vcc_lo, s12, v26
	s_cmp_lg_u32 s12, 0
	v_lshl_add_u32 v0, v26, 3, 0x2380
	s_cselect_b32 s6, -1, 0
	s_delay_alu instid0(SALU_CYCLE_1) | instskip(NEXT) | instid1(SALU_CYCLE_1)
	s_and_b32 s6, s6, vcc_lo
	s_and_saveexec_b32 s7, s6
	s_delay_alu instid0(SALU_CYCLE_1)
	s_xor_b32 s6, exec_lo, s7
	s_cbranch_execz .LBB12_8
; %bb.7:
	v_mov_b32_e32 v1, 0
	s_delay_alu instid0(VALU_DEP_1)
	v_mov_b32_e32 v2, v1
	ds_store_b64 v0, v[1:2]
                                        ; implicit-def: $vgpr0
.LBB12_8:
	s_and_not1_saveexec_b32 s6, s6
	s_cbranch_execz .LBB12_10
; %bb.9:
	global_load_b64 v[1:2], v[20:21], off
	s_waitcnt vmcnt(0)
	ds_store_b64 v0, v[1:2]
.LBB12_10:
	s_or_b32 exec_lo, exec_lo, s5
	v_lshl_add_u32 v27, v72, 6, v26
	v_dual_mov_b32 v1, 0 :: v_dual_and_b32 v0, 31, v26
	s_mul_i32 s5, s15, s23
	s_mul_hi_u32 s7, s15, s22
	s_delay_alu instid0(VALU_DEP_2)
	v_lshrrev_b32_e32 v5, 5, v27
	s_mul_i32 s6, s15, s22
	s_add_i32 s7, s7, s5
	s_mul_i32 s9, s10, s21
	s_lshl_b64 s[6:7], s[6:7], 3
	v_mad_u64_u32 v[2:3], null, v5, s20, v[0:1]
	s_add_u32 s5, s16, s6
	s_addc_u32 s8, s17, s7
	s_lshl_b64 s[6:7], s[18:19], 3
	s_mul_hi_u32 s13, s10, s20
	s_add_u32 s5, s5, s6
	s_addc_u32 s8, s8, s7
	s_delay_alu instid0(VALU_DEP_1) | instskip(SKIP_1) | instid1(SALU_CYCLE_1)
	v_mov_b32_e32 v1, v3
	s_ashr_i32 s11, s10, 31
	s_lshl_b64 s[6:7], s[10:11], 3
	s_mul_i32 s16, s11, s20
	s_delay_alu instid0(VALU_DEP_1)
	v_mad_u64_u32 v[3:4], null, v5, s21, v[1:2]
	s_add_u32 s5, s5, s6
	s_addc_u32 s8, s8, s7
	s_add_i32 s7, s13, s9
	s_mul_i32 s6, s10, s20
	s_add_i32 s7, s7, s16
	s_delay_alu instid0(SALU_CYCLE_1) | instskip(NEXT) | instid1(VALU_DEP_1)
	s_lshl_b64 s[16:17], s[6:7], 3
	v_lshlrev_b64 v[22:23], 3, v[2:3]
	s_add_u32 s5, s16, s5
	s_addc_u32 s6, s17, s8
	s_cmp_lg_u32 s12, 0
	s_cselect_b32 s22, -1, 0
	s_delay_alu instid0(VALU_DEP_1)
	v_add_co_u32 v1, vcc_lo, s5, v22
	v_add_co_ci_u32_e32 v2, vcc_lo, s6, v23, vcc_lo
	s_cmp_eq_u32 s12, 0
	s_cselect_b32 s9, -1, 0
	s_and_b32 vcc_lo, exec_lo, s22
	s_cbranch_vccnz .LBB12_12
; %bb.11:
	v_mad_u64_u32 v[3:4], null, 0xc0, s20, v[1:2]
	s_lshl_b64 s[4:5], s[20:21], 6
	s_delay_alu instid0(VALU_DEP_1) | instskip(SKIP_2) | instid1(VALU_DEP_2)
	v_mad_u64_u32 v[6:7], null, 0xc0, s21, v[4:5]
	v_add_co_u32 v7, vcc_lo, v1, s4
	v_add_co_ci_u32_e32 v8, vcc_lo, s5, v2, vcc_lo
	v_add_co_u32 v9, vcc_lo, v7, s4
	s_delay_alu instid0(VALU_DEP_2)
	v_add_co_ci_u32_e32 v10, vcc_lo, s5, v8, vcc_lo
	v_mov_b32_e32 v4, v6
	s_clause 0x1
	global_load_b64 v[11:12], v[1:2], off
	global_load_b64 v[6:7], v[7:8], off
	;; [unrolled: 1-line block ×4, first 2 shown]
	v_mul_u32_u24_e32 v10, 33, v5
	s_mov_b32 s4, 0
	s_delay_alu instid0(VALU_DEP_1)
	v_add_lshl_u32 v10, v10, v0, 3
	s_waitcnt vmcnt(3)
	ds_store_b64 v10, v[11:12]
	s_waitcnt vmcnt(2)
	ds_store_b64 v10, v[6:7] offset:2112
	s_waitcnt vmcnt(1)
	ds_store_b64 v10, v[8:9] offset:4224
	;; [unrolled: 2-line block ×3, first 2 shown]
.LBB12_12:
	s_and_not1_b32 vcc_lo, exec_lo, s4
	s_cbranch_vccnz .LBB12_30
; %bb.13:
	v_lshlrev_b32_e32 v6, 3, v0
	s_ashr_i32 s13, s12, 31
	v_mul_u32_u24_e32 v7, 33, v5
	s_lshl_b64 s[6:7], s[12:13], 3
	v_cmp_le_i32_e64 s4, s12, v5
	v_sub_co_u32 v3, vcc_lo, v1, v6
	v_subrev_co_ci_u32_e32 v4, vcc_lo, 0, v2, vcc_lo
	v_add_lshl_u32 v7, v7, v0, 3
	s_delay_alu instid0(VALU_DEP_3) | instskip(NEXT) | instid1(VALU_DEP_3)
	v_add_co_u32 v3, vcc_lo, v3, s6
	v_add_co_ci_u32_e32 v4, vcc_lo, s7, v4, vcc_lo
	s_delay_alu instid0(VALU_DEP_2) | instskip(NEXT) | instid1(VALU_DEP_2)
	v_add_co_u32 v3, vcc_lo, v3, -8
	v_add_co_ci_u32_e32 v4, vcc_lo, -1, v4, vcc_lo
	v_cmp_gt_i32_e32 vcc_lo, s12, v0
	s_delay_alu instid0(VALU_DEP_2) | instskip(SKIP_1) | instid1(SALU_CYCLE_1)
	v_dual_cndmask_b32 v3, v3, v1 :: v_dual_cndmask_b32 v4, v4, v2
	s_and_saveexec_b32 s5, s4
	s_xor_b32 s4, exec_lo, s5
	s_cbranch_execz .LBB12_15
; %bb.14:
	v_mov_b32_e32 v8, 0
	s_delay_alu instid0(VALU_DEP_1)
	v_mov_b32_e32 v9, v8
	ds_store_b64 v7, v[8:9]
.LBB12_15:
	s_and_not1_saveexec_b32 s4, s4
	s_cbranch_execz .LBB12_17
; %bb.16:
	global_load_b64 v[8:9], v[3:4], off
	s_waitcnt vmcnt(0)
	ds_store_b64 v7, v[8:9]
.LBB12_17:
	s_or_b32 exec_lo, exec_lo, s4
	v_add_nc_u32_e32 v8, 8, v5
	s_delay_alu instid0(VALU_DEP_1) | instskip(NEXT) | instid1(VALU_DEP_1)
	v_cmp_le_i32_e64 s4, s12, v8
	s_and_saveexec_b32 s5, s4
	s_delay_alu instid0(SALU_CYCLE_1)
	s_xor_b32 s4, exec_lo, s5
	s_cbranch_execz .LBB12_19
; %bb.18:
	v_mul_u32_u24_e32 v9, 33, v8
	v_mov_b32_e32 v8, 0
	s_delay_alu instid0(VALU_DEP_2) | instskip(NEXT) | instid1(VALU_DEP_2)
	v_add_lshl_u32 v10, v9, v0, 3
	v_mov_b32_e32 v9, v8
	ds_store_b64 v10, v[8:9]
.LBB12_19:
	s_and_not1_saveexec_b32 s5, s4
	s_cbranch_execz .LBB12_21
; %bb.20:
	s_lshl_b64 s[18:19], s[20:21], 6
	s_delay_alu instid0(SALU_CYCLE_1) | instskip(NEXT) | instid1(VALU_DEP_1)
	v_add_co_u32 v8, s4, v3, s18
	v_add_co_ci_u32_e64 v9, s4, s19, v4, s4
	global_load_b64 v[8:9], v[8:9], off
	s_waitcnt vmcnt(0)
	ds_store_b64 v7, v[8:9] offset:2112
.LBB12_21:
	s_or_b32 exec_lo, exec_lo, s5
	v_add_nc_u32_e32 v8, 16, v5
	s_delay_alu instid0(VALU_DEP_1) | instskip(NEXT) | instid1(VALU_DEP_1)
	v_cmp_le_i32_e64 s4, s12, v8
	s_and_saveexec_b32 s5, s4
	s_delay_alu instid0(SALU_CYCLE_1)
	s_xor_b32 s4, exec_lo, s5
	s_cbranch_execz .LBB12_23
; %bb.22:
	v_mov_b32_e32 v8, 0
	s_delay_alu instid0(VALU_DEP_1)
	v_mov_b32_e32 v9, v8
	ds_store_b64 v7, v[8:9] offset:4224
.LBB12_23:
	s_and_not1_saveexec_b32 s5, s4
	s_cbranch_execz .LBB12_25
; %bb.24:
	s_lshl_b64 s[18:19], s[20:21], 7
	s_delay_alu instid0(SALU_CYCLE_1) | instskip(NEXT) | instid1(VALU_DEP_1)
	v_add_co_u32 v8, s4, v3, s18
	v_add_co_ci_u32_e64 v9, s4, s19, v4, s4
	global_load_b64 v[8:9], v[8:9], off
	s_waitcnt vmcnt(0)
	ds_store_b64 v7, v[8:9] offset:4224
.LBB12_25:
	s_or_b32 exec_lo, exec_lo, s5
	v_add_nc_u32_e32 v8, 24, v5
	s_delay_alu instid0(VALU_DEP_1) | instskip(NEXT) | instid1(VALU_DEP_1)
	v_cmp_le_i32_e64 s4, s12, v8
	s_and_saveexec_b32 s5, s4
	s_delay_alu instid0(SALU_CYCLE_1)
	s_xor_b32 s4, exec_lo, s5
	s_cbranch_execz .LBB12_27
; %bb.26:
	v_mov_b32_e32 v8, 0
	s_delay_alu instid0(VALU_DEP_1)
	v_mov_b32_e32 v9, v8
	ds_store_b64 v7, v[8:9] offset:6336
                                        ; implicit-def: $vgpr7
.LBB12_27:
	s_and_not1_saveexec_b32 s4, s4
	s_cbranch_execz .LBB12_29
; %bb.28:
	v_mad_u64_u32 v[8:9], null, 0xc0, s20, v[3:4]
	s_delay_alu instid0(VALU_DEP_1) | instskip(NEXT) | instid1(VALU_DEP_1)
	v_mad_u64_u32 v[10:11], null, 0xc0, s21, v[9:10]
	v_mov_b32_e32 v9, v10
	global_load_b64 v[8:9], v[8:9], off
	s_waitcnt vmcnt(0)
	ds_store_b64 v7, v[8:9] offset:6336
.LBB12_29:
	s_or_b32 exec_lo, exec_lo, s4
	v_add_co_u32 v3, s4, v3, v6
	s_delay_alu instid0(VALU_DEP_1) | instskip(NEXT) | instid1(VALU_DEP_2)
	v_add_co_ci_u32_e64 v4, s4, 0, v4, s4
	v_sub_co_u32 v3, s4, v3, s6
	s_delay_alu instid0(VALU_DEP_1) | instskip(NEXT) | instid1(VALU_DEP_2)
	v_subrev_co_ci_u32_e64 v4, s4, s7, v4, s4
	v_add_co_u32 v3, s4, v3, 8
	s_delay_alu instid0(VALU_DEP_1) | instskip(NEXT) | instid1(VALU_DEP_1)
	v_add_co_ci_u32_e64 v4, s4, 0, v4, s4
	v_dual_cndmask_b32 v1, v3, v1 :: v_dual_cndmask_b32 v2, v4, v2
.LBB12_30:
	v_lshlrev_b32_e32 v6, 2, v5
	s_waitcnt lgkmcnt(0)
	s_barrier
	buffer_gl0_inv
	v_cmp_ge_u32_e64 s5, v6, v0
	s_delay_alu instid0(VALU_DEP_1) | instskip(NEXT) | instid1(SALU_CYCLE_1)
	s_and_saveexec_b32 s4, s5
	s_xor_b32 s4, exec_lo, s4
	s_cbranch_execz .LBB12_34
; %bb.31:
	s_mov_b32 s6, exec_lo
	v_cmpx_eq_u32_e64 v6, v0
	s_cbranch_execz .LBB12_33
; %bb.32:
	v_mul_u32_u24_e32 v3, 34, v0
	s_delay_alu instid0(VALU_DEP_1)
	v_dual_mov_b32 v4, 0 :: v_dual_lshlrev_b32 v3, 3, v3
	ds_store_b32 v3, v4 offset:4
.LBB12_33:
	s_or_b32 exec_lo, exec_lo, s6
.LBB12_34:
	s_or_saveexec_b32 s4, s4
	v_mul_u32_u24_e32 v28, 33, v0
	v_mul_u32_u24_e32 v3, 0x84, v5
	s_delay_alu instid0(VALU_DEP_2)
	v_add_lshl_u32 v4, v6, v28, 3
	s_xor_b32 exec_lo, exec_lo, s4
	s_cbranch_execz .LBB12_36
; %bb.35:
	s_delay_alu instid0(VALU_DEP_2)
	v_add_lshl_u32 v7, v3, v0, 3
	ds_load_b64 v[7:8], v7
	s_waitcnt lgkmcnt(0)
	v_xor_b32_e32 v8, 0x80000000, v8
	ds_store_b64 v4, v[7:8]
.LBB12_36:
	s_or_b32 exec_lo, exec_lo, s4
	v_or_b32_e32 v7, 1, v6
	s_delay_alu instid0(VALU_DEP_1) | instskip(NEXT) | instid1(VALU_DEP_1)
	v_cmp_ge_u32_e64 s6, v7, v0
	s_and_saveexec_b32 s4, s6
	s_delay_alu instid0(SALU_CYCLE_1)
	s_xor_b32 s4, exec_lo, s4
	s_cbranch_execz .LBB12_40
; %bb.37:
	s_mov_b32 s7, exec_lo
	v_cmpx_eq_u32_e64 v7, v0
	s_cbranch_execz .LBB12_39
; %bb.38:
	v_mul_u32_u24_e32 v8, 34, v0
	s_delay_alu instid0(VALU_DEP_1)
	v_dual_mov_b32 v9, 0 :: v_dual_lshlrev_b32 v8, 3, v8
	ds_store_b32 v8, v9 offset:4
.LBB12_39:
	s_or_b32 exec_lo, exec_lo, s7
.LBB12_40:
	s_or_saveexec_b32 s4, s4
	v_mul_u32_u24_e32 v9, 33, v7
	s_xor_b32 exec_lo, exec_lo, s4
	s_cbranch_execz .LBB12_42
; %bb.41:
	s_delay_alu instid0(VALU_DEP_1)
	v_add_lshl_u32 v8, v9, v0, 3
	ds_load_b64 v[10:11], v8
	s_waitcnt lgkmcnt(0)
	v_xor_b32_e32 v11, 0x80000000, v11
	ds_store_b64 v4, v[10:11] offset:8
.LBB12_42:
	s_or_b32 exec_lo, exec_lo, s4
	v_or_b32_e32 v8, 2, v6
	s_delay_alu instid0(VALU_DEP_1) | instskip(NEXT) | instid1(VALU_DEP_1)
	v_cmp_ge_u32_e64 s7, v8, v0
	s_and_saveexec_b32 s4, s7
	s_delay_alu instid0(SALU_CYCLE_1)
	s_xor_b32 s4, exec_lo, s4
	s_cbranch_execz .LBB12_46
; %bb.43:
	s_mov_b32 s8, exec_lo
	v_cmpx_eq_u32_e64 v8, v0
	s_cbranch_execz .LBB12_45
; %bb.44:
	v_mul_u32_u24_e32 v10, 34, v0
	s_delay_alu instid0(VALU_DEP_1)
	v_dual_mov_b32 v11, 0 :: v_dual_lshlrev_b32 v10, 3, v10
	ds_store_b32 v10, v11 offset:4
.LBB12_45:
	s_or_b32 exec_lo, exec_lo, s8
.LBB12_46:
	s_and_not1_saveexec_b32 s4, s4
	s_cbranch_execz .LBB12_48
; %bb.47:
	v_mul_u32_u24_e32 v10, 33, v8
	s_delay_alu instid0(VALU_DEP_1)
	v_add_lshl_u32 v10, v10, v0, 3
	ds_load_b64 v[10:11], v10
	s_waitcnt lgkmcnt(0)
	v_xor_b32_e32 v11, 0x80000000, v11
	ds_store_b64 v4, v[10:11] offset:16
.LBB12_48:
	s_or_b32 exec_lo, exec_lo, s4
	v_or_b32_e32 v10, 3, v6
	s_delay_alu instid0(VALU_DEP_1) | instskip(NEXT) | instid1(VALU_DEP_1)
	v_cmp_ge_u32_e64 s8, v10, v0
	s_and_saveexec_b32 s4, s8
	s_delay_alu instid0(SALU_CYCLE_1)
	s_xor_b32 s4, exec_lo, s4
	s_cbranch_execz .LBB12_52
; %bb.49:
	s_mov_b32 s13, exec_lo
	v_cmpx_eq_u32_e64 v10, v0
	s_cbranch_execz .LBB12_51
; %bb.50:
	v_mul_u32_u24_e32 v11, 34, v0
	s_delay_alu instid0(VALU_DEP_1)
	v_dual_mov_b32 v12, 0 :: v_dual_lshlrev_b32 v11, 3, v11
	ds_store_b32 v11, v12 offset:4
.LBB12_51:
	s_or_b32 exec_lo, exec_lo, s13
.LBB12_52:
	s_and_not1_saveexec_b32 s4, s4
	s_cbranch_execz .LBB12_54
; %bb.53:
	v_mul_u32_u24_e32 v11, 33, v10
	s_delay_alu instid0(VALU_DEP_1)
	v_add_lshl_u32 v11, v11, v0, 3
	ds_load_b64 v[11:12], v11
	s_waitcnt lgkmcnt(0)
	v_xor_b32_e32 v12, 0x80000000, v12
	ds_store_b64 v4, v[11:12] offset:24
.LBB12_54:
	s_or_b32 exec_lo, exec_lo, s4
	v_add_lshl_u32 v11, v3, v0, 3
	v_lshlrev_b32_e32 v3, 3, v6
	v_add_lshl_u32 v9, v9, v0, 3
	s_waitcnt lgkmcnt(0)
	s_barrier
	buffer_gl0_inv
	ds_load_b64 v[18:19], v11
	ds_load_b128 v[12:15], v3 offset:9088
	ds_load_2addr_b64 v[29:32], v9 offset1:33
	ds_load_b128 v[33:36], v3 offset:9104
	ds_load_b64 v[24:25], v9 offset:528
	v_cmp_gt_u32_e64 s4, 32, v27
	s_waitcnt lgkmcnt(0)
	s_barrier
	buffer_gl0_inv
	v_dual_mul_f32 v37, v13, v19 :: v_dual_mul_f32 v38, v15, v30
	v_dual_mul_f32 v19, v12, v19 :: v_dual_mul_f32 v30, v14, v30
	v_mul_f32_e32 v39, v34, v32
	s_delay_alu instid0(VALU_DEP_3) | instskip(NEXT) | instid1(VALU_DEP_4)
	v_fma_f32 v12, v12, v18, -v37
	v_fma_f32 v14, v14, v29, -v38
	s_delay_alu instid0(VALU_DEP_4)
	v_fmac_f32_e32 v19, v13, v18
	v_mul_f32_e32 v32, v33, v32
	v_fmac_f32_e32 v30, v15, v29
	v_add_f32_e32 v12, 0, v12
	v_fma_f32 v18, v33, v31, -v39
	v_add_f32_e32 v15, 0, v19
	v_dual_mul_f32 v13, v36, v25 :: v_dual_fmac_f32 v32, v34, v31
	s_delay_alu instid0(VALU_DEP_4) | instskip(SKIP_1) | instid1(VALU_DEP_3)
	v_dual_add_f32 v12, v12, v14 :: v_dual_mul_f32 v19, v35, v25
	v_add_lshl_u32 v29, v5, v28, 3
	v_fma_f32 v13, v35, v24, -v13
	s_delay_alu instid0(VALU_DEP_3) | instskip(NEXT) | instid1(VALU_DEP_4)
	v_add_f32_e32 v12, v12, v18
	v_dual_add_f32 v14, v15, v30 :: v_dual_fmac_f32 v19, v36, v24
	s_delay_alu instid0(VALU_DEP_2) | instskip(NEXT) | instid1(VALU_DEP_2)
	v_add_f32_e32 v12, v12, v13
	v_add_f32_e32 v14, v14, v32
	s_delay_alu instid0(VALU_DEP_1)
	v_dual_mov_b32 v18, 0 :: v_dual_add_f32 v13, v14, v19
	v_mov_b32_e32 v19, 0
	ds_store_b64 v29, v[12:13]
	s_waitcnt lgkmcnt(0)
	s_barrier
	buffer_gl0_inv
	s_and_saveexec_b32 s13, s4
	s_cbranch_execz .LBB12_56
; %bb.55:
	v_lshlrev_b32_e32 v18, 3, v28
	ds_load_2addr_b64 v[12:15], v18 offset1:7
	ds_load_2addr_b64 v[30:33], v18 offset0:1 offset1:2
	ds_load_2addr_b64 v[34:37], v18 offset0:3 offset1:4
	;; [unrolled: 1-line block ×3, first 2 shown]
	s_waitcnt lgkmcnt(2)
	v_dual_add_f32 v13, v31, v13 :: v_dual_add_f32 v12, v30, v12
	s_delay_alu instid0(VALU_DEP_1) | instskip(SKIP_1) | instid1(VALU_DEP_1)
	v_dual_add_f32 v13, v13, v33 :: v_dual_add_f32 v12, v12, v32
	s_waitcnt lgkmcnt(1)
	v_dual_add_f32 v13, v13, v35 :: v_dual_add_f32 v12, v12, v34
	s_delay_alu instid0(VALU_DEP_1) | instskip(SKIP_1) | instid1(VALU_DEP_1)
	v_dual_add_f32 v13, v13, v37 :: v_dual_add_f32 v12, v12, v36
	s_waitcnt lgkmcnt(0)
	v_dual_add_f32 v13, v13, v39 :: v_dual_add_f32 v12, v12, v38
	s_delay_alu instid0(VALU_DEP_1) | instskip(NEXT) | instid1(VALU_DEP_1)
	v_dual_add_f32 v13, v13, v41 :: v_dual_add_f32 v12, v12, v40
	v_dual_add_f32 v19, v13, v15 :: v_dual_add_f32 v18, v12, v14
.LBB12_56:
	s_or_b32 exec_lo, exec_lo, s13
	s_lshl_b64 s[18:19], s[20:21], 8
	v_cndmask_b32_e64 v12, 0, 1, s9
	v_add_co_u32 v1, vcc_lo, v1, s18
	v_add_co_ci_u32_e32 v2, vcc_lo, s19, v2, vcc_lo
	s_delay_alu instid0(VALU_DEP_2) | instskip(NEXT) | instid1(VALU_DEP_2)
	v_add_co_u32 v13, vcc_lo, 0x100, v1
	v_add_co_ci_u32_e32 v14, vcc_lo, 0, v2, vcc_lo
	s_and_not1_b32 vcc_lo, exec_lo, s9
	s_barrier
	buffer_gl0_inv
	s_cbranch_vccnz .LBB12_58
; %bb.57:
	v_mad_u64_u32 v[24:25], null, 0xc0, s20, v[1:2]
	s_lshl_b64 s[18:19], s[20:21], 6
	s_delay_alu instid0(VALU_DEP_1) | instskip(NEXT) | instid1(VALU_DEP_1)
	v_mov_b32_e32 v15, v25
	v_mad_u64_u32 v[30:31], null, 0xc0, s21, v[15:16]
	v_add_co_u32 v31, vcc_lo, v1, s18
	v_add_co_ci_u32_e32 v32, vcc_lo, s19, v2, vcc_lo
	v_mul_u32_u24_e32 v15, 33, v5
	s_delay_alu instid0(VALU_DEP_3) | instskip(NEXT) | instid1(VALU_DEP_3)
	v_add_co_u32 v33, vcc_lo, v31, s18
	v_add_co_ci_u32_e32 v34, vcc_lo, s19, v32, vcc_lo
	v_mov_b32_e32 v25, v30
	s_clause 0x3
	global_load_b64 v[1:2], v[1:2], off offset:256
	global_load_b64 v[30:31], v[31:32], off offset:256
	;; [unrolled: 1-line block ×4, first 2 shown]
	v_add_lshl_u32 v15, v15, v0, 3
	s_waitcnt vmcnt(3)
	ds_store_b64 v15, v[1:2]
	s_waitcnt vmcnt(2)
	ds_store_b64 v15, v[30:31] offset:2112
	s_waitcnt vmcnt(1)
	ds_store_b64 v15, v[32:33] offset:4224
	;; [unrolled: 2-line block ×3, first 2 shown]
	s_cbranch_execz .LBB12_59
	s_branch .LBB12_76
.LBB12_58:
.LBB12_59:
	v_lshlrev_b32_e32 v15, 3, v0
	s_ashr_i32 s13, s12, 31
	v_or_b32_e32 v24, 32, v0
	s_lshl_b64 s[18:19], s[12:13], 3
	s_sub_i32 s13, s12, 32
	v_sub_co_u32 v1, vcc_lo, v13, v15
	v_subrev_co_ci_u32_e32 v2, vcc_lo, 0, v14, vcc_lo
	v_cmp_le_i32_e64 s9, s13, v5
	s_delay_alu instid0(VALU_DEP_3) | instskip(NEXT) | instid1(VALU_DEP_3)
	v_add_co_u32 v1, vcc_lo, v1, s18
	v_add_co_ci_u32_e32 v2, vcc_lo, s19, v2, vcc_lo
	s_delay_alu instid0(VALU_DEP_2) | instskip(NEXT) | instid1(VALU_DEP_2)
	v_add_co_u32 v1, vcc_lo, 0xfffffef8, v1
	v_add_co_ci_u32_e32 v2, vcc_lo, -1, v2, vcc_lo
	v_cmp_gt_i32_e32 vcc_lo, s12, v24
	v_mul_u32_u24_e32 v24, 33, v5
	s_delay_alu instid0(VALU_DEP_3) | instskip(NEXT) | instid1(VALU_DEP_2)
	v_dual_cndmask_b32 v2, v2, v14 :: v_dual_cndmask_b32 v1, v1, v13
	v_add_lshl_u32 v24, v24, v0, 3
	s_and_saveexec_b32 s23, s9
	s_delay_alu instid0(SALU_CYCLE_1)
	s_xor_b32 s9, exec_lo, s23
	s_cbranch_execz .LBB12_61
; %bb.60:
	v_mov_b32_e32 v30, 0
	s_delay_alu instid0(VALU_DEP_1)
	v_mov_b32_e32 v31, v30
	ds_store_b64 v24, v[30:31]
.LBB12_61:
	s_and_not1_saveexec_b32 s9, s9
	s_cbranch_execz .LBB12_63
; %bb.62:
	global_load_b64 v[30:31], v[1:2], off
	s_waitcnt vmcnt(0)
	ds_store_b64 v24, v[30:31]
.LBB12_63:
	s_or_b32 exec_lo, exec_lo, s9
	v_add_nc_u32_e32 v25, 8, v5
	s_delay_alu instid0(VALU_DEP_1) | instskip(NEXT) | instid1(VALU_DEP_1)
	v_cmp_le_i32_e64 s9, s13, v25
	s_and_saveexec_b32 s23, s9
	s_delay_alu instid0(SALU_CYCLE_1)
	s_xor_b32 s9, exec_lo, s23
	s_cbranch_execz .LBB12_65
; %bb.64:
	v_mul_u32_u24_e32 v25, 33, v25
	v_mov_b32_e32 v30, 0
	s_delay_alu instid0(VALU_DEP_2) | instskip(NEXT) | instid1(VALU_DEP_2)
	v_add_lshl_u32 v25, v25, v0, 3
	v_mov_b32_e32 v31, v30
	ds_store_b64 v25, v[30:31]
.LBB12_65:
	s_and_not1_saveexec_b32 s23, s9
	s_cbranch_execz .LBB12_67
; %bb.66:
	s_lshl_b64 s[26:27], s[20:21], 6
	s_delay_alu instid0(SALU_CYCLE_1) | instskip(NEXT) | instid1(VALU_DEP_1)
	v_add_co_u32 v30, s9, v1, s26
	v_add_co_ci_u32_e64 v31, s9, s27, v2, s9
	global_load_b64 v[30:31], v[30:31], off
	s_waitcnt vmcnt(0)
	ds_store_b64 v24, v[30:31] offset:2112
.LBB12_67:
	s_or_b32 exec_lo, exec_lo, s23
	v_add_nc_u32_e32 v25, 16, v5
	s_delay_alu instid0(VALU_DEP_1) | instskip(NEXT) | instid1(VALU_DEP_1)
	v_cmp_le_i32_e64 s9, s13, v25
	s_and_saveexec_b32 s23, s9
	s_delay_alu instid0(SALU_CYCLE_1)
	s_xor_b32 s9, exec_lo, s23
	s_cbranch_execz .LBB12_69
; %bb.68:
	v_mov_b32_e32 v30, 0
	s_delay_alu instid0(VALU_DEP_1)
	v_mov_b32_e32 v31, v30
	ds_store_b64 v24, v[30:31] offset:4224
.LBB12_69:
	s_and_not1_saveexec_b32 s23, s9
	s_cbranch_execz .LBB12_71
; %bb.70:
	s_lshl_b64 s[26:27], s[20:21], 7
	s_delay_alu instid0(SALU_CYCLE_1) | instskip(NEXT) | instid1(VALU_DEP_1)
	v_add_co_u32 v30, s9, v1, s26
	v_add_co_ci_u32_e64 v31, s9, s27, v2, s9
	global_load_b64 v[30:31], v[30:31], off
	s_waitcnt vmcnt(0)
	ds_store_b64 v24, v[30:31] offset:4224
.LBB12_71:
	s_or_b32 exec_lo, exec_lo, s23
	v_add_nc_u32_e32 v25, 24, v5
	s_delay_alu instid0(VALU_DEP_1) | instskip(NEXT) | instid1(VALU_DEP_1)
	v_cmp_le_i32_e64 s9, s13, v25
	s_and_saveexec_b32 s13, s9
	s_delay_alu instid0(SALU_CYCLE_1)
	s_xor_b32 s9, exec_lo, s13
	s_cbranch_execz .LBB12_73
; %bb.72:
	v_mov_b32_e32 v30, 0
	s_delay_alu instid0(VALU_DEP_1)
	v_mov_b32_e32 v31, v30
	ds_store_b64 v24, v[30:31] offset:6336
                                        ; implicit-def: $vgpr24
.LBB12_73:
	s_and_not1_saveexec_b32 s9, s9
	s_cbranch_execz .LBB12_75
; %bb.74:
	v_mad_u64_u32 v[30:31], null, 0xc0, s20, v[1:2]
	s_delay_alu instid0(VALU_DEP_1) | instskip(NEXT) | instid1(VALU_DEP_1)
	v_mov_b32_e32 v25, v31
	v_mad_u64_u32 v[31:32], null, 0xc0, s21, v[25:26]
	global_load_b64 v[30:31], v[30:31], off
	s_waitcnt vmcnt(0)
	ds_store_b64 v24, v[30:31] offset:6336
.LBB12_75:
	s_or_b32 exec_lo, exec_lo, s9
	v_add_co_u32 v1, s9, v1, v15
	s_delay_alu instid0(VALU_DEP_1) | instskip(NEXT) | instid1(VALU_DEP_2)
	v_add_co_ci_u32_e64 v2, s9, 0, v2, s9
	v_sub_co_u32 v1, s9, v1, s18
	s_delay_alu instid0(VALU_DEP_1) | instskip(NEXT) | instid1(VALU_DEP_2)
	v_subrev_co_ci_u32_e64 v2, s9, s19, v2, s9
	v_add_co_u32 v1, s9, 0x108, v1
	s_delay_alu instid0(VALU_DEP_1) | instskip(NEXT) | instid1(VALU_DEP_1)
	v_add_co_ci_u32_e64 v2, s9, 0, v2, s9
	v_dual_cndmask_b32 v13, v1, v13 :: v_dual_cndmask_b32 v14, v2, v14
.LBB12_76:
	v_add_nc_u32_e32 v3, 0x2380, v3
	s_lshl_b64 s[18:19], s[20:21], 5
	s_waitcnt lgkmcnt(0)
	s_barrier
	buffer_gl0_inv
	s_and_saveexec_b32 s9, s5
	s_delay_alu instid0(SALU_CYCLE_1)
	s_xor_b32 s5, exec_lo, s9
	s_cbranch_execnz .LBB12_89
; %bb.77:
	s_and_not1_saveexec_b32 s5, s5
	s_cbranch_execnz .LBB12_92
.LBB12_78:
	s_or_b32 exec_lo, exec_lo, s5
	s_and_saveexec_b32 s5, s6
	s_delay_alu instid0(SALU_CYCLE_1)
	s_xor_b32 s5, exec_lo, s5
	s_cbranch_execnz .LBB12_93
.LBB12_79:
	s_and_not1_saveexec_b32 s5, s5
	s_cbranch_execnz .LBB12_96
.LBB12_80:
	s_or_b32 exec_lo, exec_lo, s5
	s_and_saveexec_b32 s5, s7
	s_delay_alu instid0(SALU_CYCLE_1)
	s_xor_b32 s5, exec_lo, s5
	s_cbranch_execnz .LBB12_97
.LBB12_81:
	s_and_not1_saveexec_b32 s5, s5
	s_cbranch_execnz .LBB12_100
.LBB12_82:
	s_or_b32 exec_lo, exec_lo, s5
	s_and_saveexec_b32 s5, s8
	s_delay_alu instid0(SALU_CYCLE_1)
	s_xor_b32 s5, exec_lo, s5
	s_cbranch_execnz .LBB12_101
.LBB12_83:
	s_and_not1_saveexec_b32 s5, s5
	s_cbranch_execz .LBB12_85
.LBB12_84:
	ds_load_b64 v[1:2], v9 offset:528
	s_waitcnt lgkmcnt(0)
	v_xor_b32_e32 v2, 0x80000000, v2
	ds_store_b64 v4, v[1:2] offset:24
.LBB12_85:
	s_or_b32 exec_lo, exec_lo, s5
	s_waitcnt lgkmcnt(0)
	s_barrier
	buffer_gl0_inv
	ds_load_b64 v[1:2], v11
	ds_load_b128 v[30:33], v3 offset:256
	ds_load_2addr_b64 v[34:37], v9 offset1:33
	ds_load_b128 v[38:41], v3 offset:272
	ds_load_b64 v[6:7], v9 offset:528
	v_cmp_eq_u32_e64 s5, 1, v5
	s_waitcnt lgkmcnt(0)
	s_barrier
	buffer_gl0_inv
	v_dual_mul_f32 v8, v31, v2 :: v_dual_mul_f32 v9, v33, v35
	v_dual_mul_f32 v2, v30, v2 :: v_dual_mul_f32 v11, v39, v37
	v_dual_mul_f32 v10, v32, v35 :: v_dual_mul_f32 v15, v38, v37
	s_delay_alu instid0(VALU_DEP_3) | instskip(NEXT) | instid1(VALU_DEP_3)
	v_fma_f32 v8, v30, v1, -v8
	v_dual_fmac_f32 v2, v31, v1 :: v_dual_mul_f32 v1, v41, v7
	v_fma_f32 v9, v32, v34, -v9
	s_delay_alu instid0(VALU_DEP_4) | instskip(NEXT) | instid1(VALU_DEP_4)
	v_dual_fmac_f32 v10, v33, v34 :: v_dual_mul_f32 v7, v40, v7
	v_add_f32_e32 v8, 0, v8
	s_delay_alu instid0(VALU_DEP_4) | instskip(SKIP_1) | instid1(VALU_DEP_3)
	v_dual_add_f32 v2, 0, v2 :: v_dual_fmac_f32 v15, v39, v36
	v_fma_f32 v11, v38, v36, -v11
	v_dual_fmac_f32 v7, v41, v6 :: v_dual_add_f32 v8, v8, v9
	s_delay_alu instid0(VALU_DEP_3) | instskip(SKIP_1) | instid1(VALU_DEP_3)
	v_add_f32_e32 v2, v2, v10
	v_fma_f32 v1, v40, v6, -v1
	v_add_f32_e32 v6, v8, v11
	s_delay_alu instid0(VALU_DEP_3) | instskip(NEXT) | instid1(VALU_DEP_2)
	v_add_f32_e32 v2, v2, v15
	v_add_f32_e32 v1, v6, v1
	s_delay_alu instid0(VALU_DEP_2)
	v_add_f32_e32 v2, v2, v7
	ds_store_b64 v29, v[1:2]
	s_waitcnt lgkmcnt(0)
	s_barrier
	buffer_gl0_inv
	s_and_saveexec_b32 s6, s5
	s_cbranch_execz .LBB12_87
; %bb.86:
	v_lshlrev_b32_e32 v1, 3, v28
	ds_load_2addr_b64 v[6:9], v1 offset1:7
	ds_load_2addr_b64 v[30:33], v1 offset0:1 offset1:2
	ds_load_2addr_b64 v[34:37], v1 offset0:3 offset1:4
	ds_load_2addr_b64 v[38:41], v1 offset0:5 offset1:6
	s_waitcnt lgkmcnt(2)
	v_dual_add_f32 v2, v31, v7 :: v_dual_add_f32 v1, v30, v6
	s_delay_alu instid0(VALU_DEP_1) | instskip(SKIP_1) | instid1(VALU_DEP_1)
	v_dual_add_f32 v2, v2, v33 :: v_dual_add_f32 v1, v1, v32
	s_waitcnt lgkmcnt(1)
	v_dual_add_f32 v2, v2, v35 :: v_dual_add_f32 v1, v1, v34
	s_delay_alu instid0(VALU_DEP_1) | instskip(SKIP_1) | instid1(VALU_DEP_1)
	v_dual_add_f32 v2, v2, v37 :: v_dual_add_f32 v1, v1, v36
	s_waitcnt lgkmcnt(0)
	v_dual_add_f32 v2, v2, v39 :: v_dual_add_f32 v1, v1, v38
	s_delay_alu instid0(VALU_DEP_1) | instskip(NEXT) | instid1(VALU_DEP_1)
	v_dual_add_f32 v2, v2, v41 :: v_dual_add_f32 v1, v1, v40
	v_dual_add_f32 v19, v2, v9 :: v_dual_add_f32 v18, v1, v8
.LBB12_87:
	s_or_b32 exec_lo, exec_lo, s6
	s_lshl_b64 s[6:7], s[18:19], 3
	v_cmp_ne_u32_e32 vcc_lo, 1, v12
	v_sub_co_u32 v24, s6, v13, s6
	s_delay_alu instid0(VALU_DEP_1)
	v_subrev_co_ci_u32_e64 v25, s6, s7, v14, s6
	s_barrier
	buffer_gl0_inv
	s_cbranch_vccnz .LBB12_104
; %bb.88:
	v_mad_u64_u32 v[1:2], null, 0xc0, s20, v[24:25]
	s_lshl_b64 s[6:7], s[20:21], 6
	s_delay_alu instid0(VALU_DEP_1) | instskip(SKIP_2) | instid1(VALU_DEP_2)
	v_mad_u64_u32 v[6:7], null, 0xc0, s21, v[2:3]
	v_add_co_u32 v7, vcc_lo, v24, s6
	v_add_co_ci_u32_e32 v8, vcc_lo, s7, v25, vcc_lo
	v_add_co_u32 v9, vcc_lo, v7, s6
	s_delay_alu instid0(VALU_DEP_2)
	v_add_co_ci_u32_e32 v10, vcc_lo, s7, v8, vcc_lo
	v_mov_b32_e32 v2, v6
	s_clause 0x3
	global_load_b64 v[12:13], v[24:25], off
	global_load_b64 v[14:15], v[7:8], off
	;; [unrolled: 1-line block ×4, first 2 shown]
	v_mad_u32_u24 v6, v5, 33, v0
	v_add_nc_u32_e32 v7, 8, v5
	v_add_nc_u32_e32 v8, 16, v5
	;; [unrolled: 1-line block ×3, first 2 shown]
	s_delay_alu instid0(VALU_DEP_4)
	v_lshlrev_b32_e32 v9, 3, v6
	v_add_nc_u32_e32 v1, 0x108, v6
	v_add_nc_u32_e32 v2, 0x210, v6
	;; [unrolled: 1-line block ×3, first 2 shown]
	s_waitcnt vmcnt(3)
	ds_store_b64 v9, v[12:13]
	s_waitcnt vmcnt(2)
	ds_store_b64 v9, v[14:15] offset:2112
	s_waitcnt vmcnt(1)
	ds_store_b64 v9, v[30:31] offset:4224
	;; [unrolled: 2-line block ×3, first 2 shown]
	s_cbranch_execz .LBB12_105
	s_branch .LBB12_122
.LBB12_89:
	s_mov_b32 s9, exec_lo
	v_cmpx_eq_u32_e64 v6, v0
	s_cbranch_execz .LBB12_91
; %bb.90:
	v_mul_u32_u24_e32 v1, 34, v0
	s_delay_alu instid0(VALU_DEP_1)
	v_dual_mov_b32 v2, 0 :: v_dual_lshlrev_b32 v1, 3, v1
	ds_store_b32 v1, v2 offset:4
.LBB12_91:
	s_or_b32 exec_lo, exec_lo, s9
	s_and_not1_saveexec_b32 s5, s5
	s_cbranch_execz .LBB12_78
.LBB12_92:
	ds_load_b64 v[1:2], v11
	s_waitcnt lgkmcnt(0)
	v_xor_b32_e32 v2, 0x80000000, v2
	ds_store_b64 v4, v[1:2]
	s_or_b32 exec_lo, exec_lo, s5
	s_and_saveexec_b32 s5, s6
	s_delay_alu instid0(SALU_CYCLE_1)
	s_xor_b32 s5, exec_lo, s5
	s_cbranch_execz .LBB12_79
.LBB12_93:
	s_mov_b32 s6, exec_lo
	v_cmpx_eq_u32_e64 v7, v0
	s_cbranch_execz .LBB12_95
; %bb.94:
	v_mul_u32_u24_e32 v1, 34, v0
	s_delay_alu instid0(VALU_DEP_1)
	v_dual_mov_b32 v2, 0 :: v_dual_lshlrev_b32 v1, 3, v1
	ds_store_b32 v1, v2 offset:4
.LBB12_95:
	s_or_b32 exec_lo, exec_lo, s6
	s_and_not1_saveexec_b32 s5, s5
	s_cbranch_execz .LBB12_80
.LBB12_96:
	ds_load_b64 v[1:2], v9
	s_waitcnt lgkmcnt(0)
	v_xor_b32_e32 v2, 0x80000000, v2
	ds_store_b64 v4, v[1:2] offset:8
	s_or_b32 exec_lo, exec_lo, s5
	s_and_saveexec_b32 s5, s7
	s_delay_alu instid0(SALU_CYCLE_1)
	s_xor_b32 s5, exec_lo, s5
	s_cbranch_execz .LBB12_81
.LBB12_97:
	s_mov_b32 s6, exec_lo
	v_cmpx_eq_u32_e64 v8, v0
	s_cbranch_execz .LBB12_99
; %bb.98:
	v_mul_u32_u24_e32 v1, 34, v0
	s_delay_alu instid0(VALU_DEP_1)
	v_dual_mov_b32 v2, 0 :: v_dual_lshlrev_b32 v1, 3, v1
	ds_store_b32 v1, v2 offset:4
.LBB12_99:
	s_or_b32 exec_lo, exec_lo, s6
	s_and_not1_saveexec_b32 s5, s5
	s_cbranch_execz .LBB12_82
.LBB12_100:
	ds_load_b64 v[1:2], v9 offset:264
	s_waitcnt lgkmcnt(0)
	v_xor_b32_e32 v2, 0x80000000, v2
	ds_store_b64 v4, v[1:2] offset:16
	s_or_b32 exec_lo, exec_lo, s5
	s_and_saveexec_b32 s5, s8
	s_delay_alu instid0(SALU_CYCLE_1)
	s_xor_b32 s5, exec_lo, s5
	s_cbranch_execz .LBB12_83
.LBB12_101:
	s_mov_b32 s6, exec_lo
	v_cmpx_eq_u32_e64 v10, v0
	s_cbranch_execz .LBB12_103
; %bb.102:
	v_mul_u32_u24_e32 v1, 34, v0
	s_delay_alu instid0(VALU_DEP_1)
	v_dual_mov_b32 v2, 0 :: v_dual_lshlrev_b32 v1, 3, v1
	ds_store_b32 v1, v2 offset:4
.LBB12_103:
	s_or_b32 exec_lo, exec_lo, s6
	s_and_not1_saveexec_b32 s5, s5
	s_cbranch_execnz .LBB12_84
	s_branch .LBB12_85
.LBB12_104:
                                        ; implicit-def: $vgpr6
                                        ; implicit-def: $vgpr7
                                        ; implicit-def: $vgpr1
                                        ; implicit-def: $vgpr8
                                        ; implicit-def: $vgpr2
                                        ; implicit-def: $vgpr10
                                        ; implicit-def: $vgpr11
.LBB12_105:
	v_lshlrev_b32_e32 v9, 3, v0
	s_ashr_i32 s13, s12, 31
	v_or_b32_e32 v6, 32, v0
	s_lshl_b64 s[8:9], s[12:13], 3
	v_cmp_le_i32_e64 s6, s12, v5
	v_sub_co_u32 v1, vcc_lo, v24, v9
	v_subrev_co_ci_u32_e32 v2, vcc_lo, 0, v25, vcc_lo
	s_delay_alu instid0(VALU_DEP_2) | instskip(NEXT) | instid1(VALU_DEP_2)
	v_add_co_u32 v1, vcc_lo, v1, s8
	v_add_co_ci_u32_e32 v2, vcc_lo, s9, v2, vcc_lo
	s_delay_alu instid0(VALU_DEP_2) | instskip(NEXT) | instid1(VALU_DEP_2)
	v_add_co_u32 v1, vcc_lo, 0xfffffef8, v1
	v_add_co_ci_u32_e32 v2, vcc_lo, -1, v2, vcc_lo
	v_cmp_gt_i32_e32 vcc_lo, s12, v6
	v_mad_u32_u24 v6, v5, 33, v0
	s_delay_alu instid0(VALU_DEP_3) | instskip(NEXT) | instid1(VALU_DEP_2)
	v_dual_cndmask_b32 v2, v2, v25 :: v_dual_cndmask_b32 v1, v1, v24
	v_lshlrev_b32_e32 v12, 3, v6
	s_and_saveexec_b32 s7, s6
	s_delay_alu instid0(SALU_CYCLE_1)
	s_xor_b32 s6, exec_lo, s7
	s_cbranch_execz .LBB12_107
; %bb.106:
	v_mov_b32_e32 v7, 0
	s_delay_alu instid0(VALU_DEP_1)
	v_mov_b32_e32 v8, v7
	ds_store_b64 v12, v[7:8]
.LBB12_107:
	s_and_not1_saveexec_b32 s6, s6
	s_cbranch_execz .LBB12_109
; %bb.108:
	global_load_b64 v[7:8], v[1:2], off
	s_waitcnt vmcnt(0)
	ds_store_b64 v12, v[7:8]
.LBB12_109:
	s_or_b32 exec_lo, exec_lo, s6
	v_add_nc_u32_e32 v7, 8, v5
	s_delay_alu instid0(VALU_DEP_1) | instskip(NEXT) | instid1(VALU_DEP_1)
	v_cmp_le_i32_e64 s6, s12, v7
	s_and_saveexec_b32 s7, s6
	s_delay_alu instid0(SALU_CYCLE_1)
	s_xor_b32 s6, exec_lo, s7
	s_cbranch_execz .LBB12_111
; %bb.110:
	v_mul_u32_u24_e32 v8, 33, v7
	v_mov_b32_e32 v10, 0
	s_delay_alu instid0(VALU_DEP_2) | instskip(NEXT) | instid1(VALU_DEP_2)
	v_add_lshl_u32 v8, v8, v0, 3
	v_mov_b32_e32 v11, v10
	ds_store_b64 v8, v[10:11]
.LBB12_111:
	s_and_not1_saveexec_b32 s7, s6
	s_cbranch_execz .LBB12_113
; %bb.112:
	s_lshl_b64 s[18:19], s[20:21], 6
	s_delay_alu instid0(SALU_CYCLE_1) | instskip(NEXT) | instid1(VALU_DEP_1)
	v_add_co_u32 v10, s6, v1, s18
	v_add_co_ci_u32_e64 v11, s6, s19, v2, s6
	global_load_b64 v[10:11], v[10:11], off
	s_waitcnt vmcnt(0)
	ds_store_b64 v12, v[10:11] offset:2112
.LBB12_113:
	s_or_b32 exec_lo, exec_lo, s7
	v_add_nc_u32_e32 v8, 16, v5
	s_delay_alu instid0(VALU_DEP_1) | instskip(NEXT) | instid1(VALU_DEP_1)
	v_cmp_le_i32_e64 s6, s12, v8
	s_and_saveexec_b32 s7, s6
	s_delay_alu instid0(SALU_CYCLE_1)
	s_xor_b32 s6, exec_lo, s7
	s_cbranch_execz .LBB12_115
; %bb.114:
	v_mul_u32_u24_e32 v11, 33, v8
	v_mov_b32_e32 v10, 0
	s_delay_alu instid0(VALU_DEP_2) | instskip(NEXT) | instid1(VALU_DEP_2)
	v_add_lshl_u32 v0, v11, v0, 3
	v_mov_b32_e32 v11, v10
	ds_store_b64 v0, v[10:11]
.LBB12_115:
	s_and_not1_saveexec_b32 s7, s6
	s_cbranch_execz .LBB12_117
; %bb.116:
	s_lshl_b64 s[18:19], s[20:21], 7
	s_delay_alu instid0(SALU_CYCLE_1) | instskip(NEXT) | instid1(VALU_DEP_1)
	v_add_co_u32 v10, s6, v1, s18
	v_add_co_ci_u32_e64 v11, s6, s19, v2, s6
	global_load_b64 v[10:11], v[10:11], off
	s_waitcnt vmcnt(0)
	ds_store_b64 v12, v[10:11] offset:4224
.LBB12_117:
	s_or_b32 exec_lo, exec_lo, s7
	v_add_nc_u32_e32 v10, 24, v5
                                        ; implicit-def: $vgpr11
	s_delay_alu instid0(VALU_DEP_1) | instskip(NEXT) | instid1(VALU_DEP_1)
	v_cmp_le_i32_e64 s6, s12, v10
	s_and_saveexec_b32 s7, s6
	s_delay_alu instid0(SALU_CYCLE_1)
	s_xor_b32 s6, exec_lo, s7
	s_cbranch_execz .LBB12_119
; %bb.118:
	v_mov_b32_e32 v13, 0
	s_delay_alu instid0(VALU_DEP_1)
	v_dual_mov_b32 v14, v13 :: v_dual_add_nc_u32 v11, 0x318, v6
	ds_store_b64 v12, v[13:14] offset:6336
                                        ; implicit-def: $vgpr12
.LBB12_119:
	s_and_not1_saveexec_b32 s6, s6
	s_cbranch_execz .LBB12_121
; %bb.120:
	v_mad_u64_u32 v[13:14], null, 0xc0, s20, v[1:2]
	s_delay_alu instid0(VALU_DEP_1) | instskip(NEXT) | instid1(VALU_DEP_1)
	v_dual_mov_b32 v0, v14 :: v_dual_add_nc_u32 v11, 0x318, v6
	v_mad_u64_u32 v[14:15], null, 0xc0, s21, v[0:1]
	global_load_b64 v[13:14], v[13:14], off
	s_waitcnt vmcnt(0)
	ds_store_b64 v12, v[13:14] offset:6336
.LBB12_121:
	s_or_b32 exec_lo, exec_lo, s6
	v_add_co_u32 v0, s6, v1, v9
	s_delay_alu instid0(VALU_DEP_1) | instskip(NEXT) | instid1(VALU_DEP_2)
	v_add_co_ci_u32_e64 v1, s6, 0, v2, s6
	v_sub_co_u32 v0, s6, v0, s8
	s_delay_alu instid0(VALU_DEP_1) | instskip(NEXT) | instid1(VALU_DEP_2)
	v_subrev_co_ci_u32_e64 v1, s6, s9, v1, s6
	v_add_co_u32 v0, s6, 0x108, v0
	s_delay_alu instid0(VALU_DEP_1) | instskip(NEXT) | instid1(VALU_DEP_2)
	v_add_co_ci_u32_e64 v2, s6, 0, v1, s6
	v_dual_cndmask_b32 v24, v0, v24 :: v_dual_add_nc_u32 v1, 0x108, v6
	s_delay_alu instid0(VALU_DEP_2)
	v_dual_cndmask_b32 v25, v2, v25 :: v_dual_add_nc_u32 v2, 0x210, v6
.LBB12_122:
	v_lshlrev_b32_e32 v0, 3, v6
	v_lshlrev_b32_e32 v5, 3, v5
	s_delay_alu instid0(VALU_DEP_4)
	v_lshlrev_b32_e32 v1, 3, v1
	v_lshlrev_b32_e32 v6, 3, v7
	v_lshlrev_b32_e32 v2, 3, v2
	v_lshlrev_b32_e32 v7, 3, v8
	v_lshlrev_b32_e32 v8, 3, v11
	v_lshlrev_b32_e32 v9, 3, v10
	s_waitcnt lgkmcnt(0)
	s_barrier
	buffer_gl0_inv
	ds_load_b64 v[30:31], v0
	ds_load_b64 v[32:33], v5 offset:9088
	ds_load_b64 v[34:35], v1
	ds_load_b64 v[36:37], v6 offset:9088
	;; [unrolled: 2-line block ×4, first 2 shown]
	ds_load_b128 v[8:11], v3 offset:256
	ds_load_b128 v[0:3], v3 offset:272
	ds_load_2addr_b64 v[12:15], v4 offset1:1
	ds_load_2addr_b64 v[4:7], v4 offset0:2 offset1:3
	s_waitcnt lgkmcnt(0)
	s_barrier
	buffer_gl0_inv
	v_mul_f32_e32 v46, v33, v31
	v_mul_f32_e32 v31, v32, v31
	v_mul_f32_e32 v47, v37, v35
	v_mul_f32_e32 v48, v41, v39
	s_delay_alu instid0(VALU_DEP_4) | instskip(NEXT) | instid1(VALU_DEP_4)
	v_fma_f32 v32, v32, v30, -v46
	v_dual_fmac_f32 v31, v33, v30 :: v_dual_mul_f32 v30, v40, v39
	v_mul_f32_e32 v35, v36, v35
	v_fma_f32 v33, v36, v34, -v47
	s_delay_alu instid0(VALU_DEP_4) | instskip(NEXT) | instid1(VALU_DEP_4)
	v_dual_add_f32 v32, 0, v32 :: v_dual_mul_f32 v49, v45, v43
	v_fmac_f32_e32 v30, v41, v38
	s_delay_alu instid0(VALU_DEP_4) | instskip(SKIP_4) | instid1(VALU_DEP_4)
	v_dual_fmac_f32 v35, v37, v34 :: v_dual_mul_f32 v34, v44, v43
	v_add_f32_e32 v31, 0, v31
	v_fma_f32 v36, v40, v38, -v48
	v_add_f32_e32 v32, v32, v33
	v_fma_f32 v33, v44, v42, -v49
	v_dual_fmac_f32 v34, v45, v42 :: v_dual_add_f32 v31, v31, v35
	s_delay_alu instid0(VALU_DEP_1) | instskip(NEXT) | instid1(VALU_DEP_1)
	v_dual_add_f32 v32, v32, v36 :: v_dual_add_f32 v31, v31, v30
	v_dual_add_f32 v30, v32, v33 :: v_dual_add_f32 v31, v31, v34
	ds_store_b64 v29, v[30:31]
	s_waitcnt lgkmcnt(0)
	s_barrier
	buffer_gl0_inv
	s_and_saveexec_b32 s6, s5
	s_cbranch_execz .LBB12_124
; %bb.123:
	v_lshlrev_b32_e32 v42, 3, v28
	ds_load_2addr_b64 v[30:33], v42 offset1:1
	ds_load_2addr_b64 v[34:37], v42 offset0:2 offset1:3
	s_waitcnt lgkmcnt(1)
	v_dual_add_f32 v19, v19, v31 :: v_dual_add_f32 v18, v18, v30
	ds_load_2addr_b64 v[38:41], v42 offset0:4 offset1:5
	v_dual_add_f32 v19, v19, v33 :: v_dual_add_f32 v18, v18, v32
	ds_load_2addr_b64 v[30:33], v42 offset0:6 offset1:7
	s_waitcnt lgkmcnt(2)
	v_dual_add_f32 v19, v19, v35 :: v_dual_add_f32 v18, v18, v34
	s_delay_alu instid0(VALU_DEP_1) | instskip(SKIP_1) | instid1(VALU_DEP_1)
	v_dual_add_f32 v19, v19, v37 :: v_dual_add_f32 v18, v18, v36
	s_waitcnt lgkmcnt(1)
	v_dual_add_f32 v19, v19, v39 :: v_dual_add_f32 v18, v18, v38
	s_delay_alu instid0(VALU_DEP_1) | instskip(SKIP_1) | instid1(VALU_DEP_1)
	v_dual_add_f32 v19, v19, v41 :: v_dual_add_f32 v18, v18, v40
	s_waitcnt lgkmcnt(0)
	v_dual_add_f32 v19, v19, v31 :: v_dual_add_f32 v18, v18, v30
	s_delay_alu instid0(VALU_DEP_1)
	v_dual_add_f32 v19, v19, v33 :: v_dual_add_f32 v18, v18, v32
.LBB12_124:
	s_or_b32 exec_lo, exec_lo, s6
	v_dual_mul_f32 v30, v13, v9 :: v_dual_mul_f32 v31, v15, v11
	v_dual_mul_f32 v15, v15, v10 :: v_dual_mul_f32 v32, v5, v1
	s_delay_alu instid0(VALU_DEP_2) | instskip(SKIP_1) | instid1(VALU_DEP_4)
	v_fmac_f32_e32 v30, v12, v8
	v_mul_f32_e32 v13, v13, v8
	v_fmac_f32_e32 v31, v14, v10
	s_delay_alu instid0(VALU_DEP_4)
	v_fma_f32 v11, v14, v11, -v15
	s_barrier
	v_add_f32_e32 v10, 0, v30
	v_fma_f32 v8, v12, v9, -v13
	v_mul_f32_e32 v9, v7, v3
	v_dual_mul_f32 v7, v7, v2 :: v_dual_fmac_f32 v32, v4, v0
	buffer_gl0_inv
	v_add_f32_e32 v8, 0, v8
	v_dual_mul_f32 v5, v5, v0 :: v_dual_add_f32 v0, v10, v31
	v_fmac_f32_e32 v9, v6, v2
	v_fma_f32 v2, v6, v3, -v7
	s_delay_alu instid0(VALU_DEP_3) | instskip(SKIP_1) | instid1(VALU_DEP_1)
	v_fma_f32 v1, v4, v1, -v5
	v_add_f32_e32 v4, v8, v11
	v_add_f32_e32 v1, v4, v1
	s_delay_alu instid0(VALU_DEP_1) | instskip(NEXT) | instid1(VALU_DEP_1)
	v_dual_add_f32 v0, v0, v32 :: v_dual_add_f32 v1, v1, v2
	v_add_f32_e32 v0, v0, v9
	ds_store_b64 v29, v[0:1]
	s_waitcnt lgkmcnt(0)
	s_barrier
	buffer_gl0_inv
	s_and_saveexec_b32 s5, s4
	s_cbranch_execz .LBB12_126
; %bb.125:
	v_lshlrev_b32_e32 v12, 3, v28
	ds_load_2addr_b64 v[0:3], v12 offset1:1
	ds_load_2addr_b64 v[4:7], v12 offset0:2 offset1:3
	s_waitcnt lgkmcnt(1)
	v_add_f32_e32 v1, v19, v1
	ds_load_2addr_b64 v[8:11], v12 offset0:4 offset1:5
	v_add_f32_e32 v14, v1, v3
	s_waitcnt lgkmcnt(1)
	s_delay_alu instid0(VALU_DEP_1) | instskip(NEXT) | instid1(VALU_DEP_1)
	v_add_f32_e32 v5, v14, v5
	v_dual_add_f32 v0, v18, v0 :: v_dual_add_f32 v5, v5, v7
	s_delay_alu instid0(VALU_DEP_1) | instskip(SKIP_3) | instid1(VALU_DEP_1)
	v_add_f32_e32 v13, v0, v2
	ds_load_2addr_b64 v[0:3], v12 offset0:6 offset1:7
	v_add_f32_e32 v4, v13, v4
	s_waitcnt lgkmcnt(1)
	v_dual_add_f32 v5, v5, v9 :: v_dual_add_f32 v4, v4, v6
	s_delay_alu instid0(VALU_DEP_1) | instskip(SKIP_1) | instid1(VALU_DEP_1)
	v_dual_add_f32 v5, v5, v11 :: v_dual_add_f32 v4, v4, v8
	s_waitcnt lgkmcnt(0)
	v_dual_add_f32 v4, v4, v10 :: v_dual_add_f32 v1, v5, v1
	s_delay_alu instid0(VALU_DEP_1) | instskip(NEXT) | instid1(VALU_DEP_1)
	v_dual_add_f32 v0, v4, v0 :: v_dual_add_f32 v19, v1, v3
	v_add_f32_e32 v18, v0, v2
.LBB12_126:
	s_or_b32 exec_lo, exec_lo, s5
	s_load_b64 s[0:1], s[0:1], 0x68
	s_mul_hi_u32 s4, s30, s15
	s_mul_i32 s25, s25, s15
	s_mul_i32 s5, s30, s15
	s_add_i32 s4, s4, s25
	s_mul_hi_u32 s6, s5, s24
	s_mul_i32 s7, s4, s24
	s_mul_i32 s4, s5, s24
	s_add_i32 s5, s6, s7
	s_mul_i32 s6, s14, s30
	s_lshl_b64 s[4:5], s[4:5], 3
	v_cmp_le_i32_e32 vcc_lo, s12, v26
	v_lshlrev_b32_e32 v73, 3, v26
	s_waitcnt lgkmcnt(0)
	s_barrier
	buffer_gl0_inv
	s_add_u32 s4, s0, s4
	s_addc_u32 s5, s1, s5
	s_ashr_i32 s7, s6, 31
	s_delay_alu instid0(SALU_CYCLE_1) | instskip(NEXT) | instid1(SALU_CYCLE_1)
	s_lshl_b64 s[0:1], s[6:7], 3
	s_add_u32 s6, s4, s0
	s_addc_u32 s7, s5, s1
	s_and_b32 vcc_lo, s22, vcc_lo
	s_cmp_lt_i32 s14, 1
	s_cbranch_scc1 .LBB12_133
; %bb.127:
	v_lshlrev_b32_e32 v4, 2, v72
	s_mul_i32 s1, s10, s29
	s_mul_hi_u32 s5, s10, s28
	s_mul_i32 s11, s11, s28
	s_mul_i32 s4, s10, s28
	v_mad_u64_u32 v[0:1], null, v4, s20, 0
	s_ashr_i32 s13, s12, 31
	v_and_b32_e32 v6, 15, v26
	s_lshl_b64 s[8:9], s[12:13], 3
	v_lshrrev_b32_e32 v7, 4, v27
	v_add_nc_u32_e32 v76, 0x2180, v73
	v_lshl_add_u32 v81, v72, 5, 0x2180
	v_mad_u64_u32 v[2:3], null, v4, s21, v[1:2]
	v_sub_co_u32 v3, s0, v24, s16
	s_delay_alu instid0(VALU_DEP_1) | instskip(SKIP_2) | instid1(VALU_DEP_4)
	v_subrev_co_ci_u32_e64 v4, s0, s17, v25, s0
	s_add_i32 s0, s5, s1
	v_mad_u32_u24 v82, 0x860, v72, v73
	v_mov_b32_e32 v1, v2
	s_add_i32 s5, s0, s11
	v_sub_co_u32 v2, s0, v3, v22
	s_delay_alu instid0(VALU_DEP_1) | instskip(NEXT) | instid1(VALU_DEP_3)
	v_sub_co_ci_u32_e64 v3, s0, v4, v23, s0
	v_lshlrev_b64 v[0:1], 3, v[0:1]
	s_lshl_b64 s[4:5], s[4:5], 3
	s_mul_i32 s1, s21, 0x68
	s_mov_b32 s10, 0
	v_add_nc_u32_e32 v77, 0x2380, v73
	s_delay_alu instid0(VALU_DEP_2) | instskip(NEXT) | instid1(VALU_DEP_1)
	v_add_co_u32 v0, s0, v2, v0
	v_add_co_ci_u32_e64 v1, s0, v3, v1, s0
	v_sub_co_u32 v74, s0, v20, s4
	s_delay_alu instid0(VALU_DEP_1) | instskip(NEXT) | instid1(VALU_DEP_4)
	v_subrev_co_ci_u32_e64 v75, s0, s5, v21, s0
	v_add_co_u32 v2, s0, v0, s8
	s_delay_alu instid0(VALU_DEP_1) | instskip(SKIP_1) | instid1(VALU_DEP_1)
	v_add_co_ci_u32_e64 v3, s0, s9, v1, s0
	v_add_co_u32 v0, s0, v0, v73
	v_add_co_ci_u32_e64 v1, s0, 0, v1, s0
	s_delay_alu instid0(VALU_DEP_4) | instskip(NEXT) | instid1(VALU_DEP_1)
	v_add_co_u32 v2, s0, 0xfffffef8, v2
	v_add_co_ci_u32_e64 v3, s0, -1, v3, s0
	s_delay_alu instid0(VALU_DEP_4) | instskip(NEXT) | instid1(VALU_DEP_1)
	v_add_co_u32 v0, s0, 0xffffff00, v0
	v_add_co_ci_u32_e64 v4, s0, -1, v1, s0
	v_dual_mov_b32 v1, 0 :: v_dual_and_b32 v8, 48, v26
	v_cmp_gt_u32_e64 s0, 64, v27
	s_delay_alu instid0(VALU_DEP_3)
	v_cndmask_b32_e32 v5, v4, v3, vcc_lo
	v_cndmask_b32_e32 v4, v0, v2, vcc_lo
	v_or_b32_e32 v2, 0x78, v73
	v_lshlrev_b32_e32 v0, 3, v8
	v_lshlrev_b32_e32 v3, 5, v7
	v_or_b32_e32 v84, v8, v6
	s_mul_hi_u32 s8, s20, 0x68
	v_mad_u32_u24 v79, 0x218, v6, v2
	v_mad_u32_u24 v78, 0x218, v6, v0
	v_lshlrev_b32_e32 v0, 3, v7
	v_mad_u32_u24 v80, 0x218, v6, v3
	s_lshl_b64 s[4:5], s[20:21], 3
	s_add_i32 s8, s8, s1
	s_mul_i32 s9, s20, 0x68
	v_mad_u32_u24 v83, 0x218, v6, v0
	s_branch .LBB12_129
.LBB12_128:                             ;   in Loop: Header=BB12_129 Depth=1
	s_or_b32 exec_lo, exec_lo, s11
	v_mul_f32_e32 v0, v3, v11
	v_dual_mul_f32 v11, v2, v11 :: v_dual_mul_f32 v86, v9, v29
	v_mul_f32_e32 v85, v7, v27
	v_mul_f32_e32 v27, v6, v27
	s_delay_alu instid0(VALU_DEP_4)
	v_fma_f32 v0, v2, v10, -v0
	v_mul_f32_e32 v2, v8, v29
	v_mul_f32_e32 v29, v5, v25
	;; [unrolled: 1-line block ×3, first 2 shown]
	v_fma_f32 v6, v6, v26, -v85
	v_dual_add_f32 v0, v18, v0 :: v_dual_fmac_f32 v11, v3, v10
	v_mul_f32_e32 v18, v23, v41
	v_mul_f32_e32 v41, v22, v41
	v_fma_f32 v3, v8, v28, -v86
	s_delay_alu instid0(VALU_DEP_4) | instskip(SKIP_3) | instid1(VALU_DEP_4)
	v_add_f32_e32 v0, v0, v6
	v_dual_mul_f32 v6, v21, v45 :: v_dual_fmac_f32 v27, v7, v26
	v_dual_add_f32 v7, v19, v11 :: v_dual_fmac_f32 v2, v9, v28
	v_fma_f32 v4, v4, v24, -v29
	v_add_f32_e32 v0, v0, v3
	v_fma_f32 v8, v22, v40, -v18
	s_delay_alu instid0(VALU_DEP_4)
	v_add_f32_e32 v7, v7, v27
	v_mul_f32_e32 v3, v20, v45
	v_fmac_f32_e32 v41, v23, v40
	v_add_f32_e32 v0, v0, v4
	v_dual_mul_f32 v4, v15, v43 :: v_dual_fmac_f32 v25, v5, v24
	v_add_f32_e32 v2, v7, v2
	v_fma_f32 v5, v20, v44, -v6
	s_delay_alu instid0(VALU_DEP_4) | instskip(SKIP_1) | instid1(VALU_DEP_4)
	v_add_f32_e32 v0, v0, v8
	v_mul_f32_e32 v6, v13, v39
	v_dual_fmac_f32 v3, v21, v44 :: v_dual_add_f32 v2, v2, v25
	v_fma_f32 v4, v14, v42, -v4
	s_delay_alu instid0(VALU_DEP_4) | instskip(NEXT) | instid1(VALU_DEP_4)
	v_dual_add_f32 v0, v0, v5 :: v_dual_mul_f32 v5, v14, v43
	v_fma_f32 v6, v12, v38, -v6
	s_delay_alu instid0(VALU_DEP_4)
	v_add_f32_e32 v2, v2, v41
	s_add_i32 s14, s14, -1
	s_add_i32 s10, s10, 64
	v_fmac_f32_e32 v5, v15, v42
	s_cmp_eq_u32 s14, 0
	v_add_f32_e32 v2, v2, v3
	v_mul_f32_e32 v3, v12, v39
	v_add_f32_e32 v0, v0, v4
	v_mul_f32_e32 v4, v37, v57
	s_waitcnt_vscnt null, 0x0
	s_delay_alu instid0(VALU_DEP_3) | instskip(SKIP_4) | instid1(VALU_DEP_3)
	v_dual_add_f32 v2, v2, v5 :: v_dual_fmac_f32 v3, v13, v38
	v_mul_f32_e32 v5, v36, v57
	v_add_f32_e32 v0, v0, v6
	v_mul_f32_e32 v6, v35, v63
	s_barrier
	v_dual_add_f32 v2, v2, v3 :: v_dual_fmac_f32 v5, v37, v56
	v_mul_f32_e32 v3, v34, v63
	v_fma_f32 v4, v36, v56, -v4
	v_mul_f32_e32 v7, v48, v67
	buffer_gl0_inv
	v_dual_add_f32 v2, v2, v5 :: v_dual_fmac_f32 v3, v35, v62
	v_mul_f32_e32 v5, v32, v61
	v_add_f32_e32 v0, v0, v4
	v_fma_f32 v4, v34, v62, -v6
	s_delay_alu instid0(VALU_DEP_4) | instskip(NEXT) | instid1(VALU_DEP_4)
	v_dual_fmac_f32 v7, v49, v66 :: v_dual_add_f32 v2, v2, v3
	v_fmac_f32_e32 v5, v33, v60
	s_delay_alu instid0(VALU_DEP_3) | instskip(NEXT) | instid1(VALU_DEP_2)
	v_dual_mul_f32 v3, v55, v65 :: v_dual_add_f32 v0, v0, v4
	v_add_f32_e32 v2, v2, v5
	v_mul_f32_e32 v5, v54, v65
	v_mul_f32_e32 v6, v33, v61
	s_delay_alu instid0(VALU_DEP_4) | instskip(NEXT) | instid1(VALU_DEP_3)
	v_fma_f32 v3, v54, v64, -v3
	v_fmac_f32_e32 v5, v55, v64
	s_delay_alu instid0(VALU_DEP_3) | instskip(SKIP_1) | instid1(VALU_DEP_2)
	v_fma_f32 v4, v32, v60, -v6
	v_mul_f32_e32 v6, v31, v59
	v_add_f32_e32 v0, v0, v4
	s_delay_alu instid0(VALU_DEP_2) | instskip(SKIP_1) | instid1(VALU_DEP_2)
	v_fma_f32 v4, v30, v58, -v6
	v_mul_f32_e32 v6, v30, v59
	v_add_f32_e32 v0, v0, v4
	v_mul_f32_e32 v4, v53, v71
	s_delay_alu instid0(VALU_DEP_3) | instskip(NEXT) | instid1(VALU_DEP_3)
	v_fmac_f32_e32 v6, v31, v58
	v_add_f32_e32 v0, v0, v3
	s_delay_alu instid0(VALU_DEP_3) | instskip(NEXT) | instid1(VALU_DEP_3)
	v_fma_f32 v3, v52, v70, -v4
	v_add_f32_e32 v2, v2, v6
	v_mul_f32_e32 v4, v52, v71
	v_mul_f32_e32 v6, v51, v69
	s_delay_alu instid0(VALU_DEP_4) | instskip(NEXT) | instid1(VALU_DEP_3)
	v_dual_add_f32 v0, v0, v3 :: v_dual_mul_f32 v3, v50, v69
	v_fmac_f32_e32 v4, v53, v70
	v_add_f32_e32 v2, v2, v5
	s_delay_alu instid0(VALU_DEP_4) | instskip(NEXT) | instid1(VALU_DEP_4)
	v_fma_f32 v5, v50, v68, -v6
	v_dual_mul_f32 v6, v49, v67 :: v_dual_fmac_f32 v3, v51, v68
	s_delay_alu instid0(VALU_DEP_3) | instskip(NEXT) | instid1(VALU_DEP_3)
	v_add_f32_e32 v2, v2, v4
	v_add_f32_e32 v0, v0, v5
	s_delay_alu instid0(VALU_DEP_3) | instskip(NEXT) | instid1(VALU_DEP_3)
	v_fma_f32 v4, v48, v66, -v6
	v_add_f32_e32 v2, v2, v3
	s_delay_alu instid0(VALU_DEP_2) | instskip(SKIP_1) | instid1(VALU_DEP_3)
	v_add_f32_e32 v18, v0, v4
	v_add_co_u32 v4, s1, v46, s9
	v_add_f32_e32 v19, v2, v7
	v_add_co_ci_u32_e64 v5, s1, s8, v47, s1
	s_cbranch_scc1 .LBB12_133
.LBB12_129:                             ; =>This Inner Loop Header: Depth=1
	s_and_saveexec_b32 s11, s3
	s_cbranch_execz .LBB12_131
; %bb.130:                              ;   in Loop: Header=BB12_129 Depth=1
	s_mul_i32 s1, s10, s29
	s_mul_hi_u32 s13, s10, s28
	s_mul_i32 s12, s10, s28
	s_add_i32 s13, s13, s1
	s_delay_alu instid0(SALU_CYCLE_1) | instskip(NEXT) | instid1(SALU_CYCLE_1)
	s_lshl_b64 s[12:13], s[12:13], 3
	v_add_co_u32 v2, s1, v74, s12
	s_delay_alu instid0(VALU_DEP_1)
	v_add_co_ci_u32_e64 v3, s1, s13, v75, s1
	global_load_b64 v[2:3], v[2:3], off
	s_waitcnt vmcnt(0)
	ds_store_b64 v76, v[2:3]
.LBB12_131:                             ;   in Loop: Header=BB12_129 Depth=1
	s_or_b32 exec_lo, exec_lo, s11
	s_waitcnt lgkmcnt(0)
	s_barrier
	buffer_gl0_inv
	global_load_b64 v[2:3], v[4:5], off
	v_add_co_u32 v4, s1, v4, s4
	s_delay_alu instid0(VALU_DEP_1) | instskip(SKIP_2) | instid1(VALU_DEP_1)
	v_add_co_ci_u32_e64 v5, s1, s5, v5, s1
	global_load_b64 v[6:7], v[4:5], off
	v_add_co_u32 v4, s1, v4, s4
	v_add_co_ci_u32_e64 v5, s1, s5, v5, s1
	s_delay_alu instid0(VALU_DEP_2) | instskip(NEXT) | instid1(VALU_DEP_1)
	v_add_co_u32 v12, s1, v4, s4
	v_add_co_ci_u32_e64 v13, s1, s5, v5, s1
	s_clause 0x1
	global_load_b64 v[8:9], v[4:5], off
	global_load_b64 v[4:5], v[12:13], off
	ds_load_b64 v[14:15], v77
	ds_load_b64 v[10:11], v81
	v_add_co_u32 v12, s1, v12, s9
	s_delay_alu instid0(VALU_DEP_1) | instskip(NEXT) | instid1(VALU_DEP_2)
	v_add_co_ci_u32_e64 v13, s1, s8, v13, s1
	v_add_co_u32 v30, s1, v12, s4
	s_delay_alu instid0(VALU_DEP_1) | instskip(NEXT) | instid1(VALU_DEP_2)
	v_add_co_ci_u32_e64 v31, s1, s5, v13, s1
	v_add_co_u32 v32, s1, v30, s4
	s_delay_alu instid0(VALU_DEP_1) | instskip(SKIP_3) | instid1(VALU_DEP_2)
	v_add_co_ci_u32_e64 v33, s1, s5, v31, s1
	s_waitcnt vmcnt(3) lgkmcnt(1)
	v_mul_f32_e32 v20, v3, v15
	v_mul_f32_e32 v0, v3, v14
	v_fmac_f32_e32 v20, v2, v14
	s_delay_alu instid0(VALU_DEP_2)
	v_fma_f32 v21, v2, v15, -v0
	s_waitcnt vmcnt(2)
	v_mul_f32_e32 v0, v7, v14
	v_mul_f32_e32 v22, v7, v15
	ds_store_b64 v82, v[20:21]
	ds_load_b64 v[26:27], v81 offset:8
	v_fma_f32 v23, v6, v15, -v0
	v_fmac_f32_e32 v22, v6, v14
	s_waitcnt vmcnt(1)
	v_mul_f32_e32 v20, v9, v15
	v_mul_f32_e32 v21, v9, v14
	s_waitcnt vmcnt(0)
	v_mul_f32_e32 v34, v5, v15
	v_mul_f32_e32 v0, v5, v14
	ds_store_b64 v82, v[22:23] offset:536
	v_fmac_f32_e32 v20, v8, v14
	v_fma_f32 v21, v8, v15, -v21
	v_fmac_f32_e32 v34, v4, v14
	v_fma_f32 v35, v4, v15, -v0
	ds_load_b64 v[28:29], v81 offset:16
	ds_store_b64 v82, v[20:21] offset:1072
	ds_load_b64 v[24:25], v81 offset:24
	ds_store_b64 v82, v[34:35] offset:1608
	v_add_co_u32 v34, s1, v32, s4
	s_waitcnt lgkmcnt(0)
	s_barrier
	buffer_gl0_inv
	ds_load_2addr_b64 v[85:88], v80 offset1:1
	ds_load_2addr_b64 v[89:92], v80 offset0:2 offset1:3
	s_waitcnt lgkmcnt(0)
	s_barrier
	buffer_gl0_inv
	global_load_b64 v[22:23], v[12:13], off
	v_add_co_ci_u32_e64 v35, s1, s5, v33, s1
	s_clause 0x1
	global_load_b64 v[20:21], v[30:31], off
	global_load_b64 v[14:15], v[32:33], off
	;; [unrolled: 1-line block ×3, first 2 shown]
	ds_load_b64 v[30:31], v77
	ds_load_b64 v[40:41], v81 offset:128
	v_add_co_u32 v32, s1, v34, s9
	s_delay_alu instid0(VALU_DEP_1) | instskip(NEXT) | instid1(VALU_DEP_2)
	v_add_co_ci_u32_e64 v33, s1, s8, v35, s1
	v_add_co_u32 v34, s1, v32, s4
	s_delay_alu instid0(VALU_DEP_1) | instskip(SKIP_1) | instid1(VALU_DEP_3)
	v_add_co_ci_u32_e64 v35, s1, s5, v33, s1
	v_add_f32_e32 v113, 0, v86
	v_add_co_u32 v46, s1, v34, s4
	s_delay_alu instid0(VALU_DEP_1)
	v_add_co_ci_u32_e64 v47, s1, s5, v35, s1
	s_waitcnt vmcnt(3) lgkmcnt(1)
	v_mul_f32_e32 v36, v23, v31
	v_mul_f32_e32 v0, v23, v30
	s_waitcnt vmcnt(2)
	v_mul_f32_e32 v38, v21, v31
	s_waitcnt vmcnt(1)
	v_dual_mul_f32 v39, v21, v30 :: v_dual_mul_f32 v48, v15, v31
	v_mul_f32_e32 v42, v15, v30
	s_waitcnt vmcnt(0)
	v_mul_f32_e32 v50, v13, v31
	v_mul_f32_e32 v43, v13, v30
	v_fmac_f32_e32 v36, v22, v30
	v_fma_f32 v37, v22, v31, -v0
	v_fmac_f32_e32 v38, v20, v30
	v_fma_f32 v39, v20, v31, -v39
	;; [unrolled: 2-line block ×4, first 2 shown]
	ds_store_b64 v82, v[36:37]
	ds_load_b64 v[44:45], v81 offset:136
	ds_store_b64 v82, v[38:39] offset:536
	ds_load_b64 v[42:43], v81 offset:144
	ds_store_b64 v82, v[48:49] offset:1072
	v_add_co_u32 v48, s1, v46, s4
	ds_load_b64 v[38:39], v81 offset:152
	ds_store_b64 v82, v[50:51] offset:1608
	s_waitcnt lgkmcnt(0)
	s_barrier
	buffer_gl0_inv
	ds_load_2addr_b64 v[93:96], v80 offset1:1
	ds_load_2addr_b64 v[97:100], v80 offset0:2 offset1:3
	s_waitcnt lgkmcnt(0)
	s_barrier
	buffer_gl0_inv
	global_load_b64 v[36:37], v[32:33], off
	v_add_co_ci_u32_e64 v49, s1, s5, v47, s1
	global_load_b64 v[34:35], v[34:35], off
	global_load_b64 v[32:33], v[46:47], off
	;; [unrolled: 1-line block ×3, first 2 shown]
	ds_load_b64 v[46:47], v77
	ds_load_b64 v[56:57], v81 offset:256
	v_add_co_u32 v48, s1, v48, s9
	s_delay_alu instid0(VALU_DEP_1) | instskip(NEXT) | instid1(VALU_DEP_2)
	v_add_co_ci_u32_e64 v49, s1, s8, v49, s1
	v_add_co_u32 v50, s1, v48, s4
	s_delay_alu instid0(VALU_DEP_1) | instskip(SKIP_1) | instid1(VALU_DEP_3)
	v_add_co_ci_u32_e64 v51, s1, s5, v49, s1
	v_add_f32_e32 v93, 0, v93
	v_add_co_u32 v64, s1, v50, s4
	s_delay_alu instid0(VALU_DEP_1) | instskip(NEXT) | instid1(VALU_DEP_3)
	v_add_co_ci_u32_e64 v65, s1, s5, v51, s1
	v_dual_add_f32 v93, v93, v95 :: v_dual_add_f32 v94, 0, v94
	s_waitcnt vmcnt(3) lgkmcnt(1)
	v_mul_f32_e32 v52, v37, v47
	v_mul_f32_e32 v0, v37, v46
	s_waitcnt vmcnt(2)
	v_mul_f32_e32 v54, v35, v47
	s_waitcnt vmcnt(1)
	v_dual_mul_f32 v55, v35, v46 :: v_dual_mul_f32 v58, v33, v47
	s_waitcnt vmcnt(0)
	v_dual_mul_f32 v59, v33, v46 :: v_dual_mul_f32 v66, v31, v47
	v_mul_f32_e32 v60, v31, v46
	v_fmac_f32_e32 v52, v36, v46
	v_fma_f32 v53, v36, v47, -v0
	v_fmac_f32_e32 v54, v34, v46
	v_fma_f32 v55, v34, v47, -v55
	;; [unrolled: 2-line block ×4, first 2 shown]
	ds_store_b64 v82, v[52:53]
	ds_load_b64 v[62:63], v81 offset:264
	ds_store_b64 v82, v[54:55] offset:536
	v_add_co_u32 v46, s1, v64, s4
	ds_load_b64 v[60:61], v81 offset:272
	ds_store_b64 v82, v[58:59] offset:1072
	ds_load_b64 v[58:59], v81 offset:280
	ds_store_b64 v82, v[66:67] offset:1608
	s_waitcnt lgkmcnt(0)
	s_barrier
	buffer_gl0_inv
	ds_load_2addr_b64 v[101:104], v80 offset1:1
	ds_load_2addr_b64 v[105:108], v80 offset0:2 offset1:3
	s_waitcnt lgkmcnt(0)
	s_barrier
	buffer_gl0_inv
	global_load_b64 v[54:55], v[48:49], off
	v_add_co_ci_u32_e64 v47, s1, s5, v65, s1
	global_load_b64 v[52:53], v[50:51], off
	global_load_b64 v[50:51], v[64:65], off
	;; [unrolled: 1-line block ×3, first 2 shown]
	ds_load_b64 v[66:67], v77
	ds_load_b64 v[64:65], v81 offset:384
	v_add_f32_e32 v0, 0, v85
	s_delay_alu instid0(VALU_DEP_1) | instskip(NEXT) | instid1(VALU_DEP_1)
	v_add_f32_e32 v0, v0, v87
	v_add_f32_e32 v0, v0, v89
	s_delay_alu instid0(VALU_DEP_1) | instskip(SKIP_2) | instid1(VALU_DEP_2)
	v_add_f32_e32 v89, v0, v91
	v_add_f32_e32 v91, v93, v97
	v_dual_add_f32 v93, 0, v102 :: v_dual_add_f32 v0, v94, v96
	v_add_f32_e32 v91, v91, v99
	s_delay_alu instid0(VALU_DEP_2) | instskip(SKIP_1) | instid1(VALU_DEP_1)
	v_dual_add_f32 v93, v93, v104 :: v_dual_add_f32 v0, v0, v98
	s_waitcnt vmcnt(3) lgkmcnt(1)
	v_dual_add_f32 v93, v93, v106 :: v_dual_mul_f32 v68, v55, v67
	v_mul_f32_e32 v69, v55, v66
	s_waitcnt vmcnt(2)
	v_mul_f32_e32 v85, v53, v67
	s_waitcnt vmcnt(1)
	v_dual_mul_f32 v70, v53, v66 :: v_dual_mul_f32 v109, v51, v67
	v_mul_f32_e32 v71, v51, v66
	s_waitcnt vmcnt(0)
	v_mul_f32_e32 v111, v49, v67
	v_mul_f32_e32 v112, v49, v66
	v_fma_f32 v69, v54, v67, -v69
	v_fmac_f32_e32 v68, v54, v66
	v_fmac_f32_e32 v85, v52, v66
	v_fma_f32 v86, v52, v67, -v70
	v_fmac_f32_e32 v109, v50, v66
	v_fma_f32 v110, v50, v67, -v71
	;; [unrolled: 2-line block ×3, first 2 shown]
	ds_store_b64 v82, v[68:69]
	ds_load_b64 v[70:71], v81 offset:392
	ds_store_b64 v82, v[85:86] offset:536
	ds_load_b64 v[68:69], v81 offset:400
	ds_store_b64 v82, v[109:110] offset:1072
	;; [unrolled: 2-line block ×3, first 2 shown]
	s_waitcnt lgkmcnt(0)
	s_barrier
	buffer_gl0_inv
	ds_load_2addr_b64 v[109:112], v80 offset1:1
	v_add_f32_e32 v85, v113, v88
	s_delay_alu instid0(VALU_DEP_1)
	v_add_f32_e32 v90, v85, v90
	ds_load_2addr_b64 v[85:88], v80 offset0:2 offset1:3
	s_waitcnt lgkmcnt(0)
	s_barrier
	buffer_gl0_inv
	v_add_f32_e32 v90, v90, v92
	v_add_f32_e32 v92, 0, v101
	s_delay_alu instid0(VALU_DEP_1) | instskip(SKIP_1) | instid1(VALU_DEP_2)
	v_add_f32_e32 v92, v92, v103
	v_dual_add_f32 v94, 0, v109 :: v_dual_add_f32 v95, 0, v110
	v_add_f32_e32 v96, v92, v105
	v_add_f32_e32 v92, v0, v100
	s_delay_alu instid0(VALU_DEP_3) | instskip(NEXT) | instid1(VALU_DEP_1)
	v_dual_add_f32 v94, v94, v111 :: v_dual_add_f32 v95, v95, v112
	v_dual_add_f32 v94, v94, v85 :: v_dual_add_f32 v95, v95, v86
	s_delay_alu instid0(VALU_DEP_4) | instskip(NEXT) | instid1(VALU_DEP_2)
	v_dual_add_f32 v85, v96, v107 :: v_dual_add_f32 v86, v93, v108
	v_dual_add_f32 v87, v94, v87 :: v_dual_add_f32 v88, v95, v88
	ds_store_2addr_b64 v83, v[89:90], v[91:92] offset1:16
	ds_store_2addr_b64 v83, v[85:86], v[87:88] offset0:32 offset1:48
	s_waitcnt lgkmcnt(0)
	s_barrier
	buffer_gl0_inv
	s_and_saveexec_b32 s11, s0
	s_cbranch_execz .LBB12_128
; %bb.132:                              ;   in Loop: Header=BB12_129 Depth=1
	ds_load_b64 v[96:97], v78
	ds_load_2addr_b64 v[85:88], v78 offset0:1 offset1:2
	ds_load_2addr_b64 v[89:92], v78 offset0:3 offset1:4
	s_waitcnt lgkmcnt(1)
	v_dual_add_f32 v0, v85, v96 :: v_dual_add_f32 v85, v86, v97
	ds_load_2addr_b64 v[93:96], v78 offset0:5 offset1:6
	v_dual_add_f32 v0, v0, v87 :: v_dual_add_f32 v97, v85, v88
	ds_load_2addr_b64 v[85:88], v78 offset0:7 offset1:8
	s_waitcnt lgkmcnt(2)
	v_dual_add_f32 v0, v0, v89 :: v_dual_add_f32 v89, v97, v90
	s_delay_alu instid0(VALU_DEP_1) | instskip(SKIP_3) | instid1(VALU_DEP_1)
	v_dual_add_f32 v0, v0, v91 :: v_dual_add_f32 v97, v89, v92
	ds_load_2addr_b64 v[89:92], v78 offset0:9 offset1:10
	s_waitcnt lgkmcnt(2)
	v_dual_add_f32 v0, v0, v93 :: v_dual_add_f32 v93, v97, v94
	v_dual_add_f32 v0, v0, v95 :: v_dual_add_f32 v97, v93, v96
	ds_load_2addr_b64 v[93:96], v78 offset0:11 offset1:12
	s_waitcnt lgkmcnt(2)
	v_dual_add_f32 v0, v0, v85 :: v_dual_add_f32 v85, v97, v86
	s_delay_alu instid0(VALU_DEP_1) | instskip(SKIP_3) | instid1(VALU_DEP_1)
	v_dual_add_f32 v0, v0, v87 :: v_dual_add_f32 v97, v85, v88
	ds_load_2addr_b64 v[85:88], v78 offset0:13 offset1:14
	s_waitcnt lgkmcnt(2)
	v_dual_add_f32 v0, v0, v89 :: v_dual_add_f32 v89, v97, v90
	v_dual_add_f32 v0, v0, v91 :: v_dual_add_f32 v91, v89, v92
	ds_load_b64 v[89:90], v79
	s_waitcnt lgkmcnt(2)
	v_dual_add_f32 v0, v0, v93 :: v_dual_add_f32 v91, v91, v94
	s_delay_alu instid0(VALU_DEP_1) | instskip(SKIP_1) | instid1(VALU_DEP_1)
	v_dual_add_f32 v0, v0, v95 :: v_dual_add_f32 v91, v91, v96
	s_waitcnt lgkmcnt(1)
	v_dual_add_f32 v85, v0, v85 :: v_dual_add_f32 v86, v91, v86
	s_delay_alu instid0(VALU_DEP_1) | instskip(NEXT) | instid1(VALU_DEP_2)
	v_dual_add_f32 v87, v85, v87 :: v_dual_add_nc_u32 v0, s10, v84
	v_add_f32_e32 v88, v86, v88
	s_delay_alu instid0(VALU_DEP_2) | instskip(SKIP_1) | instid1(VALU_DEP_2)
	v_lshlrev_b64 v[85:86], 3, v[0:1]
	s_waitcnt lgkmcnt(0)
	v_dual_add_f32 v87, v87, v89 :: v_dual_add_f32 v88, v88, v90
	s_delay_alu instid0(VALU_DEP_2) | instskip(NEXT) | instid1(VALU_DEP_1)
	v_add_co_u32 v85, s1, s6, v85
	v_add_co_ci_u32_e64 v86, s1, s7, v86, s1
	global_store_b64 v[85:86], v[87:88], off
	s_branch .LBB12_128
.LBB12_133:
	v_mad_u32_u24 v0, 0x218, v72, v73
	s_or_b32 s0, s2, vcc_lo
	s_delay_alu instid0(SALU_CYCLE_1)
	s_xor_b32 s0, s0, -1
	ds_store_b64 v0, v[18:19]
	s_waitcnt lgkmcnt(0)
	s_barrier
	buffer_gl0_inv
	s_and_saveexec_b32 s1, s0
	s_cbranch_execz .LBB12_135
; %bb.134:
	ds_load_2addr_b64 v[0:3], v73 offset1:67
	ds_load_2addr_b64 v[4:7], v73 offset0:134 offset1:201
	s_waitcnt lgkmcnt(1)
	v_dual_add_f32 v0, v2, v0 :: v_dual_add_f32 v1, v3, v1
	s_waitcnt lgkmcnt(0)
	s_delay_alu instid0(VALU_DEP_1) | instskip(SKIP_1) | instid1(VALU_DEP_2)
	v_dual_add_f32 v2, v0, v4 :: v_dual_add_f32 v3, v1, v5
	v_lshlrev_b64 v[0:1], 3, v[16:17]
	v_dual_add_f32 v2, v2, v6 :: v_dual_add_f32 v3, v3, v7
	s_delay_alu instid0(VALU_DEP_2) | instskip(NEXT) | instid1(VALU_DEP_3)
	v_add_co_u32 v0, vcc_lo, s6, v0
	v_add_co_ci_u32_e32 v1, vcc_lo, s7, v1, vcc_lo
	global_store_b64 v[0:1], v[2:3], off
.LBB12_135:
	s_nop 0
	s_sendmsg sendmsg(MSG_DEALLOC_VGPRS)
	s_endpgm
	.section	.rodata,"a",@progbits
	.p2align	6, 0x0
	.amdhsa_kernel _ZL26rocblas_hemvn_kernel_lowerILb1ELi64ELi4ELi33ELi32ELi16El19rocblas_complex_numIfEPKS1_PS1_EviT6_lT7_lT5_lS6_lS7_lS5_lT8_i
		.amdhsa_group_segment_fixed_size 9600
		.amdhsa_private_segment_fixed_size 0
		.amdhsa_kernarg_size 376
		.amdhsa_user_sgpr_count 14
		.amdhsa_user_sgpr_dispatch_ptr 0
		.amdhsa_user_sgpr_queue_ptr 0
		.amdhsa_user_sgpr_kernarg_segment_ptr 1
		.amdhsa_user_sgpr_dispatch_id 0
		.amdhsa_user_sgpr_private_segment_size 0
		.amdhsa_wavefront_size32 1
		.amdhsa_uses_dynamic_stack 0
		.amdhsa_enable_private_segment 0
		.amdhsa_system_sgpr_workgroup_id_x 1
		.amdhsa_system_sgpr_workgroup_id_y 0
		.amdhsa_system_sgpr_workgroup_id_z 1
		.amdhsa_system_sgpr_workgroup_info 0
		.amdhsa_system_vgpr_workitem_id 1
		.amdhsa_next_free_vgpr 114
		.amdhsa_next_free_sgpr 32
		.amdhsa_reserve_vcc 1
		.amdhsa_float_round_mode_32 0
		.amdhsa_float_round_mode_16_64 0
		.amdhsa_float_denorm_mode_32 3
		.amdhsa_float_denorm_mode_16_64 3
		.amdhsa_dx10_clamp 1
		.amdhsa_ieee_mode 1
		.amdhsa_fp16_overflow 0
		.amdhsa_workgroup_processor_mode 1
		.amdhsa_memory_ordered 1
		.amdhsa_forward_progress 0
		.amdhsa_shared_vgpr_count 0
		.amdhsa_exception_fp_ieee_invalid_op 0
		.amdhsa_exception_fp_denorm_src 0
		.amdhsa_exception_fp_ieee_div_zero 0
		.amdhsa_exception_fp_ieee_overflow 0
		.amdhsa_exception_fp_ieee_underflow 0
		.amdhsa_exception_fp_ieee_inexact 0
		.amdhsa_exception_int_div_zero 0
	.end_amdhsa_kernel
	.section	.text._ZL26rocblas_hemvn_kernel_lowerILb1ELi64ELi4ELi33ELi32ELi16El19rocblas_complex_numIfEPKS1_PS1_EviT6_lT7_lT5_lS6_lS7_lS5_lT8_i,"axG",@progbits,_ZL26rocblas_hemvn_kernel_lowerILb1ELi64ELi4ELi33ELi32ELi16El19rocblas_complex_numIfEPKS1_PS1_EviT6_lT7_lT5_lS6_lS7_lS5_lT8_i,comdat
.Lfunc_end12:
	.size	_ZL26rocblas_hemvn_kernel_lowerILb1ELi64ELi4ELi33ELi32ELi16El19rocblas_complex_numIfEPKS1_PS1_EviT6_lT7_lT5_lS6_lS7_lS5_lT8_i, .Lfunc_end12-_ZL26rocblas_hemvn_kernel_lowerILb1ELi64ELi4ELi33ELi32ELi16El19rocblas_complex_numIfEPKS1_PS1_EviT6_lT7_lT5_lS6_lS7_lS5_lT8_i
                                        ; -- End function
	.section	.AMDGPU.csdata,"",@progbits
; Kernel info:
; codeLenInByte = 8896
; NumSgprs: 34
; NumVgprs: 114
; ScratchSize: 0
; MemoryBound: 1
; FloatMode: 240
; IeeeMode: 1
; LDSByteSize: 9600 bytes/workgroup (compile time only)
; SGPRBlocks: 4
; VGPRBlocks: 14
; NumSGPRsForWavesPerEU: 34
; NumVGPRsForWavesPerEU: 114
; Occupancy: 12
; WaveLimiterHint : 0
; COMPUTE_PGM_RSRC2:SCRATCH_EN: 0
; COMPUTE_PGM_RSRC2:USER_SGPR: 14
; COMPUTE_PGM_RSRC2:TRAP_HANDLER: 0
; COMPUTE_PGM_RSRC2:TGID_X_EN: 1
; COMPUTE_PGM_RSRC2:TGID_Y_EN: 0
; COMPUTE_PGM_RSRC2:TGID_Z_EN: 1
; COMPUTE_PGM_RSRC2:TIDIG_COMP_CNT: 1
	.section	.text._ZL36rocblas_hemvn_kernel_lower_block_sumILi64El19rocblas_complex_numIfEPS1_S1_EviT1_lS3_lT2_lT0_lPT3_i,"axG",@progbits,_ZL36rocblas_hemvn_kernel_lower_block_sumILi64El19rocblas_complex_numIfEPS1_S1_EviT1_lS3_lT2_lT0_lPT3_i,comdat
	.globl	_ZL36rocblas_hemvn_kernel_lower_block_sumILi64El19rocblas_complex_numIfEPS1_S1_EviT1_lS3_lT2_lT0_lPT3_i ; -- Begin function _ZL36rocblas_hemvn_kernel_lower_block_sumILi64El19rocblas_complex_numIfEPS1_S1_EviT1_lS3_lT2_lT0_lPT3_i
	.p2align	8
	.type	_ZL36rocblas_hemvn_kernel_lower_block_sumILi64El19rocblas_complex_numIfEPS1_S1_EviT1_lS3_lT2_lT0_lPT3_i,@function
_ZL36rocblas_hemvn_kernel_lower_block_sumILi64El19rocblas_complex_numIfEPS1_S1_EviT1_lS3_lT2_lT0_lPT3_i: ; @_ZL36rocblas_hemvn_kernel_lower_block_sumILi64El19rocblas_complex_numIfEPS1_S1_EviT1_lS3_lT2_lT0_lPT3_i
; %bb.0:
	s_clause 0x1
	s_load_b128 s[8:11], s[0:1], 0x0
	s_load_b64 s[12:13], s[0:1], 0x18
	s_waitcnt lgkmcnt(0)
	s_or_b32 s2, s9, s10
	s_delay_alu instid0(SALU_CYCLE_1) | instskip(NEXT) | instid1(SALU_CYCLE_1)
	s_bitset0_b32 s2, 31
	s_cmp_eq_u32 s2, 0
	s_cselect_b32 s11, -1, 0
	s_cmp_lg_u32 s2, 0
	s_mov_b32 s2, -1
	s_cbranch_scc1 .LBB13_2
; %bb.1:
	v_cmp_neq_f32_e64 s2, s12, 1.0
	v_cmp_neq_f32_e64 s3, s13, 0
	s_delay_alu instid0(VALU_DEP_1)
	s_or_b32 s2, s2, s3
.LBB13_2:
	s_delay_alu instid0(SALU_CYCLE_1)
	s_and_not1_b32 vcc_lo, exec_lo, s2
	s_cbranch_vccnz .LBB13_19
; %bb.3:
	s_clause 0x2
	s_load_b64 s[2:3], s[0:1], 0x40
	s_load_b64 s[16:17], s[0:1], 0x28
	s_load_b128 s[4:7], s[0:1], 0x30
	v_lshl_or_b32 v0, s14, 6, v0
	s_waitcnt lgkmcnt(0)
	s_mul_i32 s3, s15, s3
	s_mul_hi_u32 s18, s15, s2
	s_mul_i32 s2, s15, s2
	s_add_i32 s3, s18, s3
	s_delay_alu instid0(SALU_CYCLE_1) | instskip(NEXT) | instid1(SALU_CYCLE_1)
	s_lshl_b64 s[2:3], s[2:3], 3
	s_add_u32 s16, s16, s2
	s_addc_u32 s17, s17, s3
	s_lshl_b64 s[4:5], s[4:5], 3
	v_cmp_gt_i32_e64 s2, s8, v0
	s_add_u32 s3, s16, s4
	s_addc_u32 s4, s17, s5
	s_and_not1_b32 vcc_lo, exec_lo, s11
	s_mov_b32 s5, -1
	s_cbranch_vccnz .LBB13_9
; %bb.4:
	s_and_saveexec_b32 s5, s2
	s_cbranch_execz .LBB13_8
; %bb.5:
	v_ashrrev_i32_e32 v1, 31, v0
	v_mul_lo_u32 v3, v0, s7
	v_cmp_neq_f32_e64 s2, s12, 0
	v_cmp_neq_f32_e64 s11, s13, 0
	s_delay_alu instid0(VALU_DEP_4) | instskip(SKIP_1) | instid1(VALU_DEP_3)
	v_mul_lo_u32 v4, v1, s6
	v_mad_u64_u32 v[1:2], null, v0, s6, 0
	s_or_b32 s2, s2, s11
	s_delay_alu instid0(SALU_CYCLE_1) | instskip(NEXT) | instid1(VALU_DEP_1)
	s_and_not1_b32 vcc_lo, exec_lo, s2
	v_add3_u32 v2, v2, v3, v4
	v_dual_mov_b32 v3, 0 :: v_dual_mov_b32 v4, 0
	s_delay_alu instid0(VALU_DEP_2)
	v_lshlrev_b64 v[1:2], 3, v[1:2]
	s_cbranch_vccnz .LBB13_7
; %bb.6:
	s_delay_alu instid0(VALU_DEP_1) | instskip(NEXT) | instid1(VALU_DEP_2)
	v_add_co_u32 v3, vcc_lo, s3, v1
	v_add_co_ci_u32_e32 v4, vcc_lo, s4, v2, vcc_lo
	global_load_b64 v[5:6], v[3:4], off
	s_waitcnt vmcnt(0)
	v_mul_f32_e32 v4, s12, v6
	s_delay_alu instid0(VALU_DEP_1) | instskip(NEXT) | instid1(VALU_DEP_1)
	v_dual_mul_f32 v3, s13, v6 :: v_dual_fmac_f32 v4, s13, v5
	v_fma_f32 v3, v5, s12, -v3
.LBB13_7:
	s_delay_alu instid0(VALU_DEP_1) | instskip(NEXT) | instid1(VALU_DEP_2)
	v_add_co_u32 v1, vcc_lo, s3, v1
	v_add_co_ci_u32_e32 v2, vcc_lo, s4, v2, vcc_lo
	global_store_b64 v[1:2], v[3:4], off
.LBB13_8:
	s_or_b32 exec_lo, exec_lo, s5
	s_mov_b32 s5, 0
.LBB13_9:
	s_delay_alu instid0(SALU_CYCLE_1)
	s_and_not1_b32 vcc_lo, exec_lo, s5
	s_cbranch_vccnz .LBB13_19
; %bb.10:
	s_mov_b32 s2, exec_lo
	v_cmpx_gt_i32_e64 s8, v0
	s_cbranch_execz .LBB13_19
; %bb.11:
	s_load_b32 s2, s[0:1], 0x58
	v_dual_mov_b32 v3, 0 :: v_dual_mov_b32 v4, 0
	s_waitcnt lgkmcnt(0)
	s_cmp_ge_i32 s14, s2
	s_cbranch_scc1 .LBB13_14
; %bb.12:
	s_load_b64 s[0:1], s[0:1], 0x48
	v_mad_u64_u32 v[1:2], null, s14, s8, v[0:1]
	s_ashr_i32 s17, s8, 31
	s_mul_hi_u32 s5, s8, s15
	s_mul_i32 s11, s17, s15
	s_mul_i32 s15, s8, s15
	s_add_i32 s5, s5, s11
	s_mul_hi_u32 s11, s15, s2
	s_delay_alu instid0(VALU_DEP_1)
	v_ashrrev_i32_e32 v2, 31, v1
	s_mul_i32 s5, s5, s2
	s_mul_i32 s18, s15, s2
	s_add_i32 s19, s11, s5
	v_dual_mov_b32 v3, 0 :: v_dual_mov_b32 v4, 0
	v_lshlrev_b64 v[1:2], 3, v[1:2]
	s_lshl_b64 s[18:19], s[18:19], 3
	s_mov_b32 s16, s8
	s_waitcnt lgkmcnt(0)
	s_add_u32 s0, s0, s18
	s_addc_u32 s1, s1, s19
	v_add_co_u32 v1, vcc_lo, s0, v1
	v_add_co_ci_u32_e32 v2, vcc_lo, s1, v2, vcc_lo
	s_lshl_b64 s[0:1], s[16:17], 3
	s_delay_alu instid0(VALU_DEP_2) | instskip(NEXT) | instid1(VALU_DEP_2)
	v_add_co_u32 v1, vcc_lo, v1, 4
	v_add_co_ci_u32_e32 v2, vcc_lo, 0, v2, vcc_lo
.LBB13_13:                              ; =>This Inner Loop Header: Depth=1
	global_load_b64 v[5:6], v[1:2], off offset:-4
	v_add_co_u32 v1, vcc_lo, v1, s0
	v_add_co_ci_u32_e32 v2, vcc_lo, s1, v2, vcc_lo
	s_add_i32 s14, s14, 1
	s_delay_alu instid0(SALU_CYCLE_1)
	s_cmp_ge_i32 s14, s2
	s_waitcnt vmcnt(0)
	v_dual_add_f32 v4, v4, v5 :: v_dual_add_f32 v3, v3, v6
	s_cbranch_scc0 .LBB13_13
.LBB13_14:
	v_ashrrev_i32_e32 v1, 31, v0
	s_delay_alu instid0(VALU_DEP_2)
	v_mul_f32_e32 v2, s9, v3
	v_mul_f32_e32 v7, s10, v3
	v_cmp_neq_f32_e64 s0, s12, 0
	v_cmp_neq_f32_e64 s1, s13, 0
	v_mul_lo_u32 v5, v0, s7
	v_fmac_f32_e32 v2, s10, v4
	v_mul_lo_u32 v6, v1, s6
	v_fma_f32 v1, v4, s9, -v7
	s_or_b32 s0, s0, s1
	s_delay_alu instid0(SALU_CYCLE_1)
	s_and_not1_b32 vcc_lo, exec_lo, s0
	s_mov_b32 s0, 0
	s_cbranch_vccz .LBB13_16
; %bb.15:
	v_mad_u64_u32 v[3:4], null, v0, s6, 0
	s_delay_alu instid0(VALU_DEP_1)
	v_add3_u32 v4, v4, v5, v6
	s_and_not1_b32 vcc_lo, exec_lo, s0
	s_cbranch_vccz .LBB13_17
	s_branch .LBB13_18
.LBB13_16:
                                        ; implicit-def: $vgpr3_vgpr4
.LBB13_17:
	v_mad_u64_u32 v[3:4], null, v0, s6, 0
	s_delay_alu instid0(VALU_DEP_1) | instskip(NEXT) | instid1(VALU_DEP_1)
	v_add3_u32 v4, v4, v5, v6
	v_lshlrev_b64 v[5:6], 3, v[3:4]
	s_delay_alu instid0(VALU_DEP_1) | instskip(NEXT) | instid1(VALU_DEP_2)
	v_add_co_u32 v5, vcc_lo, s3, v5
	v_add_co_ci_u32_e32 v6, vcc_lo, s4, v6, vcc_lo
	global_load_b64 v[5:6], v[5:6], off
	s_waitcnt vmcnt(0)
	v_mul_f32_e32 v0, s13, v6
	s_delay_alu instid0(VALU_DEP_1) | instskip(NEXT) | instid1(VALU_DEP_1)
	v_fma_f32 v0, v5, s12, -v0
	v_dual_mul_f32 v6, s12, v6 :: v_dual_add_f32 v1, v1, v0
	s_delay_alu instid0(VALU_DEP_1) | instskip(NEXT) | instid1(VALU_DEP_1)
	v_fmac_f32_e32 v6, s13, v5
	v_add_f32_e32 v2, v2, v6
.LBB13_18:
	s_delay_alu instid0(VALU_DEP_1) | instskip(NEXT) | instid1(VALU_DEP_1)
	v_lshlrev_b64 v[3:4], 3, v[3:4]
	v_add_co_u32 v3, vcc_lo, s3, v3
	s_delay_alu instid0(VALU_DEP_2)
	v_add_co_ci_u32_e32 v4, vcc_lo, s4, v4, vcc_lo
	global_store_b64 v[3:4], v[1:2], off
.LBB13_19:
	s_nop 0
	s_sendmsg sendmsg(MSG_DEALLOC_VGPRS)
	s_endpgm
	.section	.rodata,"a",@progbits
	.p2align	6, 0x0
	.amdhsa_kernel _ZL36rocblas_hemvn_kernel_lower_block_sumILi64El19rocblas_complex_numIfEPS1_S1_EviT1_lS3_lT2_lT0_lPT3_i
		.amdhsa_group_segment_fixed_size 0
		.amdhsa_private_segment_fixed_size 0
		.amdhsa_kernarg_size 344
		.amdhsa_user_sgpr_count 14
		.amdhsa_user_sgpr_dispatch_ptr 0
		.amdhsa_user_sgpr_queue_ptr 0
		.amdhsa_user_sgpr_kernarg_segment_ptr 1
		.amdhsa_user_sgpr_dispatch_id 0
		.amdhsa_user_sgpr_private_segment_size 0
		.amdhsa_wavefront_size32 1
		.amdhsa_uses_dynamic_stack 0
		.amdhsa_enable_private_segment 0
		.amdhsa_system_sgpr_workgroup_id_x 1
		.amdhsa_system_sgpr_workgroup_id_y 0
		.amdhsa_system_sgpr_workgroup_id_z 1
		.amdhsa_system_sgpr_workgroup_info 0
		.amdhsa_system_vgpr_workitem_id 0
		.amdhsa_next_free_vgpr 8
		.amdhsa_next_free_sgpr 20
		.amdhsa_reserve_vcc 1
		.amdhsa_float_round_mode_32 0
		.amdhsa_float_round_mode_16_64 0
		.amdhsa_float_denorm_mode_32 3
		.amdhsa_float_denorm_mode_16_64 3
		.amdhsa_dx10_clamp 1
		.amdhsa_ieee_mode 1
		.amdhsa_fp16_overflow 0
		.amdhsa_workgroup_processor_mode 1
		.amdhsa_memory_ordered 1
		.amdhsa_forward_progress 0
		.amdhsa_shared_vgpr_count 0
		.amdhsa_exception_fp_ieee_invalid_op 0
		.amdhsa_exception_fp_denorm_src 0
		.amdhsa_exception_fp_ieee_div_zero 0
		.amdhsa_exception_fp_ieee_overflow 0
		.amdhsa_exception_fp_ieee_underflow 0
		.amdhsa_exception_fp_ieee_inexact 0
		.amdhsa_exception_int_div_zero 0
	.end_amdhsa_kernel
	.section	.text._ZL36rocblas_hemvn_kernel_lower_block_sumILi64El19rocblas_complex_numIfEPS1_S1_EviT1_lS3_lT2_lT0_lPT3_i,"axG",@progbits,_ZL36rocblas_hemvn_kernel_lower_block_sumILi64El19rocblas_complex_numIfEPS1_S1_EviT1_lS3_lT2_lT0_lPT3_i,comdat
.Lfunc_end13:
	.size	_ZL36rocblas_hemvn_kernel_lower_block_sumILi64El19rocblas_complex_numIfEPS1_S1_EviT1_lS3_lT2_lT0_lPT3_i, .Lfunc_end13-_ZL36rocblas_hemvn_kernel_lower_block_sumILi64El19rocblas_complex_numIfEPS1_S1_EviT1_lS3_lT2_lT0_lPT3_i
                                        ; -- End function
	.section	.AMDGPU.csdata,"",@progbits
; Kernel info:
; codeLenInByte = 864
; NumSgprs: 22
; NumVgprs: 8
; ScratchSize: 0
; MemoryBound: 0
; FloatMode: 240
; IeeeMode: 1
; LDSByteSize: 0 bytes/workgroup (compile time only)
; SGPRBlocks: 2
; VGPRBlocks: 0
; NumSGPRsForWavesPerEU: 22
; NumVGPRsForWavesPerEU: 8
; Occupancy: 16
; WaveLimiterHint : 0
; COMPUTE_PGM_RSRC2:SCRATCH_EN: 0
; COMPUTE_PGM_RSRC2:USER_SGPR: 14
; COMPUTE_PGM_RSRC2:TRAP_HANDLER: 0
; COMPUTE_PGM_RSRC2:TGID_X_EN: 1
; COMPUTE_PGM_RSRC2:TGID_Y_EN: 0
; COMPUTE_PGM_RSRC2:TGID_Z_EN: 1
; COMPUTE_PGM_RSRC2:TIDIG_COMP_CNT: 0
	.section	.text._ZL26rocblas_hemvn_kernel_lowerILb1ELi64ELi4ELi33ELi32ELi16Ei19rocblas_complex_numIfEPKS1_PS1_EviT6_lT7_lT5_lS6_lS7_lS5_lT8_i,"axG",@progbits,_ZL26rocblas_hemvn_kernel_lowerILb1ELi64ELi4ELi33ELi32ELi16Ei19rocblas_complex_numIfEPKS1_PS1_EviT6_lT7_lT5_lS6_lS7_lS5_lT8_i,comdat
	.globl	_ZL26rocblas_hemvn_kernel_lowerILb1ELi64ELi4ELi33ELi32ELi16Ei19rocblas_complex_numIfEPKS1_PS1_EviT6_lT7_lT5_lS6_lS7_lS5_lT8_i ; -- Begin function _ZL26rocblas_hemvn_kernel_lowerILb1ELi64ELi4ELi33ELi32ELi16Ei19rocblas_complex_numIfEPKS1_PS1_EviT6_lT7_lT5_lS6_lS7_lS5_lT8_i
	.p2align	8
	.type	_ZL26rocblas_hemvn_kernel_lowerILb1ELi64ELi4ELi33ELi32ELi16Ei19rocblas_complex_numIfEPKS1_PS1_EviT6_lT7_lT5_lS6_lS7_lS5_lT8_i,@function
_ZL26rocblas_hemvn_kernel_lowerILb1ELi64ELi4ELi33ELi32ELi16Ei19rocblas_complex_numIfEPKS1_PS1_EviT6_lT7_lT5_lS6_lS7_lS5_lT8_i: ; @_ZL26rocblas_hemvn_kernel_lowerILb1ELi64ELi4ELi33ELi32ELi16Ei19rocblas_complex_numIfEPKS1_PS1_EviT6_lT7_lT5_lS6_lS7_lS5_lT8_i
; %bb.0:
	s_load_b64 s[4:5], s[0:1], 0x84
	s_add_u32 s2, s0, 0x78
	s_addc_u32 s3, s1, 0
	s_waitcnt lgkmcnt(0)
	s_lshr_b32 s6, s4, 16
	s_and_b32 s4, s4, 0xffff
	s_and_b32 s5, s5, 0xffff
	s_mul_i32 s4, s6, s4
	s_delay_alu instid0(SALU_CYCLE_1) | instskip(NEXT) | instid1(SALU_CYCLE_1)
	s_mul_i32 s4, s4, s5
	s_cmpk_lg_i32 s4, 0x100
	s_cbranch_scc1 .LBB14_135
; %bb.1:
	s_load_b64 s[4:5], s[0:1], 0x4
	s_waitcnt lgkmcnt(0)
	s_or_b32 s4, s4, s5
	s_mov_b32 s5, -1
	s_bitset0_b32 s4, 31
	s_delay_alu instid0(SALU_CYCLE_1) | instskip(SKIP_1) | instid1(SALU_CYCLE_1)
	s_cmp_lg_u32 s4, 0
	s_cselect_b32 s4, -1, 0
	s_and_b32 vcc_lo, exec_lo, s4
	s_cbranch_vccnz .LBB14_3
; %bb.2:
	s_load_b64 s[6:7], s[0:1], 0x58
	s_waitcnt lgkmcnt(0)
	v_cmp_neq_f32_e64 s5, s6, 1.0
	v_cmp_neq_f32_e64 s6, s7, 0
	s_delay_alu instid0(VALU_DEP_1)
	s_or_b32 s5, s5, s6
.LBB14_3:
	s_delay_alu instid0(SALU_CYCLE_1)
	s_and_not1_b32 vcc_lo, exec_lo, s5
	s_cbranch_vccnz .LBB14_135
; %bb.4:
	s_and_not1_b32 vcc_lo, exec_lo, s4
	s_cbranch_vccnz .LBB14_135
; %bb.5:
	s_clause 0x3
	s_load_b64 s[8:9], s[0:1], 0x50
	s_load_b128 s[4:7], s[0:1], 0x30
	s_load_b64 s[10:11], s[0:1], 0x40
	s_load_b32 s24, s[0:1], 0x48
	v_and_b32_e32 v25, 0x3ff, v0
	s_load_b32 s25, s[0:1], 0x0
	s_load_b32 s26, s[2:3], 0x0
	v_bfe_u32 v71, v0, 10, 10
	s_waitcnt lgkmcnt(0)
	s_mul_i32 s9, s15, s9
	s_mul_hi_u32 s12, s15, s8
	s_mul_i32 s8, s15, s8
	s_add_i32 s9, s12, s9
	s_delay_alu instid0(SALU_CYCLE_1) | instskip(NEXT) | instid1(SALU_CYCLE_1)
	s_lshl_b64 s[8:9], s[8:9], 3
	s_add_u32 s8, s6, s8
	s_addc_u32 s9, s7, s9
	s_lshl_b64 s[6:7], s[10:11], 3
	s_delay_alu instid0(SALU_CYCLE_1)
	s_add_u32 s6, s8, s6
	s_addc_u32 s7, s9, s7
	s_lshl_b32 s10, s14, 6
	s_ashr_i32 s27, s25, 31
	v_add_nc_u32_e32 v16, s10, v25
	s_lshr_b32 s2, s27, 26
	s_add_i32 s8, s26, -1
	s_add_i32 s3, s25, s2
	v_cmp_ne_u32_e64 s2, 0, v71
	v_mul_lo_u32 v1, v16, s24
	s_and_not1_b32 s3, s3, 63
	s_delay_alu instid0(SALU_CYCLE_1) | instskip(SKIP_3) | instid1(VALU_DEP_2)
	s_sub_i32 s9, s25, s3
	v_cmp_eq_u32_e64 s3, 0, v71
	s_cmp_eq_u32 s14, s8
	s_cselect_b32 s16, s9, 0
	v_ashrrev_i32_e32 v2, 31, v1
	s_delay_alu instid0(VALU_DEP_1) | instskip(NEXT) | instid1(VALU_DEP_1)
	v_lshlrev_b64 v[0:1], 3, v[1:2]
	v_add_co_u32 v19, vcc_lo, s6, v0
	s_delay_alu instid0(VALU_DEP_2)
	v_add_co_ci_u32_e32 v20, vcc_lo, s7, v1, vcc_lo
	s_mov_b32 s6, -1
	s_and_saveexec_b32 s7, s3
	s_cbranch_execz .LBB14_10
; %bb.6:
	v_cmp_le_i32_e32 vcc_lo, s16, v25
	s_cmp_lg_u32 s16, 0
	v_lshl_add_u32 v0, v25, 3, 0x2380
	s_cselect_b32 s8, -1, 0
	s_delay_alu instid0(SALU_CYCLE_1) | instskip(NEXT) | instid1(SALU_CYCLE_1)
	s_and_b32 s8, s8, vcc_lo
	s_and_saveexec_b32 s9, s8
	s_delay_alu instid0(SALU_CYCLE_1)
	s_xor_b32 s8, exec_lo, s9
	s_cbranch_execz .LBB14_8
; %bb.7:
	v_mov_b32_e32 v1, 0
	s_delay_alu instid0(VALU_DEP_1)
	v_mov_b32_e32 v2, v1
	ds_store_b64 v0, v[1:2]
                                        ; implicit-def: $vgpr0
.LBB14_8:
	s_and_not1_saveexec_b32 s8, s8
	s_cbranch_execz .LBB14_10
; %bb.9:
	global_load_b64 v[1:2], v[19:20], off
	s_waitcnt vmcnt(0)
	ds_store_b64 v0, v[1:2]
.LBB14_10:
	s_or_b32 exec_lo, exec_lo, s7
	s_clause 0x1
	s_load_b128 s[20:23], s[0:1], 0x18
	s_load_b32 s12, s[0:1], 0x28
	v_lshl_add_u32 v26, v71, 6, v25
	v_and_b32_e32 v0, 31, v25
	s_mul_i32 s5, s15, s5
	s_mul_hi_u32 s7, s15, s4
	s_mul_i32 s4, s15, s4
	v_lshrrev_b32_e32 v5, 5, v26
	s_add_i32 s5, s7, s5
	s_delay_alu instid0(SALU_CYCLE_1)
	s_lshl_b64 s[4:5], s[4:5], 3
	s_waitcnt lgkmcnt(0)
	s_add_u32 s7, s20, s4
	v_mad_u64_u32 v[1:2], null, v5, s12, v[0:1]
	s_addc_u32 s8, s21, s5
	s_lshl_b64 s[4:5], s[22:23], 3
	s_delay_alu instid0(SALU_CYCLE_1) | instskip(SKIP_2) | instid1(VALU_DEP_1)
	s_add_u32 s7, s7, s4
	s_addc_u32 s9, s8, s5
	s_ashr_i32 s11, s10, 31
	v_ashrrev_i32_e32 v2, 31, v1
	s_lshl_b64 s[4:5], s[10:11], 3
	s_mul_i32 s8, s10, s12
	s_add_u32 s4, s7, s4
	s_addc_u32 s5, s9, s5
	s_ashr_i32 s9, s8, 31
	v_lshlrev_b64 v[21:22], 3, v[1:2]
	s_lshl_b64 s[18:19], s[8:9], 3
	s_delay_alu instid0(SALU_CYCLE_1) | instskip(SKIP_2) | instid1(VALU_DEP_1)
	s_add_u32 s4, s18, s4
	s_addc_u32 s5, s19, s5
	s_cmp_lg_u32 s16, 0
	v_add_co_u32 v1, vcc_lo, s4, v21
	v_add_co_ci_u32_e32 v2, vcc_lo, s5, v22, vcc_lo
	s_cselect_b32 s11, -1, 0
	s_cmp_eq_u32 s16, 0
	s_cselect_b32 s9, -1, 0
	s_and_b32 vcc_lo, exec_lo, s11
	s_cbranch_vccnz .LBB14_12
; %bb.11:
	s_lshl_b32 s4, s12, 3
	s_ashr_i32 s13, s12, 31
	s_ashr_i32 s5, s4, 31
	v_mul_u32_u24_e32 v12, 33, v5
	s_lshl_b64 s[4:5], s[4:5], 3
	s_mov_b32 s6, 0
	v_add_co_u32 v3, vcc_lo, v1, s4
	v_add_co_ci_u32_e32 v4, vcc_lo, s5, v2, vcc_lo
	s_lshl_b64 s[4:5], s[12:13], 6
	v_add_lshl_u32 v12, v12, v0, 3
	s_delay_alu instid0(VALU_DEP_3) | instskip(NEXT) | instid1(VALU_DEP_3)
	v_add_co_u32 v6, vcc_lo, v3, s4
	v_add_co_ci_u32_e32 v7, vcc_lo, s5, v4, vcc_lo
	s_delay_alu instid0(VALU_DEP_2) | instskip(NEXT) | instid1(VALU_DEP_2)
	v_add_co_u32 v8, vcc_lo, v6, s4
	v_add_co_ci_u32_e32 v9, vcc_lo, s5, v7, vcc_lo
	s_clause 0x1
	global_load_b64 v[10:11], v[1:2], off
	global_load_b64 v[3:4], v[3:4], off
	global_load_b64 v[6:7], v[6:7], off
	global_load_b64 v[8:9], v[8:9], off
	s_waitcnt vmcnt(3)
	ds_store_b64 v12, v[10:11]
	s_waitcnt vmcnt(2)
	ds_store_b64 v12, v[3:4] offset:2112
	s_waitcnt vmcnt(1)
	ds_store_b64 v12, v[6:7] offset:4224
	;; [unrolled: 2-line block ×3, first 2 shown]
.LBB14_12:
	s_and_not1_b32 vcc_lo, exec_lo, s6
	s_cbranch_vccnz .LBB14_30
; %bb.13:
	v_lshlrev_b32_e32 v6, 3, v0
	s_ashr_i32 s17, s16, 31
	v_mul_u32_u24_e32 v7, 33, v5
	s_lshl_b64 s[6:7], s[16:17], 3
	v_cmp_le_i32_e64 s4, s16, v5
	v_sub_co_u32 v3, vcc_lo, v1, v6
	v_subrev_co_ci_u32_e32 v4, vcc_lo, 0, v2, vcc_lo
	v_add_lshl_u32 v7, v7, v0, 3
	s_delay_alu instid0(VALU_DEP_3) | instskip(NEXT) | instid1(VALU_DEP_3)
	v_add_co_u32 v3, vcc_lo, v3, s6
	v_add_co_ci_u32_e32 v4, vcc_lo, s7, v4, vcc_lo
	s_delay_alu instid0(VALU_DEP_2) | instskip(NEXT) | instid1(VALU_DEP_2)
	v_add_co_u32 v3, vcc_lo, v3, -8
	v_add_co_ci_u32_e32 v4, vcc_lo, -1, v4, vcc_lo
	v_cmp_gt_i32_e32 vcc_lo, s16, v0
	s_delay_alu instid0(VALU_DEP_2) | instskip(SKIP_1) | instid1(SALU_CYCLE_1)
	v_dual_cndmask_b32 v3, v3, v1 :: v_dual_cndmask_b32 v4, v4, v2
	s_and_saveexec_b32 s5, s4
	s_xor_b32 s4, exec_lo, s5
	s_cbranch_execz .LBB14_15
; %bb.14:
	v_mov_b32_e32 v8, 0
	s_delay_alu instid0(VALU_DEP_1)
	v_mov_b32_e32 v9, v8
	ds_store_b64 v7, v[8:9]
.LBB14_15:
	s_and_not1_saveexec_b32 s4, s4
	s_cbranch_execz .LBB14_17
; %bb.16:
	global_load_b64 v[8:9], v[3:4], off
	s_waitcnt vmcnt(0)
	ds_store_b64 v7, v[8:9]
.LBB14_17:
	s_or_b32 exec_lo, exec_lo, s4
	v_add_nc_u32_e32 v8, 8, v5
	s_delay_alu instid0(VALU_DEP_1) | instskip(NEXT) | instid1(VALU_DEP_1)
	v_cmp_le_i32_e64 s4, s16, v8
	s_and_saveexec_b32 s5, s4
	s_delay_alu instid0(SALU_CYCLE_1)
	s_xor_b32 s4, exec_lo, s5
	s_cbranch_execz .LBB14_19
; %bb.18:
	v_mul_u32_u24_e32 v9, 33, v8
	v_mov_b32_e32 v8, 0
	s_delay_alu instid0(VALU_DEP_2) | instskip(NEXT) | instid1(VALU_DEP_2)
	v_add_lshl_u32 v10, v9, v0, 3
	v_mov_b32_e32 v9, v8
	ds_store_b64 v10, v[8:9]
.LBB14_19:
	s_and_not1_saveexec_b32 s5, s4
	s_cbranch_execz .LBB14_21
; %bb.20:
	s_lshl_b32 s20, s12, 3
	s_delay_alu instid0(SALU_CYCLE_1) | instskip(NEXT) | instid1(SALU_CYCLE_1)
	s_ashr_i32 s21, s20, 31
	s_lshl_b64 s[20:21], s[20:21], 3
	s_delay_alu instid0(SALU_CYCLE_1) | instskip(NEXT) | instid1(VALU_DEP_1)
	v_add_co_u32 v8, s4, v3, s20
	v_add_co_ci_u32_e64 v9, s4, s21, v4, s4
	global_load_b64 v[8:9], v[8:9], off
	s_waitcnt vmcnt(0)
	ds_store_b64 v7, v[8:9] offset:2112
.LBB14_21:
	s_or_b32 exec_lo, exec_lo, s5
	v_add_nc_u32_e32 v8, 16, v5
	s_delay_alu instid0(VALU_DEP_1) | instskip(NEXT) | instid1(VALU_DEP_1)
	v_cmp_le_i32_e64 s4, s16, v8
	s_and_saveexec_b32 s5, s4
	s_delay_alu instid0(SALU_CYCLE_1)
	s_xor_b32 s4, exec_lo, s5
	s_cbranch_execz .LBB14_23
; %bb.22:
	v_mul_u32_u24_e32 v9, 33, v8
	v_mov_b32_e32 v8, 0
	s_delay_alu instid0(VALU_DEP_2) | instskip(NEXT) | instid1(VALU_DEP_2)
	v_add_lshl_u32 v10, v9, v0, 3
	v_mov_b32_e32 v9, v8
	ds_store_b64 v10, v[8:9]
.LBB14_23:
	s_and_not1_saveexec_b32 s5, s4
	s_cbranch_execz .LBB14_25
; %bb.24:
	s_lshl_b32 s20, s12, 4
	s_delay_alu instid0(SALU_CYCLE_1) | instskip(NEXT) | instid1(SALU_CYCLE_1)
	s_ashr_i32 s21, s20, 31
	s_lshl_b64 s[20:21], s[20:21], 3
	s_delay_alu instid0(SALU_CYCLE_1) | instskip(NEXT) | instid1(VALU_DEP_1)
	v_add_co_u32 v8, s4, v3, s20
	v_add_co_ci_u32_e64 v9, s4, s21, v4, s4
	global_load_b64 v[8:9], v[8:9], off
	s_waitcnt vmcnt(0)
	ds_store_b64 v7, v[8:9] offset:4224
.LBB14_25:
	s_or_b32 exec_lo, exec_lo, s5
	v_add_nc_u32_e32 v8, 24, v5
	s_delay_alu instid0(VALU_DEP_1) | instskip(NEXT) | instid1(VALU_DEP_1)
	v_cmp_le_i32_e64 s4, s16, v8
	s_and_saveexec_b32 s5, s4
	s_delay_alu instid0(SALU_CYCLE_1)
	s_xor_b32 s4, exec_lo, s5
	s_cbranch_execz .LBB14_27
; %bb.26:
	v_mov_b32_e32 v8, 0
	s_delay_alu instid0(VALU_DEP_1)
	v_mov_b32_e32 v9, v8
	ds_store_b64 v7, v[8:9] offset:6336
                                        ; implicit-def: $vgpr7
.LBB14_27:
	s_and_not1_saveexec_b32 s5, s4
	s_cbranch_execz .LBB14_29
; %bb.28:
	s_mul_i32 s20, s12, 24
	s_delay_alu instid0(SALU_CYCLE_1) | instskip(NEXT) | instid1(SALU_CYCLE_1)
	s_ashr_i32 s21, s20, 31
	s_lshl_b64 s[20:21], s[20:21], 3
	s_delay_alu instid0(SALU_CYCLE_1) | instskip(NEXT) | instid1(VALU_DEP_1)
	v_add_co_u32 v8, s4, v3, s20
	v_add_co_ci_u32_e64 v9, s4, s21, v4, s4
	global_load_b64 v[8:9], v[8:9], off
	s_waitcnt vmcnt(0)
	ds_store_b64 v7, v[8:9] offset:6336
.LBB14_29:
	s_or_b32 exec_lo, exec_lo, s5
	v_add_co_u32 v3, s4, v3, v6
	s_delay_alu instid0(VALU_DEP_1) | instskip(NEXT) | instid1(VALU_DEP_2)
	v_add_co_ci_u32_e64 v4, s4, 0, v4, s4
	v_sub_co_u32 v3, s4, v3, s6
	s_delay_alu instid0(VALU_DEP_1) | instskip(NEXT) | instid1(VALU_DEP_2)
	v_subrev_co_ci_u32_e64 v4, s4, s7, v4, s4
	v_add_co_u32 v3, s4, v3, 8
	s_delay_alu instid0(VALU_DEP_1) | instskip(NEXT) | instid1(VALU_DEP_1)
	v_add_co_ci_u32_e64 v4, s4, 0, v4, s4
	v_dual_cndmask_b32 v1, v3, v1 :: v_dual_cndmask_b32 v2, v4, v2
.LBB14_30:
	v_lshlrev_b32_e32 v6, 2, v5
	s_waitcnt lgkmcnt(0)
	s_barrier
	buffer_gl0_inv
	v_cmp_ge_u32_e64 s5, v6, v0
	s_delay_alu instid0(VALU_DEP_1) | instskip(NEXT) | instid1(SALU_CYCLE_1)
	s_and_saveexec_b32 s4, s5
	s_xor_b32 s4, exec_lo, s4
	s_cbranch_execz .LBB14_34
; %bb.31:
	s_mov_b32 s6, exec_lo
	v_cmpx_eq_u32_e64 v6, v0
	s_cbranch_execz .LBB14_33
; %bb.32:
	v_mul_u32_u24_e32 v3, 34, v0
	s_delay_alu instid0(VALU_DEP_1)
	v_dual_mov_b32 v4, 0 :: v_dual_lshlrev_b32 v3, 3, v3
	ds_store_b32 v3, v4 offset:4
.LBB14_33:
	s_or_b32 exec_lo, exec_lo, s6
.LBB14_34:
	s_or_saveexec_b32 s4, s4
	v_mul_u32_u24_e32 v27, 33, v0
	v_mul_u32_u24_e32 v3, 0x84, v5
	s_delay_alu instid0(VALU_DEP_2)
	v_add_lshl_u32 v4, v6, v27, 3
	s_xor_b32 exec_lo, exec_lo, s4
	s_cbranch_execz .LBB14_36
; %bb.35:
	s_delay_alu instid0(VALU_DEP_2)
	v_add_lshl_u32 v7, v3, v0, 3
	ds_load_b64 v[7:8], v7
	s_waitcnt lgkmcnt(0)
	v_xor_b32_e32 v8, 0x80000000, v8
	ds_store_b64 v4, v[7:8]
.LBB14_36:
	s_or_b32 exec_lo, exec_lo, s4
	v_or_b32_e32 v7, 1, v6
	s_delay_alu instid0(VALU_DEP_1) | instskip(NEXT) | instid1(VALU_DEP_1)
	v_cmp_ge_u32_e64 s6, v7, v0
	s_and_saveexec_b32 s4, s6
	s_delay_alu instid0(SALU_CYCLE_1)
	s_xor_b32 s4, exec_lo, s4
	s_cbranch_execz .LBB14_40
; %bb.37:
	s_mov_b32 s7, exec_lo
	v_cmpx_eq_u32_e64 v7, v0
	s_cbranch_execz .LBB14_39
; %bb.38:
	v_mul_u32_u24_e32 v8, 34, v0
	s_delay_alu instid0(VALU_DEP_1)
	v_dual_mov_b32 v9, 0 :: v_dual_lshlrev_b32 v8, 3, v8
	ds_store_b32 v8, v9 offset:4
.LBB14_39:
	s_or_b32 exec_lo, exec_lo, s7
.LBB14_40:
	s_or_saveexec_b32 s4, s4
	v_mul_u32_u24_e32 v9, 33, v7
	s_xor_b32 exec_lo, exec_lo, s4
	s_cbranch_execz .LBB14_42
; %bb.41:
	s_delay_alu instid0(VALU_DEP_1)
	v_add_lshl_u32 v8, v9, v0, 3
	ds_load_b64 v[10:11], v8
	s_waitcnt lgkmcnt(0)
	v_xor_b32_e32 v11, 0x80000000, v11
	ds_store_b64 v4, v[10:11] offset:8
.LBB14_42:
	s_or_b32 exec_lo, exec_lo, s4
	v_or_b32_e32 v8, 2, v6
	s_delay_alu instid0(VALU_DEP_1) | instskip(NEXT) | instid1(VALU_DEP_1)
	v_cmp_ge_u32_e64 s7, v8, v0
	s_and_saveexec_b32 s4, s7
	s_delay_alu instid0(SALU_CYCLE_1)
	s_xor_b32 s4, exec_lo, s4
	s_cbranch_execz .LBB14_46
; %bb.43:
	s_mov_b32 s8, exec_lo
	v_cmpx_eq_u32_e64 v8, v0
	s_cbranch_execz .LBB14_45
; %bb.44:
	v_mul_u32_u24_e32 v10, 34, v0
	s_delay_alu instid0(VALU_DEP_1)
	v_dual_mov_b32 v11, 0 :: v_dual_lshlrev_b32 v10, 3, v10
	ds_store_b32 v10, v11 offset:4
.LBB14_45:
	s_or_b32 exec_lo, exec_lo, s8
.LBB14_46:
	s_and_not1_saveexec_b32 s4, s4
	s_cbranch_execz .LBB14_48
; %bb.47:
	v_mul_u32_u24_e32 v10, 33, v8
	s_delay_alu instid0(VALU_DEP_1)
	v_add_lshl_u32 v10, v10, v0, 3
	ds_load_b64 v[10:11], v10
	s_waitcnt lgkmcnt(0)
	v_xor_b32_e32 v11, 0x80000000, v11
	ds_store_b64 v4, v[10:11] offset:16
.LBB14_48:
	s_or_b32 exec_lo, exec_lo, s4
	v_or_b32_e32 v10, 3, v6
	s_delay_alu instid0(VALU_DEP_1) | instskip(NEXT) | instid1(VALU_DEP_1)
	v_cmp_ge_u32_e64 s8, v10, v0
	s_and_saveexec_b32 s4, s8
	s_delay_alu instid0(SALU_CYCLE_1)
	s_xor_b32 s4, exec_lo, s4
	s_cbranch_execz .LBB14_52
; %bb.49:
	s_mov_b32 s13, exec_lo
	v_cmpx_eq_u32_e64 v10, v0
	s_cbranch_execz .LBB14_51
; %bb.50:
	v_mul_u32_u24_e32 v11, 34, v0
	s_delay_alu instid0(VALU_DEP_1)
	v_dual_mov_b32 v12, 0 :: v_dual_lshlrev_b32 v11, 3, v11
	ds_store_b32 v11, v12 offset:4
.LBB14_51:
	s_or_b32 exec_lo, exec_lo, s13
.LBB14_52:
	s_and_not1_saveexec_b32 s4, s4
	s_cbranch_execz .LBB14_54
; %bb.53:
	v_mul_u32_u24_e32 v11, 33, v10
	s_delay_alu instid0(VALU_DEP_1)
	v_add_lshl_u32 v11, v11, v0, 3
	ds_load_b64 v[11:12], v11
	s_waitcnt lgkmcnt(0)
	v_xor_b32_e32 v12, 0x80000000, v12
	ds_store_b64 v4, v[11:12] offset:24
.LBB14_54:
	s_or_b32 exec_lo, exec_lo, s4
	v_add_lshl_u32 v11, v3, v0, 3
	v_lshlrev_b32_e32 v3, 3, v6
	v_add_lshl_u32 v9, v9, v0, 3
	s_waitcnt lgkmcnt(0)
	s_barrier
	buffer_gl0_inv
	ds_load_b64 v[17:18], v11
	ds_load_b128 v[12:15], v3 offset:9088
	ds_load_2addr_b64 v[28:31], v9 offset1:33
	ds_load_b128 v[32:35], v3 offset:9104
	ds_load_b64 v[23:24], v9 offset:528
	v_cmp_gt_u32_e64 s4, 32, v26
	s_waitcnt lgkmcnt(0)
	s_barrier
	buffer_gl0_inv
	v_dual_mul_f32 v36, v13, v18 :: v_dual_mul_f32 v37, v15, v29
	v_dual_mul_f32 v18, v12, v18 :: v_dual_mul_f32 v29, v14, v29
	v_mul_f32_e32 v38, v33, v31
	s_delay_alu instid0(VALU_DEP_3) | instskip(NEXT) | instid1(VALU_DEP_3)
	v_fma_f32 v12, v12, v17, -v36
	v_dual_mul_f32 v31, v32, v31 :: v_dual_fmac_f32 v18, v13, v17
	v_fma_f32 v14, v14, v28, -v37
	s_delay_alu instid0(VALU_DEP_4) | instskip(NEXT) | instid1(VALU_DEP_4)
	v_fma_f32 v17, v32, v30, -v38
	v_add_f32_e32 v12, 0, v12
	v_mul_f32_e32 v13, v35, v24
	v_fmac_f32_e32 v31, v33, v30
	s_delay_alu instid0(VALU_DEP_3) | instskip(SKIP_1) | instid1(VALU_DEP_4)
	v_dual_add_f32 v12, v12, v14 :: v_dual_fmac_f32 v29, v15, v28
	v_dual_add_f32 v15, 0, v18 :: v_dual_mul_f32 v18, v34, v24
	v_fma_f32 v13, v34, v23, -v13
	s_delay_alu instid0(VALU_DEP_3) | instskip(NEXT) | instid1(VALU_DEP_3)
	v_dual_add_f32 v12, v12, v17 :: v_dual_mov_b32 v17, 0
	v_add_f32_e32 v14, v15, v29
	s_delay_alu instid0(VALU_DEP_4) | instskip(SKIP_1) | instid1(VALU_DEP_3)
	v_fmac_f32_e32 v18, v35, v23
	v_add_lshl_u32 v28, v5, v27, 3
	v_add_f32_e32 v14, v14, v31
	s_delay_alu instid0(VALU_DEP_1)
	v_dual_add_f32 v12, v12, v13 :: v_dual_add_f32 v13, v14, v18
	v_mov_b32_e32 v18, 0
	ds_store_b64 v28, v[12:13]
	s_waitcnt lgkmcnt(0)
	s_barrier
	buffer_gl0_inv
	s_and_saveexec_b32 s13, s4
	s_cbranch_execz .LBB14_56
; %bb.55:
	v_lshlrev_b32_e32 v17, 3, v27
	ds_load_2addr_b64 v[12:15], v17 offset1:7
	ds_load_2addr_b64 v[29:32], v17 offset0:1 offset1:2
	ds_load_2addr_b64 v[33:36], v17 offset0:3 offset1:4
	;; [unrolled: 1-line block ×3, first 2 shown]
	s_waitcnt lgkmcnt(2)
	v_dual_add_f32 v12, v29, v12 :: v_dual_add_f32 v13, v30, v13
	s_delay_alu instid0(VALU_DEP_1) | instskip(SKIP_1) | instid1(VALU_DEP_1)
	v_dual_add_f32 v12, v12, v31 :: v_dual_add_f32 v13, v13, v32
	s_waitcnt lgkmcnt(1)
	v_dual_add_f32 v12, v12, v33 :: v_dual_add_f32 v13, v13, v34
	s_delay_alu instid0(VALU_DEP_1) | instskip(SKIP_1) | instid1(VALU_DEP_1)
	v_dual_add_f32 v12, v12, v35 :: v_dual_add_f32 v13, v13, v36
	s_waitcnt lgkmcnt(0)
	v_dual_add_f32 v12, v12, v37 :: v_dual_add_f32 v13, v13, v38
	s_delay_alu instid0(VALU_DEP_1) | instskip(NEXT) | instid1(VALU_DEP_1)
	v_dual_add_f32 v12, v12, v39 :: v_dual_add_f32 v13, v13, v40
	v_dual_add_f32 v17, v12, v14 :: v_dual_add_f32 v18, v13, v15
.LBB14_56:
	s_or_b32 exec_lo, exec_lo, s13
	s_lshl_b32 s20, s12, 5
	v_cndmask_b32_e64 v12, 0, 1, s9
	s_ashr_i32 s21, s20, 31
	s_delay_alu instid0(SALU_CYCLE_1)
	s_lshl_b64 s[20:21], s[20:21], 3
	s_barrier
	v_add_co_u32 v1, vcc_lo, v1, s20
	v_add_co_ci_u32_e32 v2, vcc_lo, s21, v2, vcc_lo
	buffer_gl0_inv
	v_add_co_u32 v13, vcc_lo, 0x100, v1
	v_add_co_ci_u32_e32 v14, vcc_lo, 0, v2, vcc_lo
	s_and_not1_b32 vcc_lo, exec_lo, s9
	s_cbranch_vccnz .LBB14_58
; %bb.57:
	s_lshl_b32 s22, s12, 3
	s_ashr_i32 s13, s12, 31
	s_ashr_i32 s23, s22, 31
	v_mul_u32_u24_e32 v15, 33, v5
	s_lshl_b64 s[22:23], s[22:23], 3
	s_delay_alu instid0(SALU_CYCLE_1) | instskip(SKIP_3) | instid1(VALU_DEP_3)
	v_add_co_u32 v23, vcc_lo, v1, s22
	v_add_co_ci_u32_e32 v24, vcc_lo, s23, v2, vcc_lo
	s_lshl_b64 s[22:23], s[12:13], 6
	v_add_lshl_u32 v15, v15, v0, 3
	v_add_co_u32 v29, vcc_lo, v23, s22
	s_delay_alu instid0(VALU_DEP_3) | instskip(NEXT) | instid1(VALU_DEP_2)
	v_add_co_ci_u32_e32 v30, vcc_lo, s23, v24, vcc_lo
	v_add_co_u32 v31, vcc_lo, v29, s22
	s_delay_alu instid0(VALU_DEP_2)
	v_add_co_ci_u32_e32 v32, vcc_lo, s23, v30, vcc_lo
	s_clause 0x3
	global_load_b64 v[1:2], v[1:2], off offset:256
	global_load_b64 v[23:24], v[23:24], off offset:256
	;; [unrolled: 1-line block ×4, first 2 shown]
	s_waitcnt vmcnt(3)
	ds_store_b64 v15, v[1:2]
	s_waitcnt vmcnt(2)
	ds_store_b64 v15, v[23:24] offset:2112
	s_waitcnt vmcnt(1)
	ds_store_b64 v15, v[29:30] offset:4224
	;; [unrolled: 2-line block ×3, first 2 shown]
	s_cbranch_execz .LBB14_59
	s_branch .LBB14_76
.LBB14_58:
.LBB14_59:
	v_lshlrev_b32_e32 v15, 3, v0
	s_ashr_i32 s17, s16, 31
	v_or_b32_e32 v23, 32, v0
	s_lshl_b64 s[22:23], s[16:17], 3
	s_sub_i32 s13, s16, 32
	v_sub_co_u32 v1, vcc_lo, v13, v15
	v_subrev_co_ci_u32_e32 v2, vcc_lo, 0, v14, vcc_lo
	v_cmp_le_i32_e64 s9, s13, v5
	s_delay_alu instid0(VALU_DEP_3) | instskip(NEXT) | instid1(VALU_DEP_3)
	v_add_co_u32 v1, vcc_lo, v1, s22
	v_add_co_ci_u32_e32 v2, vcc_lo, s23, v2, vcc_lo
	s_delay_alu instid0(VALU_DEP_2) | instskip(NEXT) | instid1(VALU_DEP_2)
	v_add_co_u32 v1, vcc_lo, 0xfffffef8, v1
	v_add_co_ci_u32_e32 v2, vcc_lo, -1, v2, vcc_lo
	v_cmp_gt_i32_e32 vcc_lo, s16, v23
	v_mul_u32_u24_e32 v23, 33, v5
	s_delay_alu instid0(VALU_DEP_3) | instskip(NEXT) | instid1(VALU_DEP_2)
	v_dual_cndmask_b32 v2, v2, v14 :: v_dual_cndmask_b32 v1, v1, v13
	v_add_lshl_u32 v23, v23, v0, 3
	s_and_saveexec_b32 s17, s9
	s_delay_alu instid0(SALU_CYCLE_1)
	s_xor_b32 s9, exec_lo, s17
	s_cbranch_execz .LBB14_61
; %bb.60:
	v_mov_b32_e32 v29, 0
	s_delay_alu instid0(VALU_DEP_1)
	v_mov_b32_e32 v30, v29
	ds_store_b64 v23, v[29:30]
.LBB14_61:
	s_and_not1_saveexec_b32 s9, s9
	s_cbranch_execz .LBB14_63
; %bb.62:
	global_load_b64 v[29:30], v[1:2], off
	s_waitcnt vmcnt(0)
	ds_store_b64 v23, v[29:30]
.LBB14_63:
	s_or_b32 exec_lo, exec_lo, s9
	v_add_nc_u32_e32 v24, 8, v5
	s_delay_alu instid0(VALU_DEP_1) | instskip(NEXT) | instid1(VALU_DEP_1)
	v_cmp_le_i32_e64 s9, s13, v24
	s_and_saveexec_b32 s17, s9
	s_delay_alu instid0(SALU_CYCLE_1)
	s_xor_b32 s9, exec_lo, s17
	s_cbranch_execz .LBB14_65
; %bb.64:
	v_mul_u32_u24_e32 v24, 33, v24
	v_mov_b32_e32 v29, 0
	s_delay_alu instid0(VALU_DEP_2) | instskip(NEXT) | instid1(VALU_DEP_2)
	v_add_lshl_u32 v24, v24, v0, 3
	v_mov_b32_e32 v30, v29
	ds_store_b64 v24, v[29:30]
.LBB14_65:
	s_and_not1_saveexec_b32 s17, s9
	s_cbranch_execz .LBB14_67
; %bb.66:
	s_lshl_b32 s28, s12, 3
	s_delay_alu instid0(SALU_CYCLE_1) | instskip(NEXT) | instid1(SALU_CYCLE_1)
	s_ashr_i32 s29, s28, 31
	s_lshl_b64 s[28:29], s[28:29], 3
	s_delay_alu instid0(SALU_CYCLE_1) | instskip(NEXT) | instid1(VALU_DEP_1)
	v_add_co_u32 v29, s9, v1, s28
	v_add_co_ci_u32_e64 v30, s9, s29, v2, s9
	global_load_b64 v[29:30], v[29:30], off
	s_waitcnt vmcnt(0)
	ds_store_b64 v23, v[29:30] offset:2112
.LBB14_67:
	s_or_b32 exec_lo, exec_lo, s17
	v_add_nc_u32_e32 v24, 16, v5
	s_delay_alu instid0(VALU_DEP_1) | instskip(NEXT) | instid1(VALU_DEP_1)
	v_cmp_le_i32_e64 s9, s13, v24
	s_and_saveexec_b32 s17, s9
	s_delay_alu instid0(SALU_CYCLE_1)
	s_xor_b32 s9, exec_lo, s17
	s_cbranch_execz .LBB14_69
; %bb.68:
	v_mul_u32_u24_e32 v24, 33, v24
	v_mov_b32_e32 v29, 0
	s_delay_alu instid0(VALU_DEP_2) | instskip(NEXT) | instid1(VALU_DEP_2)
	v_add_lshl_u32 v24, v24, v0, 3
	v_mov_b32_e32 v30, v29
	ds_store_b64 v24, v[29:30]
.LBB14_69:
	s_and_not1_saveexec_b32 s17, s9
	s_cbranch_execz .LBB14_71
; %bb.70:
	s_lshl_b32 s28, s12, 4
	s_delay_alu instid0(SALU_CYCLE_1) | instskip(NEXT) | instid1(SALU_CYCLE_1)
	s_ashr_i32 s29, s28, 31
	s_lshl_b64 s[28:29], s[28:29], 3
	s_delay_alu instid0(SALU_CYCLE_1) | instskip(NEXT) | instid1(VALU_DEP_1)
	v_add_co_u32 v29, s9, v1, s28
	v_add_co_ci_u32_e64 v30, s9, s29, v2, s9
	global_load_b64 v[29:30], v[29:30], off
	s_waitcnt vmcnt(0)
	ds_store_b64 v23, v[29:30] offset:4224
.LBB14_71:
	s_or_b32 exec_lo, exec_lo, s17
	v_add_nc_u32_e32 v24, 24, v5
	s_delay_alu instid0(VALU_DEP_1) | instskip(NEXT) | instid1(VALU_DEP_1)
	v_cmp_le_i32_e64 s9, s13, v24
	s_and_saveexec_b32 s13, s9
	s_delay_alu instid0(SALU_CYCLE_1)
	s_xor_b32 s9, exec_lo, s13
	s_cbranch_execz .LBB14_73
; %bb.72:
	v_mov_b32_e32 v29, 0
	s_delay_alu instid0(VALU_DEP_1)
	v_mov_b32_e32 v30, v29
	ds_store_b64 v23, v[29:30] offset:6336
                                        ; implicit-def: $vgpr23
.LBB14_73:
	s_and_not1_saveexec_b32 s13, s9
	s_cbranch_execz .LBB14_75
; %bb.74:
	s_mul_i32 s28, s12, 24
	s_delay_alu instid0(SALU_CYCLE_1) | instskip(NEXT) | instid1(SALU_CYCLE_1)
	s_ashr_i32 s29, s28, 31
	s_lshl_b64 s[28:29], s[28:29], 3
	s_delay_alu instid0(SALU_CYCLE_1) | instskip(NEXT) | instid1(VALU_DEP_1)
	v_add_co_u32 v29, s9, v1, s28
	v_add_co_ci_u32_e64 v30, s9, s29, v2, s9
	global_load_b64 v[29:30], v[29:30], off
	s_waitcnt vmcnt(0)
	ds_store_b64 v23, v[29:30] offset:6336
.LBB14_75:
	s_or_b32 exec_lo, exec_lo, s13
	v_add_co_u32 v1, s9, v1, v15
	s_delay_alu instid0(VALU_DEP_1) | instskip(NEXT) | instid1(VALU_DEP_2)
	v_add_co_ci_u32_e64 v2, s9, 0, v2, s9
	v_sub_co_u32 v1, s9, v1, s22
	s_delay_alu instid0(VALU_DEP_1) | instskip(NEXT) | instid1(VALU_DEP_2)
	v_subrev_co_ci_u32_e64 v2, s9, s23, v2, s9
	v_add_co_u32 v1, s9, 0x108, v1
	s_delay_alu instid0(VALU_DEP_1) | instskip(NEXT) | instid1(VALU_DEP_1)
	v_add_co_ci_u32_e64 v2, s9, 0, v2, s9
	v_dual_cndmask_b32 v13, v1, v13 :: v_dual_cndmask_b32 v14, v2, v14
.LBB14_76:
	v_add_nc_u32_e32 v3, 0x2380, v3
	s_waitcnt lgkmcnt(0)
	s_barrier
	buffer_gl0_inv
	s_and_saveexec_b32 s9, s5
	s_delay_alu instid0(SALU_CYCLE_1)
	s_xor_b32 s5, exec_lo, s9
	s_cbranch_execnz .LBB14_89
; %bb.77:
	s_and_not1_saveexec_b32 s5, s5
	s_cbranch_execnz .LBB14_92
.LBB14_78:
	s_or_b32 exec_lo, exec_lo, s5
	s_and_saveexec_b32 s5, s6
	s_delay_alu instid0(SALU_CYCLE_1)
	s_xor_b32 s5, exec_lo, s5
	s_cbranch_execnz .LBB14_93
.LBB14_79:
	s_and_not1_saveexec_b32 s5, s5
	s_cbranch_execnz .LBB14_96
.LBB14_80:
	s_or_b32 exec_lo, exec_lo, s5
	s_and_saveexec_b32 s5, s7
	s_delay_alu instid0(SALU_CYCLE_1)
	s_xor_b32 s5, exec_lo, s5
	s_cbranch_execnz .LBB14_97
.LBB14_81:
	s_and_not1_saveexec_b32 s5, s5
	s_cbranch_execnz .LBB14_100
.LBB14_82:
	s_or_b32 exec_lo, exec_lo, s5
	s_and_saveexec_b32 s5, s8
	s_delay_alu instid0(SALU_CYCLE_1)
	s_xor_b32 s5, exec_lo, s5
	s_cbranch_execnz .LBB14_101
.LBB14_83:
	s_and_not1_saveexec_b32 s5, s5
	s_cbranch_execz .LBB14_85
.LBB14_84:
	ds_load_b64 v[1:2], v9 offset:528
	s_waitcnt lgkmcnt(0)
	v_xor_b32_e32 v2, 0x80000000, v2
	ds_store_b64 v4, v[1:2] offset:24
.LBB14_85:
	s_or_b32 exec_lo, exec_lo, s5
	s_waitcnt lgkmcnt(0)
	s_barrier
	buffer_gl0_inv
	ds_load_b64 v[1:2], v11
	ds_load_b128 v[29:32], v3 offset:256
	ds_load_2addr_b64 v[33:36], v9 offset1:33
	ds_load_b128 v[37:40], v3 offset:272
	ds_load_b64 v[6:7], v9 offset:528
	v_cmp_eq_u32_e64 s5, 1, v5
	s_waitcnt lgkmcnt(0)
	s_barrier
	buffer_gl0_inv
	v_mul_f32_e32 v8, v30, v2
	v_dual_mul_f32 v2, v29, v2 :: v_dual_mul_f32 v11, v38, v36
	v_mul_f32_e32 v9, v32, v34
	v_mul_f32_e32 v15, v37, v36
	s_delay_alu instid0(VALU_DEP_4) | instskip(NEXT) | instid1(VALU_DEP_4)
	v_fma_f32 v8, v29, v1, -v8
	v_fmac_f32_e32 v2, v30, v1
	v_dual_mul_f32 v10, v31, v34 :: v_dual_mul_f32 v1, v40, v7
	v_fma_f32 v9, v31, v33, -v9
	s_delay_alu instid0(VALU_DEP_4) | instskip(NEXT) | instid1(VALU_DEP_3)
	v_dual_add_f32 v8, 0, v8 :: v_dual_fmac_f32 v15, v38, v35
	v_dual_fmac_f32 v10, v32, v33 :: v_dual_mul_f32 v7, v39, v7
	v_fma_f32 v11, v37, v35, -v11
	s_delay_alu instid0(VALU_DEP_3) | instskip(SKIP_1) | instid1(VALU_DEP_4)
	v_add_f32_e32 v8, v8, v9
	v_fma_f32 v1, v39, v6, -v1
	v_fmac_f32_e32 v7, v40, v6
	s_delay_alu instid0(VALU_DEP_3) | instskip(NEXT) | instid1(VALU_DEP_1)
	v_add_f32_e32 v6, v8, v11
	v_dual_add_f32 v2, 0, v2 :: v_dual_add_f32 v1, v6, v1
	s_delay_alu instid0(VALU_DEP_1) | instskip(NEXT) | instid1(VALU_DEP_1)
	v_add_f32_e32 v2, v2, v10
	v_add_f32_e32 v2, v2, v15
	s_delay_alu instid0(VALU_DEP_1)
	v_add_f32_e32 v2, v2, v7
	ds_store_b64 v28, v[1:2]
	s_waitcnt lgkmcnt(0)
	s_barrier
	buffer_gl0_inv
	s_and_saveexec_b32 s6, s5
	s_cbranch_execz .LBB14_87
; %bb.86:
	v_lshlrev_b32_e32 v1, 3, v27
	ds_load_2addr_b64 v[6:9], v1 offset1:7
	ds_load_2addr_b64 v[29:32], v1 offset0:1 offset1:2
	ds_load_2addr_b64 v[33:36], v1 offset0:3 offset1:4
	;; [unrolled: 1-line block ×3, first 2 shown]
	s_waitcnt lgkmcnt(2)
	v_dual_add_f32 v1, v29, v6 :: v_dual_add_f32 v2, v30, v7
	s_delay_alu instid0(VALU_DEP_1) | instskip(SKIP_1) | instid1(VALU_DEP_1)
	v_dual_add_f32 v2, v2, v32 :: v_dual_add_f32 v1, v1, v31
	s_waitcnt lgkmcnt(1)
	v_dual_add_f32 v2, v2, v34 :: v_dual_add_f32 v1, v1, v33
	s_delay_alu instid0(VALU_DEP_1) | instskip(SKIP_1) | instid1(VALU_DEP_1)
	v_dual_add_f32 v2, v2, v36 :: v_dual_add_f32 v1, v1, v35
	s_waitcnt lgkmcnt(0)
	v_dual_add_f32 v2, v2, v38 :: v_dual_add_f32 v1, v1, v37
	s_delay_alu instid0(VALU_DEP_1) | instskip(NEXT) | instid1(VALU_DEP_1)
	v_dual_add_f32 v2, v2, v40 :: v_dual_add_f32 v1, v1, v39
	v_dual_add_f32 v18, v2, v9 :: v_dual_add_f32 v17, v1, v8
.LBB14_87:
	s_or_b32 exec_lo, exec_lo, s6
	v_cmp_ne_u32_e32 vcc_lo, 1, v12
	v_sub_co_u32 v23, s6, v13, s20
	s_delay_alu instid0(VALU_DEP_1)
	v_subrev_co_ci_u32_e64 v24, s6, s21, v14, s6
	s_barrier
	buffer_gl0_inv
	s_cbranch_vccnz .LBB14_104
; %bb.88:
	s_lshl_b32 s6, s12, 3
	s_ashr_i32 s13, s12, 31
	s_ashr_i32 s7, s6, 31
	v_add_nc_u32_e32 v10, 24, v5
	s_lshl_b64 s[6:7], s[6:7], 3
	s_delay_alu instid0(SALU_CYCLE_1)
	v_add_co_u32 v1, vcc_lo, v23, s6
	v_add_co_ci_u32_e32 v2, vcc_lo, s7, v24, vcc_lo
	s_lshl_b64 s[6:7], s[12:13], 6
	s_delay_alu instid0(VALU_DEP_2) | instid1(SALU_CYCLE_1)
	v_add_co_u32 v6, vcc_lo, v1, s6
	s_delay_alu instid0(VALU_DEP_2) | instskip(NEXT) | instid1(VALU_DEP_2)
	v_add_co_ci_u32_e32 v7, vcc_lo, s7, v2, vcc_lo
	v_add_co_u32 v8, vcc_lo, v6, s6
	s_delay_alu instid0(VALU_DEP_2)
	v_add_co_ci_u32_e32 v9, vcc_lo, s7, v7, vcc_lo
	s_clause 0x3
	global_load_b64 v[12:13], v[23:24], off
	global_load_b64 v[14:15], v[1:2], off
	;; [unrolled: 1-line block ×4, first 2 shown]
	v_mad_u32_u24 v6, v5, 33, v0
	v_add_nc_u32_e32 v7, 8, v5
	v_add_nc_u32_e32 v8, 16, v5
	s_delay_alu instid0(VALU_DEP_3)
	v_lshlrev_b32_e32 v9, 3, v6
	v_add_nc_u32_e32 v1, 0x108, v6
	v_add_nc_u32_e32 v2, 0x210, v6
	;; [unrolled: 1-line block ×3, first 2 shown]
	s_waitcnt vmcnt(3)
	ds_store_b64 v9, v[12:13]
	s_waitcnt vmcnt(2)
	ds_store_b64 v9, v[14:15] offset:2112
	s_waitcnt vmcnt(1)
	ds_store_b64 v9, v[29:30] offset:4224
	;; [unrolled: 2-line block ×3, first 2 shown]
	s_cbranch_execz .LBB14_105
	s_branch .LBB14_122
.LBB14_89:
	s_mov_b32 s9, exec_lo
	v_cmpx_eq_u32_e64 v6, v0
	s_cbranch_execz .LBB14_91
; %bb.90:
	v_mul_u32_u24_e32 v1, 34, v0
	s_delay_alu instid0(VALU_DEP_1)
	v_dual_mov_b32 v2, 0 :: v_dual_lshlrev_b32 v1, 3, v1
	ds_store_b32 v1, v2 offset:4
.LBB14_91:
	s_or_b32 exec_lo, exec_lo, s9
	s_and_not1_saveexec_b32 s5, s5
	s_cbranch_execz .LBB14_78
.LBB14_92:
	ds_load_b64 v[1:2], v11
	s_waitcnt lgkmcnt(0)
	v_xor_b32_e32 v2, 0x80000000, v2
	ds_store_b64 v4, v[1:2]
	s_or_b32 exec_lo, exec_lo, s5
	s_and_saveexec_b32 s5, s6
	s_delay_alu instid0(SALU_CYCLE_1)
	s_xor_b32 s5, exec_lo, s5
	s_cbranch_execz .LBB14_79
.LBB14_93:
	s_mov_b32 s6, exec_lo
	v_cmpx_eq_u32_e64 v7, v0
	s_cbranch_execz .LBB14_95
; %bb.94:
	v_mul_u32_u24_e32 v1, 34, v0
	s_delay_alu instid0(VALU_DEP_1)
	v_dual_mov_b32 v2, 0 :: v_dual_lshlrev_b32 v1, 3, v1
	ds_store_b32 v1, v2 offset:4
.LBB14_95:
	s_or_b32 exec_lo, exec_lo, s6
	s_and_not1_saveexec_b32 s5, s5
	s_cbranch_execz .LBB14_80
.LBB14_96:
	ds_load_b64 v[1:2], v9
	s_waitcnt lgkmcnt(0)
	v_xor_b32_e32 v2, 0x80000000, v2
	ds_store_b64 v4, v[1:2] offset:8
	s_or_b32 exec_lo, exec_lo, s5
	s_and_saveexec_b32 s5, s7
	s_delay_alu instid0(SALU_CYCLE_1)
	s_xor_b32 s5, exec_lo, s5
	s_cbranch_execz .LBB14_81
.LBB14_97:
	s_mov_b32 s6, exec_lo
	v_cmpx_eq_u32_e64 v8, v0
	s_cbranch_execz .LBB14_99
; %bb.98:
	v_mul_u32_u24_e32 v1, 34, v0
	s_delay_alu instid0(VALU_DEP_1)
	v_dual_mov_b32 v2, 0 :: v_dual_lshlrev_b32 v1, 3, v1
	ds_store_b32 v1, v2 offset:4
.LBB14_99:
	s_or_b32 exec_lo, exec_lo, s6
	s_and_not1_saveexec_b32 s5, s5
	s_cbranch_execz .LBB14_82
.LBB14_100:
	ds_load_b64 v[1:2], v9 offset:264
	s_waitcnt lgkmcnt(0)
	v_xor_b32_e32 v2, 0x80000000, v2
	ds_store_b64 v4, v[1:2] offset:16
	s_or_b32 exec_lo, exec_lo, s5
	s_and_saveexec_b32 s5, s8
	s_delay_alu instid0(SALU_CYCLE_1)
	s_xor_b32 s5, exec_lo, s5
	s_cbranch_execz .LBB14_83
.LBB14_101:
	s_mov_b32 s6, exec_lo
	v_cmpx_eq_u32_e64 v10, v0
	s_cbranch_execz .LBB14_103
; %bb.102:
	v_mul_u32_u24_e32 v1, 34, v0
	s_delay_alu instid0(VALU_DEP_1)
	v_dual_mov_b32 v2, 0 :: v_dual_lshlrev_b32 v1, 3, v1
	ds_store_b32 v1, v2 offset:4
.LBB14_103:
	s_or_b32 exec_lo, exec_lo, s6
	s_and_not1_saveexec_b32 s5, s5
	s_cbranch_execnz .LBB14_84
	s_branch .LBB14_85
.LBB14_104:
                                        ; implicit-def: $vgpr6
                                        ; implicit-def: $vgpr7
                                        ; implicit-def: $vgpr1
                                        ; implicit-def: $vgpr8
                                        ; implicit-def: $vgpr2
                                        ; implicit-def: $vgpr10
                                        ; implicit-def: $vgpr11
.LBB14_105:
	v_lshlrev_b32_e32 v9, 3, v0
	s_ashr_i32 s17, s16, 31
	v_or_b32_e32 v6, 32, v0
	s_lshl_b64 s[8:9], s[16:17], 3
	v_cmp_le_i32_e64 s6, s16, v5
	v_sub_co_u32 v1, vcc_lo, v23, v9
	v_subrev_co_ci_u32_e32 v2, vcc_lo, 0, v24, vcc_lo
	s_delay_alu instid0(VALU_DEP_2) | instskip(NEXT) | instid1(VALU_DEP_2)
	v_add_co_u32 v1, vcc_lo, v1, s8
	v_add_co_ci_u32_e32 v2, vcc_lo, s9, v2, vcc_lo
	s_delay_alu instid0(VALU_DEP_2) | instskip(NEXT) | instid1(VALU_DEP_2)
	v_add_co_u32 v1, vcc_lo, 0xfffffef8, v1
	v_add_co_ci_u32_e32 v2, vcc_lo, -1, v2, vcc_lo
	v_cmp_gt_i32_e32 vcc_lo, s16, v6
	v_mad_u32_u24 v6, v5, 33, v0
	s_delay_alu instid0(VALU_DEP_3) | instskip(NEXT) | instid1(VALU_DEP_2)
	v_dual_cndmask_b32 v2, v2, v24 :: v_dual_cndmask_b32 v1, v1, v23
	v_lshlrev_b32_e32 v12, 3, v6
	s_and_saveexec_b32 s7, s6
	s_delay_alu instid0(SALU_CYCLE_1)
	s_xor_b32 s6, exec_lo, s7
	s_cbranch_execz .LBB14_107
; %bb.106:
	v_mov_b32_e32 v7, 0
	s_delay_alu instid0(VALU_DEP_1)
	v_mov_b32_e32 v8, v7
	ds_store_b64 v12, v[7:8]
.LBB14_107:
	s_and_not1_saveexec_b32 s6, s6
	s_cbranch_execz .LBB14_109
; %bb.108:
	global_load_b64 v[7:8], v[1:2], off
	s_waitcnt vmcnt(0)
	ds_store_b64 v12, v[7:8]
.LBB14_109:
	s_or_b32 exec_lo, exec_lo, s6
	v_add_nc_u32_e32 v7, 8, v5
	s_delay_alu instid0(VALU_DEP_1) | instskip(NEXT) | instid1(VALU_DEP_1)
	v_cmp_le_i32_e64 s6, s16, v7
	s_and_saveexec_b32 s7, s6
	s_delay_alu instid0(SALU_CYCLE_1)
	s_xor_b32 s6, exec_lo, s7
	s_cbranch_execz .LBB14_111
; %bb.110:
	v_mul_u32_u24_e32 v8, 33, v7
	v_mov_b32_e32 v10, 0
	s_delay_alu instid0(VALU_DEP_2) | instskip(NEXT) | instid1(VALU_DEP_2)
	v_add_lshl_u32 v8, v8, v0, 3
	v_mov_b32_e32 v11, v10
	ds_store_b64 v8, v[10:11]
.LBB14_111:
	s_and_not1_saveexec_b32 s7, s6
	s_cbranch_execz .LBB14_113
; %bb.112:
	s_lshl_b32 s20, s12, 3
	s_delay_alu instid0(SALU_CYCLE_1) | instskip(NEXT) | instid1(SALU_CYCLE_1)
	s_ashr_i32 s21, s20, 31
	s_lshl_b64 s[20:21], s[20:21], 3
	s_delay_alu instid0(SALU_CYCLE_1) | instskip(NEXT) | instid1(VALU_DEP_1)
	v_add_co_u32 v10, s6, v1, s20
	v_add_co_ci_u32_e64 v11, s6, s21, v2, s6
	global_load_b64 v[10:11], v[10:11], off
	s_waitcnt vmcnt(0)
	ds_store_b64 v12, v[10:11] offset:2112
.LBB14_113:
	s_or_b32 exec_lo, exec_lo, s7
	v_add_nc_u32_e32 v8, 16, v5
	s_delay_alu instid0(VALU_DEP_1) | instskip(NEXT) | instid1(VALU_DEP_1)
	v_cmp_le_i32_e64 s6, s16, v8
	s_and_saveexec_b32 s7, s6
	s_delay_alu instid0(SALU_CYCLE_1)
	s_xor_b32 s6, exec_lo, s7
	s_cbranch_execz .LBB14_115
; %bb.114:
	v_mul_u32_u24_e32 v11, 33, v8
	v_mov_b32_e32 v10, 0
	s_delay_alu instid0(VALU_DEP_2) | instskip(NEXT) | instid1(VALU_DEP_2)
	v_add_lshl_u32 v13, v11, v0, 3
	v_mov_b32_e32 v11, v10
	ds_store_b64 v13, v[10:11]
.LBB14_115:
	s_and_not1_saveexec_b32 s7, s6
	s_cbranch_execz .LBB14_117
; %bb.116:
	s_lshl_b32 s20, s12, 4
	s_delay_alu instid0(SALU_CYCLE_1) | instskip(NEXT) | instid1(SALU_CYCLE_1)
	s_ashr_i32 s21, s20, 31
	s_lshl_b64 s[20:21], s[20:21], 3
	s_delay_alu instid0(SALU_CYCLE_1) | instskip(NEXT) | instid1(VALU_DEP_1)
	v_add_co_u32 v10, s6, v1, s20
	v_add_co_ci_u32_e64 v11, s6, s21, v2, s6
	global_load_b64 v[10:11], v[10:11], off
	s_waitcnt vmcnt(0)
	ds_store_b64 v12, v[10:11] offset:4224
.LBB14_117:
	s_or_b32 exec_lo, exec_lo, s7
	v_add_nc_u32_e32 v10, 24, v5
                                        ; implicit-def: $vgpr11
	s_delay_alu instid0(VALU_DEP_1) | instskip(NEXT) | instid1(VALU_DEP_1)
	v_cmp_le_i32_e64 s6, s16, v10
	s_and_saveexec_b32 s7, s6
	s_delay_alu instid0(SALU_CYCLE_1)
	s_xor_b32 s6, exec_lo, s7
	s_cbranch_execz .LBB14_119
; %bb.118:
	v_mad_u32_u24 v11, v10, 33, v0
	v_mov_b32_e32 v12, 0
	s_delay_alu instid0(VALU_DEP_1)
	v_dual_mov_b32 v13, v12 :: v_dual_lshlrev_b32 v0, 3, v11
	ds_store_b64 v0, v[12:13]
                                        ; implicit-def: $vgpr12
.LBB14_119:
	s_and_not1_saveexec_b32 s7, s6
	s_cbranch_execz .LBB14_121
; %bb.120:
	s_mul_i32 s20, s12, 24
	v_add_nc_u32_e32 v11, 0x318, v6
	s_ashr_i32 s21, s20, 31
	s_delay_alu instid0(SALU_CYCLE_1) | instskip(NEXT) | instid1(SALU_CYCLE_1)
	s_lshl_b64 s[20:21], s[20:21], 3
	v_add_co_u32 v13, s6, v1, s20
	s_delay_alu instid0(VALU_DEP_1)
	v_add_co_ci_u32_e64 v14, s6, s21, v2, s6
	global_load_b64 v[13:14], v[13:14], off
	s_waitcnt vmcnt(0)
	ds_store_b64 v12, v[13:14] offset:6336
.LBB14_121:
	s_or_b32 exec_lo, exec_lo, s7
	v_add_co_u32 v0, s6, v1, v9
	s_delay_alu instid0(VALU_DEP_1) | instskip(NEXT) | instid1(VALU_DEP_2)
	v_add_co_ci_u32_e64 v1, s6, 0, v2, s6
	v_sub_co_u32 v0, s6, v0, s8
	s_delay_alu instid0(VALU_DEP_1) | instskip(NEXT) | instid1(VALU_DEP_2)
	v_subrev_co_ci_u32_e64 v1, s6, s9, v1, s6
	v_add_co_u32 v0, s6, 0x108, v0
	s_delay_alu instid0(VALU_DEP_1) | instskip(SKIP_1) | instid1(VALU_DEP_2)
	v_add_co_ci_u32_e64 v2, s6, 0, v1, s6
	v_add_nc_u32_e32 v1, 0x108, v6
	v_dual_cndmask_b32 v23, v0, v23 :: v_dual_cndmask_b32 v24, v2, v24
	v_add_nc_u32_e32 v2, 0x210, v6
.LBB14_122:
	v_lshlrev_b32_e32 v0, 3, v6
	v_lshlrev_b32_e32 v5, 3, v5
	;; [unrolled: 1-line block ×8, first 2 shown]
	s_waitcnt lgkmcnt(0)
	s_barrier
	buffer_gl0_inv
	ds_load_b64 v[29:30], v0
	ds_load_b64 v[31:32], v5 offset:9088
	ds_load_b64 v[33:34], v1
	ds_load_b64 v[35:36], v6 offset:9088
	;; [unrolled: 2-line block ×4, first 2 shown]
	ds_load_b128 v[8:11], v3 offset:256
	ds_load_b128 v[0:3], v3 offset:272
	ds_load_2addr_b64 v[12:15], v4 offset1:1
	ds_load_2addr_b64 v[4:7], v4 offset0:2 offset1:3
	s_waitcnt lgkmcnt(0)
	s_barrier
	buffer_gl0_inv
	v_mul_f32_e32 v45, v32, v30
	v_mul_f32_e32 v30, v31, v30
	;; [unrolled: 1-line block ×5, first 2 shown]
	v_fma_f32 v31, v31, v29, -v45
	v_fmac_f32_e32 v30, v32, v29
	v_fma_f32 v32, v35, v33, -v46
	v_dual_mul_f32 v29, v39, v38 :: v_dual_fmac_f32 v34, v36, v33
	s_delay_alu instid0(VALU_DEP_3) | instskip(SKIP_2) | instid1(VALU_DEP_4)
	v_dual_add_f32 v31, 0, v31 :: v_dual_add_f32 v30, 0, v30
	v_fma_f32 v35, v39, v37, -v47
	v_mul_f32_e32 v48, v44, v42
	v_fmac_f32_e32 v29, v40, v37
	s_delay_alu instid0(VALU_DEP_4) | instskip(NEXT) | instid1(VALU_DEP_3)
	v_dual_add_f32 v31, v31, v32 :: v_dual_add_f32 v30, v30, v34
	v_fma_f32 v32, v43, v41, -v48
	s_delay_alu instid0(VALU_DEP_2) | instskip(NEXT) | instid1(VALU_DEP_3)
	v_add_f32_e32 v31, v31, v35
	v_dual_mul_f32 v33, v43, v42 :: v_dual_add_f32 v30, v30, v29
	s_delay_alu instid0(VALU_DEP_1) | instskip(NEXT) | instid1(VALU_DEP_1)
	v_fmac_f32_e32 v33, v44, v41
	v_dual_add_f32 v29, v31, v32 :: v_dual_add_f32 v30, v30, v33
	ds_store_b64 v28, v[29:30]
	s_waitcnt lgkmcnt(0)
	s_barrier
	buffer_gl0_inv
	s_and_saveexec_b32 s6, s5
	s_cbranch_execz .LBB14_124
; %bb.123:
	v_lshlrev_b32_e32 v41, 3, v27
	ds_load_2addr_b64 v[29:32], v41 offset1:1
	ds_load_2addr_b64 v[33:36], v41 offset0:2 offset1:3
	s_waitcnt lgkmcnt(1)
	v_dual_add_f32 v18, v18, v30 :: v_dual_add_f32 v17, v17, v29
	ds_load_2addr_b64 v[37:40], v41 offset0:4 offset1:5
	v_dual_add_f32 v18, v18, v32 :: v_dual_add_f32 v17, v17, v31
	ds_load_2addr_b64 v[29:32], v41 offset0:6 offset1:7
	s_waitcnt lgkmcnt(2)
	v_dual_add_f32 v18, v18, v34 :: v_dual_add_f32 v17, v17, v33
	s_delay_alu instid0(VALU_DEP_1) | instskip(SKIP_1) | instid1(VALU_DEP_1)
	v_dual_add_f32 v18, v18, v36 :: v_dual_add_f32 v17, v17, v35
	s_waitcnt lgkmcnt(1)
	v_dual_add_f32 v18, v18, v38 :: v_dual_add_f32 v17, v17, v37
	s_delay_alu instid0(VALU_DEP_1) | instskip(SKIP_1) | instid1(VALU_DEP_1)
	v_dual_add_f32 v18, v18, v40 :: v_dual_add_f32 v17, v17, v39
	s_waitcnt lgkmcnt(0)
	v_dual_add_f32 v18, v18, v30 :: v_dual_add_f32 v17, v17, v29
	s_delay_alu instid0(VALU_DEP_1)
	v_dual_add_f32 v18, v18, v32 :: v_dual_add_f32 v17, v17, v31
.LBB14_124:
	s_or_b32 exec_lo, exec_lo, s6
	v_dual_mul_f32 v29, v13, v9 :: v_dual_mul_f32 v30, v15, v11
	v_mul_f32_e32 v13, v13, v8
	s_barrier
	buffer_gl0_inv
	v_dual_fmac_f32 v30, v14, v10 :: v_dual_fmac_f32 v29, v12, v8
	v_mul_f32_e32 v15, v15, v10
	v_fma_f32 v8, v12, v9, -v13
	v_mul_f32_e32 v31, v5, v1
	s_delay_alu instid0(VALU_DEP_4) | instskip(NEXT) | instid1(VALU_DEP_4)
	v_dual_mul_f32 v9, v7, v3 :: v_dual_add_f32 v10, 0, v29
	v_fma_f32 v11, v14, v11, -v15
	s_delay_alu instid0(VALU_DEP_4) | instskip(SKIP_1) | instid1(VALU_DEP_4)
	v_add_f32_e32 v8, 0, v8
	v_mul_f32_e32 v5, v5, v0
	v_dual_fmac_f32 v31, v4, v0 :: v_dual_add_f32 v0, v10, v30
	v_mul_f32_e32 v7, v7, v2
	v_fmac_f32_e32 v9, v6, v2
	s_delay_alu instid0(VALU_DEP_4) | instskip(SKIP_3) | instid1(VALU_DEP_3)
	v_fma_f32 v1, v4, v1, -v5
	v_add_f32_e32 v4, v8, v11
	v_add_f32_e32 v0, v0, v31
	v_fma_f32 v2, v6, v3, -v7
	v_add_f32_e32 v1, v4, v1
	s_delay_alu instid0(VALU_DEP_1)
	v_dual_add_f32 v0, v0, v9 :: v_dual_add_f32 v1, v1, v2
	ds_store_b64 v28, v[0:1]
	s_waitcnt lgkmcnt(0)
	s_barrier
	buffer_gl0_inv
	s_and_saveexec_b32 s5, s4
	s_cbranch_execz .LBB14_126
; %bb.125:
	v_lshlrev_b32_e32 v12, 3, v27
	ds_load_2addr_b64 v[0:3], v12 offset1:1
	ds_load_2addr_b64 v[4:7], v12 offset0:2 offset1:3
	s_waitcnt lgkmcnt(1)
	v_add_f32_e32 v1, v18, v1
	ds_load_2addr_b64 v[8:11], v12 offset0:4 offset1:5
	v_add_f32_e32 v14, v1, v3
	s_waitcnt lgkmcnt(1)
	s_delay_alu instid0(VALU_DEP_1) | instskip(NEXT) | instid1(VALU_DEP_1)
	v_dual_add_f32 v0, v17, v0 :: v_dual_add_f32 v5, v14, v5
	v_add_f32_e32 v13, v0, v2
	ds_load_2addr_b64 v[0:3], v12 offset0:6 offset1:7
	v_add_f32_e32 v5, v5, v7
	s_waitcnt lgkmcnt(1)
	s_delay_alu instid0(VALU_DEP_1) | instskip(NEXT) | instid1(VALU_DEP_1)
	v_add_f32_e32 v5, v5, v9
	v_add_f32_e32 v5, v5, v11
	s_waitcnt lgkmcnt(0)
	s_delay_alu instid0(VALU_DEP_1) | instskip(NEXT) | instid1(VALU_DEP_1)
	v_add_f32_e32 v1, v5, v1
	v_add_f32_e32 v18, v1, v3
	;; [unrolled: 1-line block ×3, first 2 shown]
	s_delay_alu instid0(VALU_DEP_1) | instskip(NEXT) | instid1(VALU_DEP_1)
	v_add_f32_e32 v4, v4, v6
	v_add_f32_e32 v4, v4, v8
	s_delay_alu instid0(VALU_DEP_1) | instskip(NEXT) | instid1(VALU_DEP_1)
	v_add_f32_e32 v4, v4, v10
	v_add_f32_e32 v0, v4, v0
	s_delay_alu instid0(VALU_DEP_1)
	v_add_f32_e32 v17, v0, v2
.LBB14_126:
	s_or_b32 exec_lo, exec_lo, s5
	s_load_b64 s[0:1], s[0:1], 0x68
	s_mul_hi_u32 s4, s25, s15
	s_mul_i32 s27, s27, s15
	s_mul_i32 s5, s25, s15
	s_add_i32 s4, s4, s27
	s_mul_hi_u32 s6, s5, s26
	s_mul_i32 s7, s4, s26
	s_mul_i32 s4, s5, s26
	s_add_i32 s5, s6, s7
	s_mul_i32 s6, s14, s25
	s_lshl_b64 s[4:5], s[4:5], 3
	v_cmp_le_i32_e32 vcc_lo, s16, v25
	v_lshlrev_b32_e32 v72, 3, v25
	s_waitcnt lgkmcnt(0)
	s_barrier
	buffer_gl0_inv
	s_add_u32 s4, s0, s4
	s_addc_u32 s5, s1, s5
	s_ashr_i32 s7, s6, 31
	s_delay_alu instid0(SALU_CYCLE_1) | instskip(NEXT) | instid1(SALU_CYCLE_1)
	s_lshl_b64 s[0:1], s[6:7], 3
	s_add_u32 s8, s4, s0
	s_addc_u32 s9, s5, s1
	s_and_b32 vcc_lo, s11, vcc_lo
	s_cmp_lt_i32 s14, 1
	s_cbranch_scc1 .LBB14_133
; %bb.127:
	v_mul_lo_u32 v0, v71, s12
	v_sub_co_u32 v2, s0, v23, s18
	s_delay_alu instid0(VALU_DEP_1) | instskip(SKIP_1) | instid1(VALU_DEP_2)
	v_subrev_co_ci_u32_e64 v3, s0, s19, v24, s0
	s_mul_i32 s4, s10, s24
	v_sub_co_u32 v2, s0, v2, v21
	s_delay_alu instid0(VALU_DEP_4) | instskip(NEXT) | instid1(VALU_DEP_3)
	v_lshl_add_u32 v0, v0, 2, v25
	v_sub_co_ci_u32_e64 v3, s0, v3, v22, s0
	s_ashr_i32 s5, s4, 31
	s_ashr_i32 s17, s16, 31
	s_delay_alu instid0(VALU_DEP_2)
	v_ashrrev_i32_e32 v1, 31, v0
	s_lshl_b64 s[4:5], s[4:5], 3
	s_lshl_b64 s[6:7], s[16:17], 3
	v_and_b32_e32 v6, 15, v25
	v_lshrrev_b32_e32 v7, 4, v26
	v_lshlrev_b64 v[0:1], 3, v[0:1]
	v_add_nc_u32_e32 v76, 0x2380, v72
	v_lshl_add_u32 v80, v71, 5, 0x2180
	v_mad_u32_u24 v81, 0x860, v71, v72
	s_ashr_i32 s13, s12, 31
	s_lshl_b32 s10, s24, 6
	v_add_co_u32 v0, s0, v2, v0
	s_delay_alu instid0(VALU_DEP_1) | instskip(SKIP_1) | instid1(VALU_DEP_2)
	v_add_co_ci_u32_e64 v1, s0, v3, v1, s0
	s_mul_hi_i32 s11, s12, 0x68
	v_sub_co_u32 v2, s0, v0, v72
	s_delay_alu instid0(VALU_DEP_1) | instskip(SKIP_1) | instid1(VALU_DEP_1)
	v_subrev_co_ci_u32_e64 v3, s0, 0, v1, s0
	v_sub_co_u32 v73, s0, v19, s4
	v_subrev_co_ci_u32_e64 v74, s0, s5, v20, s0
	s_delay_alu instid0(VALU_DEP_4) | instskip(NEXT) | instid1(VALU_DEP_1)
	v_add_co_u32 v2, s0, v2, s6
	v_add_co_ci_u32_e64 v3, s0, s7, v3, s0
	v_add_co_u32 v0, s0, 0xffffff00, v0
	s_delay_alu instid0(VALU_DEP_1) | instskip(SKIP_2) | instid1(VALU_DEP_1)
	v_add_co_ci_u32_e64 v4, s0, -1, v1, s0
	v_mov_b32_e32 v1, 0
	v_add_co_u32 v2, s0, 0xfffffef8, v2
	v_add_co_ci_u32_e64 v3, s0, -1, v3, s0
	v_and_b32_e32 v8, 48, v25
	v_add_nc_u32_e32 v75, 0x2180, v72
	v_cmp_gt_u32_e64 s0, 64, v26
	s_delay_alu instid0(VALU_DEP_4)
	v_cndmask_b32_e32 v5, v4, v3, vcc_lo
	v_cndmask_b32_e32 v4, v0, v2, vcc_lo
	v_lshlrev_b32_e32 v0, 3, v8
	v_or_b32_e32 v2, 0x78, v72
	v_lshlrev_b32_e32 v3, 5, v7
	s_lshl_b64 s[4:5], s[12:13], 3
	s_mulk_i32 s12, 0x68
	v_mad_u32_u24 v77, 0x218, v6, v0
	v_lshlrev_b32_e32 v0, 3, v7
	v_mad_u32_u24 v78, 0x218, v6, v2
	v_mad_u32_u24 v79, 0x218, v6, v3
	s_mov_b32 s6, 0
	s_delay_alu instid0(VALU_DEP_3)
	v_mad_u32_u24 v82, 0x218, v6, v0
	v_or_b32_e32 v0, v8, v6
	s_branch .LBB14_129
.LBB14_128:                             ;   in Loop: Header=BB14_129 Depth=1
	s_or_b32 exec_lo, exec_lo, s7
	v_mul_f32_e32 v83, v3, v11
	v_dual_mul_f32 v11, v2, v11 :: v_dual_mul_f32 v84, v7, v26
	v_mul_f32_e32 v26, v6, v26
	v_add_nc_u32_e32 v0, 64, v0
	s_delay_alu instid0(VALU_DEP_4)
	v_fma_f32 v2, v2, v10, -v83
	v_mul_f32_e32 v83, v5, v24
	v_fma_f32 v6, v6, v25, -v84
	v_fmac_f32_e32 v26, v7, v25
	s_add_i32 s14, s14, -1
	v_dual_add_f32 v2, v17, v2 :: v_dual_mul_f32 v17, v22, v40
	v_mul_f32_e32 v85, v9, v28
	v_dual_mul_f32 v28, v8, v28 :: v_dual_fmac_f32 v11, v3, v10
	v_mul_f32_e32 v24, v4, v24
	s_delay_alu instid0(VALU_DEP_4) | instskip(NEXT) | instid1(VALU_DEP_4)
	v_add_f32_e32 v2, v2, v6
	v_fma_f32 v3, v8, v27, -v85
	s_delay_alu instid0(VALU_DEP_4) | instskip(SKIP_2) | instid1(VALU_DEP_4)
	v_fmac_f32_e32 v28, v9, v27
	v_dual_add_f32 v7, v18, v11 :: v_dual_mul_f32 v40, v21, v40
	v_fma_f32 v4, v4, v23, -v83
	v_dual_add_f32 v2, v2, v3 :: v_dual_mul_f32 v3, v19, v44
	s_delay_alu instid0(VALU_DEP_3) | instskip(SKIP_2) | instid1(VALU_DEP_4)
	v_dual_add_f32 v7, v7, v26 :: v_dual_fmac_f32 v24, v5, v23
	v_mul_f32_e32 v6, v20, v44
	v_fma_f32 v8, v21, v39, -v17
	v_dual_add_f32 v2, v2, v4 :: v_dual_fmac_f32 v3, v20, v43
	s_delay_alu instid0(VALU_DEP_4) | instskip(SKIP_3) | instid1(VALU_DEP_4)
	v_add_f32_e32 v5, v7, v28
	v_mul_f32_e32 v4, v15, v42
	v_dual_fmac_f32 v40, v22, v39 :: v_dual_mul_f32 v7, v13, v38
	v_fma_f32 v6, v19, v43, -v6
	v_add_f32_e32 v5, v5, v24
	s_delay_alu instid0(VALU_DEP_4)
	v_fma_f32 v4, v14, v41, -v4
	s_add_i32 s6, s6, s10
	v_fma_f32 v7, v12, v37, -v7
	s_cmp_eq_u32 s14, 0
	v_add_f32_e32 v5, v5, v40
	v_add_f32_e32 v2, v2, v8
	s_waitcnt_vscnt null, 0x0
	s_barrier
	buffer_gl0_inv
	v_add_f32_e32 v3, v5, v3
	v_mul_f32_e32 v5, v12, v38
	v_add_f32_e32 v2, v2, v6
	v_mul_f32_e32 v6, v14, v42
	s_delay_alu instid0(VALU_DEP_3) | instskip(NEXT) | instid1(VALU_DEP_3)
	v_dual_mul_f32 v8, v47, v66 :: v_dual_fmac_f32 v5, v13, v37
	v_add_f32_e32 v2, v2, v4
	v_mul_f32_e32 v4, v36, v56
	s_delay_alu instid0(VALU_DEP_2) | instskip(SKIP_1) | instid1(VALU_DEP_3)
	v_add_f32_e32 v2, v2, v7
	v_mul_f32_e32 v7, v34, v62
	v_fma_f32 v4, v35, v55, -v4
	s_delay_alu instid0(VALU_DEP_1) | instskip(NEXT) | instid1(VALU_DEP_3)
	v_add_f32_e32 v2, v2, v4
	v_fma_f32 v4, v33, v61, -v7
	v_dual_mul_f32 v7, v32, v60 :: v_dual_fmac_f32 v6, v15, v41
	s_delay_alu instid0(VALU_DEP_2) | instskip(NEXT) | instid1(VALU_DEP_2)
	v_add_f32_e32 v2, v2, v4
	v_fma_f32 v4, v31, v59, -v7
	s_delay_alu instid0(VALU_DEP_3) | instskip(SKIP_1) | instid1(VALU_DEP_2)
	v_add_f32_e32 v3, v3, v6
	v_dual_mul_f32 v6, v35, v56 :: v_dual_mul_f32 v7, v30, v58
	v_add_f32_e32 v3, v3, v5
	s_delay_alu instid0(VALU_DEP_2) | instskip(NEXT) | instid1(VALU_DEP_1)
	v_dual_mul_f32 v5, v33, v62 :: v_dual_fmac_f32 v6, v36, v55
	v_fmac_f32_e32 v5, v34, v61
	s_delay_alu instid0(VALU_DEP_2) | instskip(SKIP_1) | instid1(VALU_DEP_2)
	v_add_f32_e32 v3, v3, v6
	v_mul_f32_e32 v6, v31, v60
	v_dual_add_f32 v3, v3, v5 :: v_dual_add_f32 v2, v2, v4
	v_fma_f32 v4, v29, v57, -v7
	v_mul_f32_e32 v5, v54, v64
	s_delay_alu instid0(VALU_DEP_4) | instskip(NEXT) | instid1(VALU_DEP_1)
	v_dual_mul_f32 v7, v29, v58 :: v_dual_fmac_f32 v6, v32, v59
	v_fmac_f32_e32 v7, v30, v57
	s_delay_alu instid0(VALU_DEP_2) | instskip(SKIP_3) | instid1(VALU_DEP_4)
	v_dual_add_f32 v3, v3, v6 :: v_dual_mul_f32 v6, v53, v64
	v_add_f32_e32 v2, v2, v4
	v_fma_f32 v4, v53, v63, -v5
	v_mul_f32_e32 v5, v52, v70
	v_add_f32_e32 v3, v3, v7
	v_fmac_f32_e32 v6, v54, v63
	v_mul_f32_e32 v7, v50, v68
	v_add_f32_e32 v2, v2, v4
	v_fma_f32 v4, v51, v69, -v5
	v_mul_f32_e32 v5, v51, v70
	v_add_f32_e32 v3, v3, v6
	v_fma_f32 v6, v49, v67, -v7
	s_delay_alu instid0(VALU_DEP_3) | instskip(SKIP_1) | instid1(VALU_DEP_2)
	v_dual_add_f32 v2, v2, v4 :: v_dual_fmac_f32 v5, v52, v69
	v_dual_mul_f32 v4, v49, v68 :: v_dual_mul_f32 v7, v48, v66
	v_dual_add_f32 v2, v2, v6 :: v_dual_add_f32 v3, v3, v5
	s_delay_alu instid0(VALU_DEP_2) | instskip(NEXT) | instid1(VALU_DEP_3)
	v_fmac_f32_e32 v4, v50, v67
	v_fma_f32 v5, v47, v65, -v7
	s_delay_alu instid0(VALU_DEP_2) | instskip(SKIP_1) | instid1(VALU_DEP_3)
	v_dual_fmac_f32 v8, v48, v65 :: v_dual_add_f32 v3, v3, v4
	v_add_co_u32 v4, s1, v45, s12
	v_add_f32_e32 v17, v2, v5
	v_add_co_ci_u32_e64 v5, s1, s11, v46, s1
	s_delay_alu instid0(VALU_DEP_4)
	v_add_f32_e32 v18, v3, v8
	s_cbranch_scc1 .LBB14_133
.LBB14_129:                             ; =>This Inner Loop Header: Depth=1
	s_and_saveexec_b32 s13, s3
	s_cbranch_execz .LBB14_131
; %bb.130:                              ;   in Loop: Header=BB14_129 Depth=1
	s_ashr_i32 s7, s6, 31
	s_delay_alu instid0(SALU_CYCLE_1) | instskip(NEXT) | instid1(SALU_CYCLE_1)
	s_lshl_b64 s[16:17], s[6:7], 3
	v_add_co_u32 v2, s1, v73, s16
	s_delay_alu instid0(VALU_DEP_1)
	v_add_co_ci_u32_e64 v3, s1, s17, v74, s1
	global_load_b64 v[2:3], v[2:3], off
	s_waitcnt vmcnt(0)
	ds_store_b64 v75, v[2:3]
.LBB14_131:                             ;   in Loop: Header=BB14_129 Depth=1
	s_or_b32 exec_lo, exec_lo, s13
	s_waitcnt lgkmcnt(0)
	s_barrier
	buffer_gl0_inv
	global_load_b64 v[2:3], v[4:5], off
	v_add_co_u32 v4, s1, v4, s4
	s_delay_alu instid0(VALU_DEP_1) | instskip(SKIP_2) | instid1(VALU_DEP_1)
	v_add_co_ci_u32_e64 v5, s1, s5, v5, s1
	global_load_b64 v[6:7], v[4:5], off
	v_add_co_u32 v4, s1, v4, s4
	v_add_co_ci_u32_e64 v5, s1, s5, v5, s1
	s_delay_alu instid0(VALU_DEP_2) | instskip(NEXT) | instid1(VALU_DEP_1)
	v_add_co_u32 v12, s1, v4, s4
	v_add_co_ci_u32_e64 v13, s1, s5, v5, s1
	s_clause 0x1
	global_load_b64 v[8:9], v[4:5], off
	global_load_b64 v[4:5], v[12:13], off
	ds_load_b64 v[14:15], v76
	ds_load_b64 v[10:11], v80
	v_add_co_u32 v12, s1, v12, s12
	s_delay_alu instid0(VALU_DEP_1) | instskip(NEXT) | instid1(VALU_DEP_2)
	v_add_co_ci_u32_e64 v13, s1, s11, v13, s1
	v_add_co_u32 v29, s1, v12, s4
	s_delay_alu instid0(VALU_DEP_1) | instskip(NEXT) | instid1(VALU_DEP_2)
	v_add_co_ci_u32_e64 v30, s1, s5, v13, s1
	v_add_co_u32 v31, s1, v29, s4
	s_delay_alu instid0(VALU_DEP_1) | instskip(SKIP_3) | instid1(VALU_DEP_2)
	v_add_co_ci_u32_e64 v32, s1, s5, v30, s1
	s_waitcnt vmcnt(3) lgkmcnt(1)
	v_mul_f32_e32 v19, v3, v15
	v_mul_f32_e32 v20, v3, v14
	v_fmac_f32_e32 v19, v2, v14
	s_delay_alu instid0(VALU_DEP_2)
	v_fma_f32 v20, v2, v15, -v20
	s_waitcnt vmcnt(2)
	v_mul_f32_e32 v21, v7, v15
	v_mul_f32_e32 v22, v7, v14
	ds_store_b64 v81, v[19:20]
	ds_load_b64 v[25:26], v80 offset:8
	v_fmac_f32_e32 v21, v6, v14
	s_waitcnt vmcnt(1)
	v_mul_f32_e32 v19, v9, v15
	v_mul_f32_e32 v20, v9, v14
	s_waitcnt vmcnt(0)
	v_mul_f32_e32 v33, v5, v15
	v_mul_f32_e32 v23, v5, v14
	v_fma_f32 v22, v6, v15, -v22
	v_fmac_f32_e32 v19, v8, v14
	v_fma_f32 v20, v8, v15, -v20
	v_fmac_f32_e32 v33, v4, v14
	v_fma_f32 v34, v4, v15, -v23
	ds_store_b64 v81, v[21:22] offset:536
	ds_load_b64 v[27:28], v80 offset:16
	ds_store_b64 v81, v[19:20] offset:1072
	ds_load_b64 v[23:24], v80 offset:24
	ds_store_b64 v81, v[33:34] offset:1608
	v_add_co_u32 v33, s1, v31, s4
	s_waitcnt lgkmcnt(0)
	s_barrier
	buffer_gl0_inv
	ds_load_2addr_b64 v[83:86], v79 offset1:1
	ds_load_2addr_b64 v[87:90], v79 offset0:2 offset1:3
	s_waitcnt lgkmcnt(0)
	s_barrier
	buffer_gl0_inv
	global_load_b64 v[21:22], v[12:13], off
	v_add_co_ci_u32_e64 v34, s1, s5, v32, s1
	s_clause 0x1
	global_load_b64 v[19:20], v[29:30], off
	global_load_b64 v[14:15], v[31:32], off
	;; [unrolled: 1-line block ×3, first 2 shown]
	ds_load_b64 v[29:30], v76
	ds_load_b64 v[39:40], v80 offset:128
	v_add_co_u32 v31, s1, v33, s12
	s_delay_alu instid0(VALU_DEP_1) | instskip(NEXT) | instid1(VALU_DEP_2)
	v_add_co_ci_u32_e64 v32, s1, s11, v34, s1
	v_add_co_u32 v33, s1, v31, s4
	s_delay_alu instid0(VALU_DEP_1) | instskip(SKIP_1) | instid1(VALU_DEP_3)
	v_add_co_ci_u32_e64 v34, s1, s5, v32, s1
	v_add_f32_e32 v112, 0, v84
	v_add_co_u32 v45, s1, v33, s4
	s_delay_alu instid0(VALU_DEP_1)
	v_add_co_ci_u32_e64 v46, s1, s5, v34, s1
	v_add_f32_e32 v111, 0, v83
	s_waitcnt vmcnt(3) lgkmcnt(1)
	v_mul_f32_e32 v35, v22, v30
	s_waitcnt vmcnt(2)
	v_dual_mul_f32 v36, v22, v29 :: v_dual_mul_f32 v37, v20, v30
	s_waitcnt vmcnt(1)
	v_dual_mul_f32 v38, v20, v29 :: v_dual_mul_f32 v47, v15, v30
	v_mul_f32_e32 v41, v15, v29
	s_waitcnt vmcnt(0)
	v_mul_f32_e32 v49, v13, v30
	v_mul_f32_e32 v42, v13, v29
	v_fmac_f32_e32 v35, v21, v29
	v_fma_f32 v36, v21, v30, -v36
	v_fmac_f32_e32 v37, v19, v29
	v_fma_f32 v38, v19, v30, -v38
	;; [unrolled: 2-line block ×4, first 2 shown]
	ds_store_b64 v81, v[35:36]
	ds_load_b64 v[43:44], v80 offset:136
	ds_store_b64 v81, v[37:38] offset:536
	ds_load_b64 v[41:42], v80 offset:144
	ds_store_b64 v81, v[47:48] offset:1072
	v_add_co_u32 v47, s1, v45, s4
	ds_load_b64 v[37:38], v80 offset:152
	ds_store_b64 v81, v[49:50] offset:1608
	s_waitcnt lgkmcnt(0)
	s_barrier
	buffer_gl0_inv
	ds_load_2addr_b64 v[91:94], v79 offset1:1
	ds_load_2addr_b64 v[95:98], v79 offset0:2 offset1:3
	s_waitcnt lgkmcnt(0)
	s_barrier
	buffer_gl0_inv
	global_load_b64 v[35:36], v[31:32], off
	v_add_co_ci_u32_e64 v48, s1, s5, v46, s1
	global_load_b64 v[33:34], v[33:34], off
	global_load_b64 v[31:32], v[45:46], off
	;; [unrolled: 1-line block ×3, first 2 shown]
	ds_load_b64 v[45:46], v76
	ds_load_b64 v[55:56], v80 offset:256
	v_add_co_u32 v47, s1, v47, s12
	s_delay_alu instid0(VALU_DEP_1) | instskip(NEXT) | instid1(VALU_DEP_2)
	v_add_co_ci_u32_e64 v48, s1, s11, v48, s1
	v_add_co_u32 v49, s1, v47, s4
	s_delay_alu instid0(VALU_DEP_1) | instskip(SKIP_1) | instid1(VALU_DEP_3)
	v_add_co_ci_u32_e64 v50, s1, s5, v48, s1
	v_add_f32_e32 v91, 0, v91
	v_add_co_u32 v63, s1, v49, s4
	s_delay_alu instid0(VALU_DEP_1) | instskip(NEXT) | instid1(VALU_DEP_3)
	v_add_co_ci_u32_e64 v64, s1, s5, v50, s1
	v_dual_add_f32 v92, 0, v92 :: v_dual_add_f32 v91, v91, v93
	s_waitcnt vmcnt(3) lgkmcnt(1)
	v_mul_f32_e32 v51, v36, v46
	s_waitcnt vmcnt(2)
	v_dual_mul_f32 v52, v36, v45 :: v_dual_mul_f32 v53, v34, v46
	s_waitcnt vmcnt(1)
	v_dual_mul_f32 v54, v34, v45 :: v_dual_mul_f32 v57, v32, v46
	;; [unrolled: 2-line block ×3, first 2 shown]
	v_mul_f32_e32 v59, v30, v45
	v_fmac_f32_e32 v51, v35, v45
	v_fma_f32 v52, v35, v46, -v52
	v_fmac_f32_e32 v53, v33, v45
	v_fma_f32 v54, v33, v46, -v54
	;; [unrolled: 2-line block ×4, first 2 shown]
	ds_store_b64 v81, v[51:52]
	ds_load_b64 v[61:62], v80 offset:264
	ds_store_b64 v81, v[53:54] offset:536
	v_add_co_u32 v45, s1, v63, s4
	ds_load_b64 v[59:60], v80 offset:272
	ds_store_b64 v81, v[57:58] offset:1072
	ds_load_b64 v[57:58], v80 offset:280
	ds_store_b64 v81, v[65:66] offset:1608
	s_waitcnt lgkmcnt(0)
	s_barrier
	buffer_gl0_inv
	ds_load_2addr_b64 v[99:102], v79 offset1:1
	ds_load_2addr_b64 v[103:106], v79 offset0:2 offset1:3
	s_waitcnt lgkmcnt(0)
	s_barrier
	buffer_gl0_inv
	global_load_b64 v[53:54], v[47:48], off
	v_add_co_ci_u32_e64 v46, s1, s5, v64, s1
	global_load_b64 v[51:52], v[49:50], off
	global_load_b64 v[49:50], v[63:64], off
	;; [unrolled: 1-line block ×3, first 2 shown]
	ds_load_b64 v[65:66], v76
	ds_load_b64 v[63:64], v80 offset:384
	s_waitcnt vmcnt(3) lgkmcnt(1)
	v_mul_f32_e32 v67, v54, v66
	s_waitcnt vmcnt(2)
	v_dual_mul_f32 v68, v54, v65 :: v_dual_mul_f32 v83, v52, v66
	v_mul_f32_e32 v69, v52, v65
	s_waitcnt vmcnt(1)
	v_mul_f32_e32 v107, v50, v66
	s_waitcnt vmcnt(0)
	v_dual_mul_f32 v70, v50, v65 :: v_dual_mul_f32 v109, v48, v66
	v_mul_f32_e32 v110, v48, v65
	v_fma_f32 v68, v53, v66, -v68
	v_fmac_f32_e32 v67, v53, v65
	v_fmac_f32_e32 v83, v51, v65
	v_fma_f32 v84, v51, v66, -v69
	v_fmac_f32_e32 v107, v49, v65
	v_fma_f32 v108, v49, v66, -v70
	;; [unrolled: 2-line block ×3, first 2 shown]
	ds_store_b64 v81, v[67:68]
	ds_load_b64 v[69:70], v80 offset:392
	ds_store_b64 v81, v[83:84] offset:536
	ds_load_b64 v[67:68], v80 offset:400
	ds_store_b64 v81, v[107:108] offset:1072
	;; [unrolled: 2-line block ×3, first 2 shown]
	s_waitcnt lgkmcnt(0)
	s_barrier
	buffer_gl0_inv
	ds_load_2addr_b64 v[107:110], v79 offset1:1
	v_dual_add_f32 v83, v111, v85 :: v_dual_add_f32 v84, v112, v86
	s_delay_alu instid0(VALU_DEP_1)
	v_dual_add_f32 v87, v83, v87 :: v_dual_add_f32 v88, v84, v88
	ds_load_2addr_b64 v[83:86], v79 offset0:2 offset1:3
	s_waitcnt lgkmcnt(0)
	s_barrier
	v_dual_add_f32 v87, v87, v89 :: v_dual_add_f32 v88, v88, v90
	v_dual_add_f32 v89, v92, v94 :: v_dual_add_f32 v90, v91, v95
	;; [unrolled: 1-line block ×3, first 2 shown]
	buffer_gl0_inv
	v_add_f32_e32 v95, v89, v96
	v_add_f32_e32 v89, v90, v97
	v_dual_add_f32 v93, 0, v107 :: v_dual_add_f32 v94, 0, v108
	v_dual_add_f32 v91, v91, v101 :: v_dual_add_f32 v92, v92, v102
	s_delay_alu instid0(VALU_DEP_2) | instskip(NEXT) | instid1(VALU_DEP_2)
	v_dual_add_f32 v90, v95, v98 :: v_dual_add_f32 v93, v93, v109
	v_dual_add_f32 v94, v94, v110 :: v_dual_add_f32 v91, v91, v103
	s_delay_alu instid0(VALU_DEP_2) | instskip(NEXT) | instid1(VALU_DEP_2)
	;; [unrolled: 3-line block ×3, first 2 shown]
	v_dual_add_f32 v84, v92, v106 :: v_dual_add_f32 v85, v93, v85
	v_add_f32_e32 v86, v94, v86
	ds_store_2addr_b64 v82, v[87:88], v[89:90] offset1:16
	ds_store_2addr_b64 v82, v[83:84], v[85:86] offset0:32 offset1:48
	s_waitcnt lgkmcnt(0)
	s_barrier
	buffer_gl0_inv
	s_and_saveexec_b32 s7, s0
	s_cbranch_execz .LBB14_128
; %bb.132:                              ;   in Loop: Header=BB14_129 Depth=1
	ds_load_b64 v[94:95], v77
	ds_load_2addr_b64 v[83:86], v77 offset0:1 offset1:2
	ds_load_2addr_b64 v[87:90], v77 offset0:3 offset1:4
	s_waitcnt lgkmcnt(1)
	v_dual_add_f32 v83, v83, v94 :: v_dual_add_f32 v84, v84, v95
	ds_load_2addr_b64 v[91:94], v77 offset0:5 offset1:6
	v_add_f32_e32 v83, v83, v85
	v_add_f32_e32 v95, v84, v86
	s_waitcnt lgkmcnt(1)
	s_delay_alu instid0(VALU_DEP_2) | instskip(SKIP_3) | instid1(VALU_DEP_2)
	v_add_f32_e32 v87, v83, v87
	ds_load_2addr_b64 v[83:86], v77 offset0:7 offset1:8
	v_add_f32_e32 v88, v95, v88
	v_add_f32_e32 v87, v87, v89
	;; [unrolled: 1-line block ×3, first 2 shown]
	s_waitcnt lgkmcnt(1)
	s_delay_alu instid0(VALU_DEP_2) | instskip(SKIP_3) | instid1(VALU_DEP_2)
	v_add_f32_e32 v91, v87, v91
	ds_load_2addr_b64 v[87:90], v77 offset0:9 offset1:10
	v_add_f32_e32 v92, v95, v92
	v_add_f32_e32 v91, v91, v93
	;; [unrolled: 1-line block ×3, first 2 shown]
	s_waitcnt lgkmcnt(1)
	s_delay_alu instid0(VALU_DEP_2) | instskip(SKIP_4) | instid1(VALU_DEP_1)
	v_add_f32_e32 v83, v91, v83
	ds_load_2addr_b64 v[91:94], v77 offset0:11 offset1:12
	v_add_f32_e32 v84, v95, v84
	v_add_f32_e32 v95, v83, v85
	s_waitcnt lgkmcnt(1)
	v_add_f32_e32 v87, v95, v87
	s_delay_alu instid0(VALU_DEP_1) | instskip(SKIP_1) | instid1(VALU_DEP_1)
	v_add_f32_e32 v89, v87, v89
	s_waitcnt lgkmcnt(0)
	v_add_f32_e32 v89, v89, v91
	s_delay_alu instid0(VALU_DEP_1) | instskip(SKIP_2) | instid1(VALU_DEP_1)
	v_dual_add_f32 v89, v89, v93 :: v_dual_add_f32 v96, v84, v86
	ds_load_2addr_b64 v[83:86], v77 offset0:13 offset1:14
	v_add_f32_e32 v88, v96, v88
	v_add_f32_e32 v90, v88, v90
	ds_load_b64 v[87:88], v78
	v_add_f32_e32 v90, v90, v92
	s_waitcnt lgkmcnt(1)
	s_delay_alu instid0(VALU_DEP_1) | instskip(NEXT) | instid1(VALU_DEP_1)
	v_dual_add_f32 v90, v90, v94 :: v_dual_add_f32 v83, v89, v83
	v_dual_add_f32 v84, v90, v84 :: v_dual_add_f32 v85, v83, v85
	s_delay_alu instid0(VALU_DEP_1) | instskip(SKIP_2) | instid1(VALU_DEP_2)
	v_add_f32_e32 v86, v84, v86
	v_lshlrev_b64 v[83:84], 3, v[0:1]
	s_waitcnt lgkmcnt(0)
	v_dual_add_f32 v85, v85, v87 :: v_dual_add_f32 v86, v86, v88
	s_delay_alu instid0(VALU_DEP_2) | instskip(NEXT) | instid1(VALU_DEP_1)
	v_add_co_u32 v83, s1, s8, v83
	v_add_co_ci_u32_e64 v84, s1, s9, v84, s1
	global_store_b64 v[83:84], v[85:86], off
	s_branch .LBB14_128
.LBB14_133:
	v_mad_u32_u24 v0, 0x218, v71, v72
	s_or_b32 s0, s2, vcc_lo
	s_delay_alu instid0(SALU_CYCLE_1)
	s_xor_b32 s0, s0, -1
	ds_store_b64 v0, v[17:18]
	s_waitcnt lgkmcnt(0)
	s_barrier
	buffer_gl0_inv
	s_and_saveexec_b32 s1, s0
	s_cbranch_execz .LBB14_135
; %bb.134:
	ds_load_2addr_b64 v[0:3], v72 offset1:67
	ds_load_2addr_b64 v[4:7], v72 offset0:134 offset1:201
	v_ashrrev_i32_e32 v17, 31, v16
	s_waitcnt lgkmcnt(1)
	v_dual_add_f32 v0, v2, v0 :: v_dual_add_f32 v1, v3, v1
	s_waitcnt lgkmcnt(0)
	s_delay_alu instid0(VALU_DEP_1) | instskip(SKIP_1) | instid1(VALU_DEP_2)
	v_dual_add_f32 v2, v0, v4 :: v_dual_add_f32 v3, v1, v5
	v_lshlrev_b64 v[0:1], 3, v[16:17]
	v_dual_add_f32 v2, v2, v6 :: v_dual_add_f32 v3, v3, v7
	s_delay_alu instid0(VALU_DEP_2) | instskip(NEXT) | instid1(VALU_DEP_3)
	v_add_co_u32 v0, vcc_lo, s8, v0
	v_add_co_ci_u32_e32 v1, vcc_lo, s9, v1, vcc_lo
	global_store_b64 v[0:1], v[2:3], off
.LBB14_135:
	s_nop 0
	s_sendmsg sendmsg(MSG_DEALLOC_VGPRS)
	s_endpgm
	.section	.rodata,"a",@progbits
	.p2align	6, 0x0
	.amdhsa_kernel _ZL26rocblas_hemvn_kernel_lowerILb1ELi64ELi4ELi33ELi32ELi16Ei19rocblas_complex_numIfEPKS1_PS1_EviT6_lT7_lT5_lS6_lS7_lS5_lT8_i
		.amdhsa_group_segment_fixed_size 9600
		.amdhsa_private_segment_fixed_size 0
		.amdhsa_kernarg_size 376
		.amdhsa_user_sgpr_count 14
		.amdhsa_user_sgpr_dispatch_ptr 0
		.amdhsa_user_sgpr_queue_ptr 0
		.amdhsa_user_sgpr_kernarg_segment_ptr 1
		.amdhsa_user_sgpr_dispatch_id 0
		.amdhsa_user_sgpr_private_segment_size 0
		.amdhsa_wavefront_size32 1
		.amdhsa_uses_dynamic_stack 0
		.amdhsa_enable_private_segment 0
		.amdhsa_system_sgpr_workgroup_id_x 1
		.amdhsa_system_sgpr_workgroup_id_y 0
		.amdhsa_system_sgpr_workgroup_id_z 1
		.amdhsa_system_sgpr_workgroup_info 0
		.amdhsa_system_vgpr_workitem_id 1
		.amdhsa_next_free_vgpr 113
		.amdhsa_next_free_sgpr 30
		.amdhsa_reserve_vcc 1
		.amdhsa_float_round_mode_32 0
		.amdhsa_float_round_mode_16_64 0
		.amdhsa_float_denorm_mode_32 3
		.amdhsa_float_denorm_mode_16_64 3
		.amdhsa_dx10_clamp 1
		.amdhsa_ieee_mode 1
		.amdhsa_fp16_overflow 0
		.amdhsa_workgroup_processor_mode 1
		.amdhsa_memory_ordered 1
		.amdhsa_forward_progress 0
		.amdhsa_shared_vgpr_count 0
		.amdhsa_exception_fp_ieee_invalid_op 0
		.amdhsa_exception_fp_denorm_src 0
		.amdhsa_exception_fp_ieee_div_zero 0
		.amdhsa_exception_fp_ieee_overflow 0
		.amdhsa_exception_fp_ieee_underflow 0
		.amdhsa_exception_fp_ieee_inexact 0
		.amdhsa_exception_int_div_zero 0
	.end_amdhsa_kernel
	.section	.text._ZL26rocblas_hemvn_kernel_lowerILb1ELi64ELi4ELi33ELi32ELi16Ei19rocblas_complex_numIfEPKS1_PS1_EviT6_lT7_lT5_lS6_lS7_lS5_lT8_i,"axG",@progbits,_ZL26rocblas_hemvn_kernel_lowerILb1ELi64ELi4ELi33ELi32ELi16Ei19rocblas_complex_numIfEPKS1_PS1_EviT6_lT7_lT5_lS6_lS7_lS5_lT8_i,comdat
.Lfunc_end14:
	.size	_ZL26rocblas_hemvn_kernel_lowerILb1ELi64ELi4ELi33ELi32ELi16Ei19rocblas_complex_numIfEPKS1_PS1_EviT6_lT7_lT5_lS6_lS7_lS5_lT8_i, .Lfunc_end14-_ZL26rocblas_hemvn_kernel_lowerILb1ELi64ELi4ELi33ELi32ELi16Ei19rocblas_complex_numIfEPKS1_PS1_EviT6_lT7_lT5_lS6_lS7_lS5_lT8_i
                                        ; -- End function
	.section	.AMDGPU.csdata,"",@progbits
; Kernel info:
; codeLenInByte = 8964
; NumSgprs: 32
; NumVgprs: 113
; ScratchSize: 0
; MemoryBound: 1
; FloatMode: 240
; IeeeMode: 1
; LDSByteSize: 9600 bytes/workgroup (compile time only)
; SGPRBlocks: 3
; VGPRBlocks: 14
; NumSGPRsForWavesPerEU: 32
; NumVGPRsForWavesPerEU: 113
; Occupancy: 12
; WaveLimiterHint : 1
; COMPUTE_PGM_RSRC2:SCRATCH_EN: 0
; COMPUTE_PGM_RSRC2:USER_SGPR: 14
; COMPUTE_PGM_RSRC2:TRAP_HANDLER: 0
; COMPUTE_PGM_RSRC2:TGID_X_EN: 1
; COMPUTE_PGM_RSRC2:TGID_Y_EN: 0
; COMPUTE_PGM_RSRC2:TGID_Z_EN: 1
; COMPUTE_PGM_RSRC2:TIDIG_COMP_CNT: 1
	.section	.text._ZL36rocblas_hemvn_kernel_lower_block_sumILi64Ei19rocblas_complex_numIfEPS1_S1_EviT1_lS3_lT2_lT0_lPT3_i,"axG",@progbits,_ZL36rocblas_hemvn_kernel_lower_block_sumILi64Ei19rocblas_complex_numIfEPS1_S1_EviT1_lS3_lT2_lT0_lPT3_i,comdat
	.globl	_ZL36rocblas_hemvn_kernel_lower_block_sumILi64Ei19rocblas_complex_numIfEPS1_S1_EviT1_lS3_lT2_lT0_lPT3_i ; -- Begin function _ZL36rocblas_hemvn_kernel_lower_block_sumILi64Ei19rocblas_complex_numIfEPS1_S1_EviT1_lS3_lT2_lT0_lPT3_i
	.p2align	8
	.type	_ZL36rocblas_hemvn_kernel_lower_block_sumILi64Ei19rocblas_complex_numIfEPS1_S1_EviT1_lS3_lT2_lT0_lPT3_i,@function
_ZL36rocblas_hemvn_kernel_lower_block_sumILi64Ei19rocblas_complex_numIfEPS1_S1_EviT1_lS3_lT2_lT0_lPT3_i: ; @_ZL36rocblas_hemvn_kernel_lower_block_sumILi64Ei19rocblas_complex_numIfEPS1_S1_EviT1_lS3_lT2_lT0_lPT3_i
; %bb.0:
	s_clause 0x1
	s_load_b128 s[4:7], s[0:1], 0x0
	s_load_b64 s[8:9], s[0:1], 0x18
	s_waitcnt lgkmcnt(0)
	s_or_b32 s2, s5, s6
	s_delay_alu instid0(SALU_CYCLE_1) | instskip(NEXT) | instid1(SALU_CYCLE_1)
	s_bitset0_b32 s2, 31
	s_cmp_eq_u32 s2, 0
	s_cselect_b32 s11, -1, 0
	s_cmp_lg_u32 s2, 0
	s_mov_b32 s2, -1
	s_cbranch_scc1 .LBB15_2
; %bb.1:
	v_cmp_neq_f32_e64 s2, s8, 1.0
	v_cmp_neq_f32_e64 s3, s9, 0
	s_delay_alu instid0(VALU_DEP_1)
	s_or_b32 s2, s2, s3
.LBB15_2:
	s_delay_alu instid0(SALU_CYCLE_1)
	s_and_not1_b32 vcc_lo, exec_lo, s2
	s_cbranch_vccnz .LBB15_19
; %bb.3:
	s_clause 0x2
	s_load_b64 s[2:3], s[0:1], 0x40
	s_load_b128 s[16:19], s[0:1], 0x28
	s_load_b32 s10, s[0:1], 0x38
	v_lshl_or_b32 v0, s14, 6, v0
	s_waitcnt lgkmcnt(0)
	s_mul_i32 s3, s15, s3
	s_mul_hi_u32 s7, s15, s2
	s_mul_i32 s2, s15, s2
	s_add_i32 s3, s7, s3
	s_delay_alu instid0(SALU_CYCLE_1) | instskip(NEXT) | instid1(SALU_CYCLE_1)
	s_lshl_b64 s[2:3], s[2:3], 3
	s_add_u32 s7, s16, s2
	s_addc_u32 s16, s17, s3
	s_lshl_b64 s[12:13], s[18:19], 3
	v_cmp_gt_i32_e64 s2, s4, v0
	s_add_u32 s3, s7, s12
	s_addc_u32 s7, s16, s13
	s_and_not1_b32 vcc_lo, exec_lo, s11
	s_mov_b32 s11, -1
	s_cbranch_vccnz .LBB15_9
; %bb.4:
	s_and_saveexec_b32 s11, s2
	s_cbranch_execz .LBB15_8
; %bb.5:
	v_mul_lo_u32 v1, v0, s10
	v_cmp_neq_f32_e64 s2, s8, 0
	v_cmp_neq_f32_e64 s12, s9, 0
	v_dual_mov_b32 v3, 0 :: v_dual_mov_b32 v4, 0
	s_delay_alu instid0(VALU_DEP_2) | instskip(NEXT) | instid1(VALU_DEP_4)
	s_or_b32 s2, s2, s12
	v_ashrrev_i32_e32 v2, 31, v1
	s_and_not1_b32 vcc_lo, exec_lo, s2
	s_delay_alu instid0(VALU_DEP_1)
	v_lshlrev_b64 v[1:2], 3, v[1:2]
	s_cbranch_vccnz .LBB15_7
; %bb.6:
	s_delay_alu instid0(VALU_DEP_1) | instskip(NEXT) | instid1(VALU_DEP_2)
	v_add_co_u32 v3, vcc_lo, s3, v1
	v_add_co_ci_u32_e32 v4, vcc_lo, s7, v2, vcc_lo
	global_load_b64 v[5:6], v[3:4], off
	s_waitcnt vmcnt(0)
	v_mul_f32_e32 v4, s8, v6
	s_delay_alu instid0(VALU_DEP_1) | instskip(NEXT) | instid1(VALU_DEP_1)
	v_dual_mul_f32 v3, s9, v6 :: v_dual_fmac_f32 v4, s9, v5
	v_fma_f32 v3, v5, s8, -v3
.LBB15_7:
	s_delay_alu instid0(VALU_DEP_1) | instskip(NEXT) | instid1(VALU_DEP_2)
	v_add_co_u32 v1, vcc_lo, s3, v1
	v_add_co_ci_u32_e32 v2, vcc_lo, s7, v2, vcc_lo
	global_store_b64 v[1:2], v[3:4], off
.LBB15_8:
	s_or_b32 exec_lo, exec_lo, s11
	s_mov_b32 s11, 0
.LBB15_9:
	s_delay_alu instid0(SALU_CYCLE_1)
	s_and_not1_b32 vcc_lo, exec_lo, s11
	s_cbranch_vccnz .LBB15_19
; %bb.10:
	s_mov_b32 s2, exec_lo
	v_cmpx_gt_i32_e64 s4, v0
	s_cbranch_execz .LBB15_19
; %bb.11:
	s_load_b32 s2, s[0:1], 0x58
	v_dual_mov_b32 v3, 0 :: v_dual_mov_b32 v4, 0
	s_waitcnt lgkmcnt(0)
	s_cmp_ge_i32 s14, s2
	s_cbranch_scc1 .LBB15_14
; %bb.12:
	s_load_b64 s[0:1], s[0:1], 0x48
	v_mad_u64_u32 v[1:2], null, s14, s4, v[0:1]
	s_ashr_i32 s13, s4, 31
	s_mul_hi_u32 s11, s4, s15
	s_mul_i32 s12, s13, s15
	s_mul_i32 s15, s4, s15
	s_add_i32 s11, s11, s12
	s_mul_hi_u32 s12, s15, s2
	s_delay_alu instid0(VALU_DEP_1)
	v_ashrrev_i32_e32 v2, 31, v1
	s_mul_i32 s11, s11, s2
	s_mul_i32 s16, s15, s2
	s_add_i32 s17, s12, s11
	v_dual_mov_b32 v3, 0 :: v_dual_mov_b32 v4, 0
	v_lshlrev_b64 v[1:2], 3, v[1:2]
	s_lshl_b64 s[16:17], s[16:17], 3
	s_mov_b32 s12, s4
	s_waitcnt lgkmcnt(0)
	s_add_u32 s0, s0, s16
	s_addc_u32 s1, s1, s17
	v_add_co_u32 v1, vcc_lo, s0, v1
	v_add_co_ci_u32_e32 v2, vcc_lo, s1, v2, vcc_lo
	s_lshl_b64 s[0:1], s[12:13], 3
	s_delay_alu instid0(VALU_DEP_2) | instskip(NEXT) | instid1(VALU_DEP_2)
	v_add_co_u32 v1, vcc_lo, v1, 4
	v_add_co_ci_u32_e32 v2, vcc_lo, 0, v2, vcc_lo
.LBB15_13:                              ; =>This Inner Loop Header: Depth=1
	global_load_b64 v[5:6], v[1:2], off offset:-4
	v_add_co_u32 v1, vcc_lo, v1, s0
	v_add_co_ci_u32_e32 v2, vcc_lo, s1, v2, vcc_lo
	s_add_i32 s14, s14, 1
	s_delay_alu instid0(SALU_CYCLE_1)
	s_cmp_ge_i32 s14, s2
	s_waitcnt vmcnt(0)
	v_dual_add_f32 v4, v4, v5 :: v_dual_add_f32 v3, v3, v6
	s_cbranch_scc0 .LBB15_13
.LBB15_14:
	v_mul_lo_u32 v2, v0, s10
	s_delay_alu instid0(VALU_DEP_2) | instskip(SKIP_3) | instid1(VALU_DEP_4)
	v_mul_f32_e32 v1, s5, v3
	v_mul_f32_e32 v0, s6, v3
	v_cmp_neq_f32_e64 s0, s8, 0
	v_cmp_neq_f32_e64 s1, s9, 0
	v_fmac_f32_e32 v1, s6, v4
	s_delay_alu instid0(VALU_DEP_4) | instskip(SKIP_1) | instid1(VALU_DEP_4)
	v_fma_f32 v0, v4, s5, -v0
	v_ashrrev_i32_e32 v3, 31, v2
	s_or_b32 s0, s0, s1
	s_delay_alu instid0(SALU_CYCLE_1)
	s_and_not1_b32 vcc_lo, exec_lo, s0
	s_mov_b32 s0, 0
	s_cbranch_vccnz .LBB15_16
; %bb.15:
	s_mov_b32 s0, -1
.LBB15_16:
	s_delay_alu instid0(SALU_CYCLE_1)
	s_and_not1_b32 vcc_lo, exec_lo, s0
	s_cbranch_vccnz .LBB15_18
; %bb.17:
	v_lshlrev_b64 v[4:5], 3, v[2:3]
	s_delay_alu instid0(VALU_DEP_1) | instskip(NEXT) | instid1(VALU_DEP_2)
	v_add_co_u32 v4, vcc_lo, s3, v4
	v_add_co_ci_u32_e32 v5, vcc_lo, s7, v5, vcc_lo
	global_load_b64 v[4:5], v[4:5], off
	s_waitcnt vmcnt(0)
	v_mul_f32_e32 v6, s9, v5
	v_mul_f32_e32 v5, s8, v5
	s_delay_alu instid0(VALU_DEP_1) | instskip(NEXT) | instid1(VALU_DEP_3)
	v_fmac_f32_e32 v5, s9, v4
	v_fma_f32 v6, v4, s8, -v6
	s_delay_alu instid0(VALU_DEP_1)
	v_dual_add_f32 v1, v1, v5 :: v_dual_add_f32 v0, v0, v6
.LBB15_18:
	v_lshlrev_b64 v[2:3], 3, v[2:3]
	s_delay_alu instid0(VALU_DEP_1) | instskip(NEXT) | instid1(VALU_DEP_2)
	v_add_co_u32 v2, vcc_lo, s3, v2
	v_add_co_ci_u32_e32 v3, vcc_lo, s7, v3, vcc_lo
	global_store_b64 v[2:3], v[0:1], off
.LBB15_19:
	s_nop 0
	s_sendmsg sendmsg(MSG_DEALLOC_VGPRS)
	s_endpgm
	.section	.rodata,"a",@progbits
	.p2align	6, 0x0
	.amdhsa_kernel _ZL36rocblas_hemvn_kernel_lower_block_sumILi64Ei19rocblas_complex_numIfEPS1_S1_EviT1_lS3_lT2_lT0_lPT3_i
		.amdhsa_group_segment_fixed_size 0
		.amdhsa_private_segment_fixed_size 0
		.amdhsa_kernarg_size 344
		.amdhsa_user_sgpr_count 14
		.amdhsa_user_sgpr_dispatch_ptr 0
		.amdhsa_user_sgpr_queue_ptr 0
		.amdhsa_user_sgpr_kernarg_segment_ptr 1
		.amdhsa_user_sgpr_dispatch_id 0
		.amdhsa_user_sgpr_private_segment_size 0
		.amdhsa_wavefront_size32 1
		.amdhsa_uses_dynamic_stack 0
		.amdhsa_enable_private_segment 0
		.amdhsa_system_sgpr_workgroup_id_x 1
		.amdhsa_system_sgpr_workgroup_id_y 0
		.amdhsa_system_sgpr_workgroup_id_z 1
		.amdhsa_system_sgpr_workgroup_info 0
		.amdhsa_system_vgpr_workitem_id 0
		.amdhsa_next_free_vgpr 7
		.amdhsa_next_free_sgpr 20
		.amdhsa_reserve_vcc 1
		.amdhsa_float_round_mode_32 0
		.amdhsa_float_round_mode_16_64 0
		.amdhsa_float_denorm_mode_32 3
		.amdhsa_float_denorm_mode_16_64 3
		.amdhsa_dx10_clamp 1
		.amdhsa_ieee_mode 1
		.amdhsa_fp16_overflow 0
		.amdhsa_workgroup_processor_mode 1
		.amdhsa_memory_ordered 1
		.amdhsa_forward_progress 0
		.amdhsa_shared_vgpr_count 0
		.amdhsa_exception_fp_ieee_invalid_op 0
		.amdhsa_exception_fp_denorm_src 0
		.amdhsa_exception_fp_ieee_div_zero 0
		.amdhsa_exception_fp_ieee_overflow 0
		.amdhsa_exception_fp_ieee_underflow 0
		.amdhsa_exception_fp_ieee_inexact 0
		.amdhsa_exception_int_div_zero 0
	.end_amdhsa_kernel
	.section	.text._ZL36rocblas_hemvn_kernel_lower_block_sumILi64Ei19rocblas_complex_numIfEPS1_S1_EviT1_lS3_lT2_lT0_lPT3_i,"axG",@progbits,_ZL36rocblas_hemvn_kernel_lower_block_sumILi64Ei19rocblas_complex_numIfEPS1_S1_EviT1_lS3_lT2_lT0_lPT3_i,comdat
.Lfunc_end15:
	.size	_ZL36rocblas_hemvn_kernel_lower_block_sumILi64Ei19rocblas_complex_numIfEPS1_S1_EviT1_lS3_lT2_lT0_lPT3_i, .Lfunc_end15-_ZL36rocblas_hemvn_kernel_lower_block_sumILi64Ei19rocblas_complex_numIfEPS1_S1_EviT1_lS3_lT2_lT0_lPT3_i
                                        ; -- End function
	.section	.AMDGPU.csdata,"",@progbits
; Kernel info:
; codeLenInByte = 792
; NumSgprs: 22
; NumVgprs: 7
; ScratchSize: 0
; MemoryBound: 0
; FloatMode: 240
; IeeeMode: 1
; LDSByteSize: 0 bytes/workgroup (compile time only)
; SGPRBlocks: 2
; VGPRBlocks: 0
; NumSGPRsForWavesPerEU: 22
; NumVGPRsForWavesPerEU: 7
; Occupancy: 16
; WaveLimiterHint : 0
; COMPUTE_PGM_RSRC2:SCRATCH_EN: 0
; COMPUTE_PGM_RSRC2:USER_SGPR: 14
; COMPUTE_PGM_RSRC2:TRAP_HANDLER: 0
; COMPUTE_PGM_RSRC2:TGID_X_EN: 1
; COMPUTE_PGM_RSRC2:TGID_Y_EN: 0
; COMPUTE_PGM_RSRC2:TGID_Z_EN: 1
; COMPUTE_PGM_RSRC2:TIDIG_COMP_CNT: 0
	.section	.text._ZL26rocblas_hemvn_kernel_upperILb1ELi64ELi4ELi33ELi32ELi16ElPK19rocblas_complex_numIdES3_PS1_EviT6_lT7_lT5_lS6_lS7_lS5_lT8_i,"axG",@progbits,_ZL26rocblas_hemvn_kernel_upperILb1ELi64ELi4ELi33ELi32ELi16ElPK19rocblas_complex_numIdES3_PS1_EviT6_lT7_lT5_lS6_lS7_lS5_lT8_i,comdat
	.globl	_ZL26rocblas_hemvn_kernel_upperILb1ELi64ELi4ELi33ELi32ELi16ElPK19rocblas_complex_numIdES3_PS1_EviT6_lT7_lT5_lS6_lS7_lS5_lT8_i ; -- Begin function _ZL26rocblas_hemvn_kernel_upperILb1ELi64ELi4ELi33ELi32ELi16ElPK19rocblas_complex_numIdES3_PS1_EviT6_lT7_lT5_lS6_lS7_lS5_lT8_i
	.p2align	8
	.type	_ZL26rocblas_hemvn_kernel_upperILb1ELi64ELi4ELi33ELi32ELi16ElPK19rocblas_complex_numIdES3_PS1_EviT6_lT7_lT5_lS6_lS7_lS5_lT8_i,@function
_ZL26rocblas_hemvn_kernel_upperILb1ELi64ELi4ELi33ELi32ELi16ElPK19rocblas_complex_numIdES3_PS1_EviT6_lT7_lT5_lS6_lS7_lS5_lT8_i: ; @_ZL26rocblas_hemvn_kernel_upperILb1ELi64ELi4ELi33ELi32ELi16ElPK19rocblas_complex_numIdES3_PS1_EviT6_lT7_lT5_lS6_lS7_lS5_lT8_i
; %bb.0:
	s_load_b64 s[4:5], s[0:1], 0x84
	s_add_u32 s2, s0, 0x78
	s_addc_u32 s3, s1, 0
	s_waitcnt lgkmcnt(0)
	s_lshr_b32 s6, s4, 16
	s_and_b32 s4, s4, 0xffff
	s_and_b32 s5, s5, 0xffff
	s_mul_i32 s4, s6, s4
	s_delay_alu instid0(SALU_CYCLE_1) | instskip(NEXT) | instid1(SALU_CYCLE_1)
	s_mul_i32 s4, s4, s5
	s_cmpk_lg_i32 s4, 0x100
	s_cbranch_scc1 .LBB16_186
; %bb.1:
	s_load_b512 s[16:31], s[0:1], 0x8
	s_waitcnt lgkmcnt(0)
	s_mul_i32 s5, s15, s19
	s_mul_hi_u32 s6, s15, s18
	s_mul_i32 s4, s15, s18
	s_add_i32 s5, s6, s5
	s_delay_alu instid0(SALU_CYCLE_1) | instskip(NEXT) | instid1(SALU_CYCLE_1)
	s_lshl_b64 s[4:5], s[4:5], 4
	s_add_u32 s4, s16, s4
	s_addc_u32 s5, s17, s5
	s_load_b128 s[4:7], s[4:5], 0x0
	s_clause 0x1
	s_load_b64 s[12:13], s[0:1], 0x68
	s_load_b256 s[36:43], s[0:1], 0x48
	s_waitcnt lgkmcnt(0)
	v_cmp_neq_f64_e64 s4, s[4:5], 0
	v_cmp_neq_f64_e64 s5, s[6:7], 0
	s_delay_alu instid0(VALU_DEP_1)
	s_or_b32 s4, s4, s5
	s_mov_b32 s5, -1
	s_and_b32 vcc_lo, exec_lo, s4
	s_cbranch_vccnz .LBB16_3
; %bb.2:
	s_mul_i32 s5, s15, s43
	s_mul_hi_u32 s7, s15, s42
	s_mul_i32 s6, s15, s42
	s_add_i32 s7, s7, s5
	s_delay_alu instid0(SALU_CYCLE_1) | instskip(NEXT) | instid1(SALU_CYCLE_1)
	s_lshl_b64 s[6:7], s[6:7], 4
	s_add_u32 s6, s40, s6
	s_addc_u32 s7, s41, s7
	s_load_b128 s[8:11], s[6:7], 0x0
	s_waitcnt lgkmcnt(0)
	v_cmp_neq_f64_e64 s5, s[8:9], 1.0
	v_cmp_neq_f64_e64 s6, s[10:11], 0
	s_delay_alu instid0(VALU_DEP_1)
	s_or_b32 s5, s5, s6
.LBB16_3:
	s_delay_alu instid0(SALU_CYCLE_1)
	s_and_not1_b32 vcc_lo, exec_lo, s5
	s_cbranch_vccnz .LBB16_186
; %bb.4:
	s_and_not1_b32 vcc_lo, exec_lo, s4
	s_cbranch_vccnz .LBB16_186
; %bb.5:
	s_mul_i32 s5, s15, s39
	s_mul_hi_u32 s6, s15, s38
	s_mul_i32 s4, s15, s38
	s_add_i32 s5, s6, s5
	s_load_b32 s33, s[0:1], 0x0
	s_lshl_b64 s[4:5], s[4:5], 4
	v_and_b32_e32 v183, 0x3ff, v0
	s_add_u32 s4, s28, s4
	s_addc_u32 s5, s29, s5
	s_lshl_b64 s[0:1], s[30:31], 4
	s_load_b32 s7, s[2:3], 0x0
	s_add_u32 s0, s4, s0
	s_addc_u32 s1, s5, s1
	s_lshl_b32 s10, s14, 6
	v_bfe_u32 v0, v0, 10, 10
	v_add_nc_u32_e32 v4, s10, v183
	scratch_store_b32 off, v0, off offset:4 ; 4-byte Folded Spill
	v_ashrrev_i32_e32 v5, 31, v4
	v_mul_lo_u32 v3, v4, s37
	v_mad_u64_u32 v[1:2], null, v4, s36, 0
	s_waitcnt lgkmcnt(0)
	s_ashr_i32 s28, s33, 31
	scratch_store_b64 off, v[4:5], off offset:8 ; 8-byte Folded Spill
	v_mul_lo_u32 v4, v5, s36
	s_lshr_b32 s2, s28, 26
	s_delay_alu instid0(SALU_CYCLE_1) | instskip(SKIP_2) | instid1(SALU_CYCLE_1)
	s_add_i32 s2, s33, s2
	s_add_i32 s3, s7, -1
	s_and_not1_b32 s2, s2, 63
	s_sub_i32 s18, s33, s2
	s_delay_alu instid0(VALU_DEP_1) | instskip(SKIP_3) | instid1(VALU_DEP_1)
	v_add3_u32 v2, v2, v3, v4
	s_cmp_eq_u32 s14, s3
	s_mov_b32 s2, -1
	s_cselect_b32 s8, s18, 0
	v_lshlrev_b64 v[1:2], 4, v[1:2]
	s_delay_alu instid0(VALU_DEP_1) | instskip(NEXT) | instid1(VALU_DEP_2)
	v_add_co_u32 v38, vcc_lo, s0, v1
	v_add_co_ci_u32_e32 v39, vcc_lo, s1, v2, vcc_lo
	v_cmp_eq_u32_e64 s0, 0, v0
	s_delay_alu instid0(VALU_DEP_1)
	s_and_saveexec_b32 s1, s0
	s_cbranch_execz .LBB16_10
; %bb.6:
	v_cmp_le_i32_e32 vcc_lo, s8, v183
	s_cmp_lg_u32 s8, 0
	v_lshl_add_u32 v0, v183, 4, 0x4700
	s_cselect_b32 s3, -1, 0
	s_delay_alu instid0(SALU_CYCLE_1) | instskip(NEXT) | instid1(SALU_CYCLE_1)
	s_and_b32 s3, s3, vcc_lo
	s_and_saveexec_b32 s4, s3
	s_delay_alu instid0(SALU_CYCLE_1)
	s_xor_b32 s3, exec_lo, s4
	s_cbranch_execz .LBB16_8
; %bb.7:
	v_mov_b32_e32 v1, 0
	s_delay_alu instid0(VALU_DEP_1)
	v_mov_b32_e32 v2, v1
	v_mov_b32_e32 v3, v1
	;; [unrolled: 1-line block ×3, first 2 shown]
	ds_store_b128 v0, v[1:4]
                                        ; implicit-def: $vgpr0
.LBB16_8:
	s_and_not1_saveexec_b32 s3, s3
	s_cbranch_execz .LBB16_10
; %bb.9:
	global_load_b128 v[1:4], v[38:39], off
	s_waitcnt vmcnt(0)
	ds_store_2addr_b64 v0, v[1:2], v[3:4] offset1:1
.LBB16_10:
	s_or_b32 exec_lo, exec_lo, s1
	scratch_load_b32 v0, off, off offset:4  ; 4-byte Folded Reload
	v_dual_mov_b32 v5, 0 :: v_dual_and_b32 v4, 31, v183
	s_mul_i32 s1, s15, s27
	s_mul_hi_u32 s3, s15, s26
	s_mul_i32 s4, s15, s26
	s_add_i32 s5, s3, s1
	v_lshlrev_b32_e32 v13, 4, v4
	s_lshl_b64 s[4:5], s[4:5], 4
	s_delay_alu instid0(SALU_CYCLE_1) | instskip(SKIP_2) | instid1(SALU_CYCLE_1)
	s_add_u32 s1, s20, s4
	s_addc_u32 s3, s21, s5
	s_lshl_b64 s[4:5], s[22:23], 4
	s_add_u32 s1, s1, s4
	s_addc_u32 s3, s3, s5
	s_ashr_i32 s11, s10, 31
	s_delay_alu instid0(SALU_CYCLE_1) | instskip(NEXT) | instid1(SALU_CYCLE_1)
	s_lshl_b64 s[4:5], s[10:11], 4
	s_add_u32 s1, s1, s4
	s_addc_u32 s3, s3, s5
	s_mul_i32 s4, s10, s25
	s_mul_hi_u32 s5, s10, s24
	s_delay_alu instid0(SALU_CYCLE_1) | instskip(SKIP_1) | instid1(SALU_CYCLE_1)
	s_add_i32 s4, s5, s4
	s_mul_i32 s5, s11, s24
	s_add_i32 s5, s4, s5
	s_mul_i32 s4, s10, s24
	s_delay_alu instid0(SALU_CYCLE_1) | instskip(NEXT) | instid1(SALU_CYCLE_1)
	s_lshl_b64 s[4:5], s[4:5], 4
	s_add_u32 s1, s4, s1
	s_addc_u32 s3, s5, s3
	s_cmp_eq_u32 s8, 0
	s_cselect_b32 s19, -1, 0
	s_cmp_lg_u32 s8, 0
	s_cselect_b32 s20, -1, 0
	s_delay_alu instid0(SALU_CYCLE_1) | instskip(SKIP_2) | instid1(VALU_DEP_1)
	s_and_b32 vcc_lo, exec_lo, s20
	s_waitcnt vmcnt(0)
	v_lshl_add_u32 v42, v0, 6, v183
	v_lshrrev_b32_e32 v11, 5, v42
	s_delay_alu instid0(VALU_DEP_1) | instskip(SKIP_1) | instid1(VALU_DEP_2)
	v_mad_u64_u32 v[0:1], null, v11, s24, v[4:5]
	v_mul_u32_u24_e32 v12, 33, v11
	v_mad_u64_u32 v[2:3], null, v11, s25, v[1:2]
	s_delay_alu instid0(VALU_DEP_1) | instskip(NEXT) | instid1(VALU_DEP_1)
	v_mov_b32_e32 v1, v2
	v_lshlrev_b64 v[36:37], 4, v[0:1]
	s_delay_alu instid0(VALU_DEP_1) | instskip(NEXT) | instid1(VALU_DEP_1)
	v_add_co_u32 v0, s1, s1, v36
	v_add_co_ci_u32_e64 v1, s1, s3, v37, s1
	v_cmp_gt_i32_e64 s1, s8, v4
	s_cbranch_vccz .LBB16_28
; %bb.11:
	s_delay_alu instid0(VALU_DEP_3)
	v_sub_co_u32 v2, vcc_lo, v0, v13
	s_ashr_i32 s9, s8, 31
	v_subrev_co_ci_u32_e32 v3, vcc_lo, 0, v1, vcc_lo
	s_lshl_b64 s[2:3], s[8:9], 4
	v_add_lshl_u32 v5, v12, v4, 4
	v_add_co_u32 v2, vcc_lo, v2, s2
	s_delay_alu instid0(VALU_DEP_3) | instskip(SKIP_1) | instid1(VALU_DEP_2)
	v_add_co_ci_u32_e32 v3, vcc_lo, s3, v3, vcc_lo
	s_mov_b32 s4, exec_lo
	v_add_co_u32 v2, vcc_lo, v2, -16
	s_delay_alu instid0(VALU_DEP_2) | instskip(NEXT) | instid1(VALU_DEP_2)
	v_add_co_ci_u32_e32 v3, vcc_lo, -1, v3, vcc_lo
	v_cndmask_b32_e64 v2, v2, v0, s1
	s_delay_alu instid0(VALU_DEP_2)
	v_cndmask_b32_e64 v3, v3, v1, s1
	v_cmpx_le_i32_e64 s8, v11
	s_xor_b32 s4, exec_lo, s4
	s_cbranch_execz .LBB16_13
; %bb.12:
	v_mov_b32_e32 v6, 0
	s_delay_alu instid0(VALU_DEP_1)
	v_mov_b32_e32 v7, v6
	v_mov_b32_e32 v8, v6
	;; [unrolled: 1-line block ×3, first 2 shown]
	ds_store_b128 v5, v[6:9]
.LBB16_13:
	s_and_not1_saveexec_b32 s4, s4
	s_cbranch_execz .LBB16_15
; %bb.14:
	global_load_b128 v[6:9], v[2:3], off
	s_waitcnt vmcnt(0)
	ds_store_2addr_b64 v5, v[6:7], v[8:9] offset1:1
.LBB16_15:
	s_or_b32 exec_lo, exec_lo, s4
	v_add_nc_u32_e32 v6, 8, v11
	s_mov_b32 s4, exec_lo
	s_delay_alu instid0(VALU_DEP_1)
	v_cmpx_le_i32_e64 s8, v6
	s_xor_b32 s4, exec_lo, s4
	s_cbranch_execz .LBB16_17
; %bb.16:
	v_mul_u32_u24_e32 v7, 33, v6
	v_mov_b32_e32 v6, 0
	s_delay_alu instid0(VALU_DEP_2) | instskip(NEXT) | instid1(VALU_DEP_2)
	v_add_lshl_u32 v10, v7, v4, 4
	v_mov_b32_e32 v7, v6
	v_mov_b32_e32 v8, v6
	;; [unrolled: 1-line block ×3, first 2 shown]
	ds_store_b128 v10, v[6:9]
.LBB16_17:
	s_and_not1_saveexec_b32 s4, s4
	s_cbranch_execz .LBB16_19
; %bb.18:
	s_lshl_b64 s[16:17], s[24:25], 7
	v_add_nc_u32_e32 v10, 0x1080, v5
	v_add_co_u32 v6, vcc_lo, v2, s16
	v_add_co_ci_u32_e32 v7, vcc_lo, s17, v3, vcc_lo
	global_load_b128 v[6:9], v[6:7], off
	s_waitcnt vmcnt(0)
	ds_store_2addr_b64 v10, v[6:7], v[8:9] offset1:1
.LBB16_19:
	s_or_b32 exec_lo, exec_lo, s4
	v_add_nc_u32_e32 v6, 16, v11
	s_mov_b32 s4, exec_lo
	s_delay_alu instid0(VALU_DEP_1)
	v_cmpx_le_i32_e64 s8, v6
	s_xor_b32 s4, exec_lo, s4
	s_cbranch_execz .LBB16_21
; %bb.20:
	v_mov_b32_e32 v6, 0
	s_delay_alu instid0(VALU_DEP_1)
	v_mov_b32_e32 v7, v6
	v_mov_b32_e32 v8, v6
	;; [unrolled: 1-line block ×3, first 2 shown]
	ds_store_b128 v5, v[6:9] offset:8448
.LBB16_21:
	s_and_not1_saveexec_b32 s4, s4
	s_cbranch_execz .LBB16_23
; %bb.22:
	s_lshl_b64 s[16:17], s[24:25], 8
	v_add_nc_u32_e32 v10, 0x2100, v5
	v_add_co_u32 v6, vcc_lo, v2, s16
	v_add_co_ci_u32_e32 v7, vcc_lo, s17, v3, vcc_lo
	global_load_b128 v[6:9], v[6:7], off
	s_waitcnt vmcnt(0)
	ds_store_2addr_b64 v10, v[6:7], v[8:9] offset1:1
.LBB16_23:
	s_or_b32 exec_lo, exec_lo, s4
	v_add_nc_u32_e32 v6, 24, v11
	s_mov_b32 s4, exec_lo
	s_delay_alu instid0(VALU_DEP_1)
	v_cmpx_le_i32_e64 s8, v6
	s_xor_b32 s4, exec_lo, s4
	s_cbranch_execz .LBB16_25
; %bb.24:
	v_mov_b32_e32 v6, 0
	s_delay_alu instid0(VALU_DEP_1)
	v_mov_b32_e32 v7, v6
	v_mov_b32_e32 v8, v6
	;; [unrolled: 1-line block ×3, first 2 shown]
	ds_store_b128 v5, v[6:9] offset:12672
                                        ; implicit-def: $vgpr5
.LBB16_25:
	s_and_not1_saveexec_b32 s4, s4
	s_cbranch_execz .LBB16_27
; %bb.26:
	v_mad_u64_u32 v[6:7], null, 0x180, s24, v[2:3]
	v_add_nc_u32_e32 v5, 0x3180, v5
	s_delay_alu instid0(VALU_DEP_2) | instskip(NEXT) | instid1(VALU_DEP_1)
	v_mad_u64_u32 v[8:9], null, 0x180, s25, v[7:8]
	v_mov_b32_e32 v7, v8
	global_load_b128 v[6:9], v[6:7], off
	s_waitcnt vmcnt(0)
	ds_store_2addr_b64 v5, v[6:7], v[8:9] offset1:1
.LBB16_27:
	s_or_b32 exec_lo, exec_lo, s4
	v_add_co_u32 v2, vcc_lo, v2, v13
	v_add_co_ci_u32_e32 v3, vcc_lo, 0, v3, vcc_lo
	s_delay_alu instid0(VALU_DEP_2) | instskip(NEXT) | instid1(VALU_DEP_2)
	v_sub_co_u32 v2, vcc_lo, v2, s2
	v_subrev_co_ci_u32_e32 v3, vcc_lo, s3, v3, vcc_lo
	s_delay_alu instid0(VALU_DEP_2) | instskip(NEXT) | instid1(VALU_DEP_2)
	v_add_co_u32 v2, vcc_lo, v2, 16
	v_add_co_ci_u32_e32 v3, vcc_lo, 0, v3, vcc_lo
	s_delay_alu instid0(VALU_DEP_2) | instskip(NEXT) | instid1(VALU_DEP_2)
	v_cndmask_b32_e64 v5, v2, v0, s1
	v_cndmask_b32_e64 v6, v3, v1, s1
	s_branch .LBB16_30
.LBB16_28:
                                        ; implicit-def: $vgpr5_vgpr6
	s_and_b32 vcc_lo, exec_lo, s2
	s_cbranch_vccz .LBB16_30
; %bb.29:
	v_mad_u64_u32 v[2:3], null, 0x180, s24, v[0:1]
	s_lshl_b64 s[2:3], s[24:25], 7
	s_delay_alu instid0(SALU_CYCLE_1) | instskip(SKIP_1) | instid1(VALU_DEP_3)
	v_add_co_u32 v14, vcc_lo, v0, s2
	v_add_co_ci_u32_e32 v15, vcc_lo, s3, v1, vcc_lo
	v_mad_u64_u32 v[5:6], null, 0x180, s25, v[3:4]
	s_delay_alu instid0(VALU_DEP_3) | instskip(NEXT) | instid1(VALU_DEP_3)
	v_add_co_u32 v18, vcc_lo, v14, s2
	v_add_co_ci_u32_e32 v19, vcc_lo, s3, v15, vcc_lo
	s_delay_alu instid0(VALU_DEP_3)
	v_mov_b32_e32 v3, v5
	s_clause 0x1
	global_load_b128 v[7:10], v[0:1], off
	global_load_b128 v[14:17], v[14:15], off
	;; [unrolled: 1-line block ×4, first 2 shown]
	v_add_lshl_u32 v2, v12, v4, 4
	v_dual_mov_b32 v6, v1 :: v_dual_mov_b32 v5, v0
	s_delay_alu instid0(VALU_DEP_2)
	v_add_nc_u32_e32 v26, 0x2100, v2
	v_add_nc_u32_e32 v3, 0x1080, v2
	;; [unrolled: 1-line block ×3, first 2 shown]
	s_waitcnt vmcnt(3)
	ds_store_2addr_b64 v2, v[7:8], v[9:10] offset1:1
	s_waitcnt vmcnt(2)
	ds_store_2addr_b64 v3, v[14:15], v[16:17] offset1:1
	;; [unrolled: 2-line block ×4, first 2 shown]
.LBB16_30:
	v_lshlrev_b32_e32 v18, 2, v11
	s_waitcnt lgkmcnt(0)
	s_waitcnt_vscnt null, 0x0
	s_barrier
	buffer_gl0_inv
	v_cmp_le_u32_e64 s2, v18, v4
	s_delay_alu instid0(VALU_DEP_1) | instskip(NEXT) | instid1(SALU_CYCLE_1)
	s_and_saveexec_b32 s1, s2
	s_xor_b32 s1, exec_lo, s1
	s_cbranch_execz .LBB16_34
; %bb.31:
	s_mov_b32 s3, exec_lo
	v_cmpx_eq_u32_e64 v18, v4
	s_cbranch_execz .LBB16_33
; %bb.32:
	v_mul_u32_u24_e32 v1, 34, v4
	v_mov_b32_e32 v0, 0
	s_delay_alu instid0(VALU_DEP_1)
	v_dual_mov_b32 v1, v0 :: v_dual_lshlrev_b32 v2, 4, v1
	ds_store_b64 v2, v[0:1] offset:8
.LBB16_33:
	s_or_b32 exec_lo, exec_lo, s3
.LBB16_34:
	s_or_saveexec_b32 s1, s1
	v_mul_u32_u24_e32 v14, 33, v4
	v_mul_u32_u24_e32 v1, 0x84, v11
	s_delay_alu instid0(VALU_DEP_2)
	v_add_lshl_u32 v16, v18, v14, 4
	s_xor_b32 exec_lo, exec_lo, s1
	s_cbranch_execz .LBB16_36
; %bb.35:
	s_delay_alu instid0(VALU_DEP_2)
	v_add_lshl_u32 v0, v1, v4, 4
	ds_load_b128 v[7:10], v0
	s_waitcnt lgkmcnt(0)
	v_xor_b32_e32 v10, 0x80000000, v10
	ds_store_b128 v16, v[7:10]
.LBB16_36:
	s_or_b32 exec_lo, exec_lo, s1
	v_or_b32_e32 v17, 1, v18
	v_cmp_ge_u32_e64 s3, v18, v4
	s_delay_alu instid0(VALU_DEP_2) | instskip(NEXT) | instid1(VALU_DEP_2)
	v_mul_u32_u24_e32 v0, 33, v17
	s_and_saveexec_b32 s1, s3
	s_delay_alu instid0(SALU_CYCLE_1)
	s_xor_b32 s1, exec_lo, s1
	s_cbranch_execz .LBB16_38
; %bb.37:
	s_delay_alu instid0(VALU_DEP_1)
	v_add_lshl_u32 v2, v0, v4, 4
	ds_load_b128 v[7:10], v2
	s_waitcnt lgkmcnt(0)
	v_xor_b32_e32 v10, 0x80000000, v10
	ds_store_b128 v16, v[7:10] offset:16
.LBB16_38:
	s_and_not1_saveexec_b32 s1, s1
	s_cbranch_execz .LBB16_42
; %bb.39:
	s_mov_b32 s4, exec_lo
	v_cmpx_eq_u32_e64 v17, v4
	s_cbranch_execz .LBB16_41
; %bb.40:
	v_mul_u32_u24_e32 v3, 34, v4
	s_delay_alu instid0(VALU_DEP_1) | instskip(NEXT) | instid1(VALU_DEP_1)
	v_dual_mov_b32 v2, 0 :: v_dual_lshlrev_b32 v7, 4, v3
	v_mov_b32_e32 v3, v2
	ds_store_b64 v7, v[2:3] offset:8
.LBB16_41:
	s_or_b32 exec_lo, exec_lo, s4
.LBB16_42:
	s_delay_alu instid0(SALU_CYCLE_1) | instskip(SKIP_1) | instid1(VALU_DEP_1)
	s_or_b32 exec_lo, exec_lo, s1
	v_or_b32_e32 v19, 2, v18
	v_cmp_le_u32_e64 s4, v19, v4
	s_delay_alu instid0(VALU_DEP_1) | instskip(NEXT) | instid1(SALU_CYCLE_1)
	s_and_saveexec_b32 s1, s4
	s_xor_b32 s1, exec_lo, s1
	s_cbranch_execz .LBB16_46
; %bb.43:
	s_mov_b32 s5, exec_lo
	v_cmpx_eq_u32_e64 v19, v4
	s_cbranch_execz .LBB16_45
; %bb.44:
	v_mul_u32_u24_e32 v3, 34, v4
	s_delay_alu instid0(VALU_DEP_1) | instskip(NEXT) | instid1(VALU_DEP_1)
	v_dual_mov_b32 v2, 0 :: v_dual_lshlrev_b32 v7, 4, v3
	v_mov_b32_e32 v3, v2
	ds_store_b64 v7, v[2:3] offset:8
.LBB16_45:
	s_or_b32 exec_lo, exec_lo, s5
.LBB16_46:
	s_and_not1_saveexec_b32 s1, s1
	s_cbranch_execz .LBB16_48
; %bb.47:
	v_mul_u32_u24_e32 v2, 33, v19
	s_delay_alu instid0(VALU_DEP_1)
	v_add_lshl_u32 v2, v2, v4, 4
	ds_load_b128 v[7:10], v2
	s_waitcnt lgkmcnt(0)
	v_xor_b32_e32 v10, 0x80000000, v10
	ds_store_b128 v16, v[7:10] offset:32
.LBB16_48:
	s_or_b32 exec_lo, exec_lo, s1
	v_or_b32_e32 v20, 3, v18
	s_delay_alu instid0(VALU_DEP_1) | instskip(NEXT) | instid1(VALU_DEP_1)
	v_cmp_le_u32_e64 s5, v20, v4
	s_and_saveexec_b32 s1, s5
	s_delay_alu instid0(SALU_CYCLE_1)
	s_xor_b32 s1, exec_lo, s1
	s_cbranch_execz .LBB16_52
; %bb.49:
	s_mov_b32 s6, exec_lo
	v_cmpx_eq_u32_e64 v20, v4
	s_cbranch_execz .LBB16_51
; %bb.50:
	v_mul_u32_u24_e32 v3, 34, v4
	s_delay_alu instid0(VALU_DEP_1) | instskip(NEXT) | instid1(VALU_DEP_1)
	v_dual_mov_b32 v2, 0 :: v_dual_lshlrev_b32 v7, 4, v3
	v_mov_b32_e32 v3, v2
	ds_store_b64 v7, v[2:3] offset:8
.LBB16_51:
	s_or_b32 exec_lo, exec_lo, s6
.LBB16_52:
	s_and_not1_saveexec_b32 s1, s1
	s_cbranch_execz .LBB16_54
; %bb.53:
	v_mul_u32_u24_e32 v2, 33, v20
	s_delay_alu instid0(VALU_DEP_1)
	v_add_lshl_u32 v2, v2, v4, 4
	ds_load_b128 v[7:10], v2
	s_waitcnt lgkmcnt(0)
	v_xor_b32_e32 v10, 0x80000000, v10
	ds_store_b128 v16, v[7:10] offset:48
.LBB16_54:
	s_or_b32 exec_lo, exec_lo, s1
	v_add_lshl_u32 v15, v1, v4, 4
	v_lshlrev_b32_e32 v21, 4, v18
	s_waitcnt lgkmcnt(0)
	s_barrier
	buffer_gl0_inv
	ds_load_b128 v[7:10], v15
	ds_load_b128 v[22:25], v21 offset:18176
	v_add_lshl_u32 v45, v0, v4, 4
	ds_load_b128 v[0:3], v21 offset:18192
	ds_load_b128 v[26:29], v45
	v_cmp_gt_u32_e64 s1, 32, v42
	s_waitcnt lgkmcnt(2)
	v_mul_f64 v[30:31], v[24:25], v[9:10]
	v_mul_f64 v[9:10], v[22:23], v[9:10]
	s_waitcnt lgkmcnt(0)
	v_mul_f64 v[40:41], v[2:3], v[28:29]
	v_mul_f64 v[43:44], v[0:1], v[28:29]
	s_delay_alu instid0(VALU_DEP_4) | instskip(NEXT) | instid1(VALU_DEP_4)
	v_fma_f64 v[46:47], v[22:23], v[7:8], -v[30:31]
	v_fma_f64 v[48:49], v[24:25], v[7:8], v[9:10]
	ds_load_b128 v[7:10], v45 offset:528
	ds_load_b128 v[22:25], v21 offset:18208
	;; [unrolled: 1-line block ×4, first 2 shown]
	s_waitcnt lgkmcnt(0)
	s_barrier
	v_fma_f64 v[0:1], v[0:1], v[26:27], -v[40:41]
	v_fma_f64 v[2:3], v[2:3], v[26:27], v[43:44]
	buffer_gl0_inv
	v_mul_f64 v[50:51], v[24:25], v[9:10]
	v_mul_f64 v[9:10], v[22:23], v[9:10]
	;; [unrolled: 1-line block ×4, first 2 shown]
	v_add_f64 v[26:27], v[46:47], 0
	v_add_f64 v[40:41], v[48:49], 0
	v_fma_f64 v[22:23], v[22:23], v[7:8], -v[50:51]
	v_fma_f64 v[7:8], v[24:25], v[7:8], v[9:10]
	v_fma_f64 v[9:10], v[28:29], v[32:33], -v[43:44]
	v_fma_f64 v[24:25], v[30:31], v[32:33], v[34:35]
	v_add_lshl_u32 v44, v11, v14, 4
	v_add_f64 v[0:1], v[26:27], v[0:1]
	v_add_f64 v[2:3], v[40:41], v[2:3]
	s_delay_alu instid0(VALU_DEP_2) | instskip(NEXT) | instid1(VALU_DEP_2)
	v_add_f64 v[0:1], v[0:1], v[22:23]
	v_add_f64 v[2:3], v[2:3], v[7:8]
	s_delay_alu instid0(VALU_DEP_2) | instskip(SKIP_1) | instid1(VALU_DEP_3)
	v_add_f64 v[7:8], v[0:1], v[9:10]
	v_mov_b32_e32 v0, 0
	v_add_f64 v[9:10], v[2:3], v[24:25]
	v_mov_b32_e32 v1, 0
	v_lshlrev_b32_e32 v43, 4, v14
	s_delay_alu instid0(VALU_DEP_2)
	v_dual_mov_b32 v3, v1 :: v_dual_mov_b32 v2, v0
	ds_store_b128 v44, v[7:10]
	s_waitcnt lgkmcnt(0)
	s_barrier
	buffer_gl0_inv
	s_and_saveexec_b32 s6, s1
	s_cbranch_execz .LBB16_56
; %bb.55:
	ds_load_b128 v[0:3], v43
	ds_load_b128 v[7:10], v43 offset:16
	s_waitcnt lgkmcnt(0)
	v_add_f64 v[22:23], v[7:8], v[0:1]
	v_add_f64 v[24:25], v[9:10], v[2:3]
	ds_load_b128 v[0:3], v43 offset:32
	ds_load_b128 v[7:10], v43 offset:48
	s_waitcnt lgkmcnt(1)
	v_add_f64 v[0:1], v[22:23], v[0:1]
	v_add_f64 v[2:3], v[24:25], v[2:3]
	s_waitcnt lgkmcnt(0)
	s_delay_alu instid0(VALU_DEP_2) | instskip(NEXT) | instid1(VALU_DEP_2)
	v_add_f64 v[22:23], v[0:1], v[7:8]
	v_add_f64 v[24:25], v[2:3], v[9:10]
	ds_load_b128 v[0:3], v43 offset:64
	ds_load_b128 v[7:10], v43 offset:80
	s_waitcnt lgkmcnt(1)
	v_add_f64 v[0:1], v[22:23], v[0:1]
	v_add_f64 v[2:3], v[24:25], v[2:3]
	s_waitcnt lgkmcnt(0)
	s_delay_alu instid0(VALU_DEP_2) | instskip(NEXT) | instid1(VALU_DEP_2)
	;; [unrolled: 9-line block ×3, first 2 shown]
	v_add_f64 v[0:1], v[0:1], v[7:8]
	v_add_f64 v[2:3], v[2:3], v[9:10]
.LBB16_56:
	s_or_b32 exec_lo, exec_lo, s6
	s_lshl_b64 s[16:17], s[24:25], 9
	s_delay_alu instid0(SALU_CYCLE_1) | instskip(SKIP_2) | instid1(VALU_DEP_2)
	v_add_co_u32 v9, vcc_lo, v5, s16
	v_add_co_ci_u32_e32 v10, vcc_lo, s17, v6, vcc_lo
	s_barrier
	v_add_co_u32 v7, vcc_lo, 0x200, v9
	s_delay_alu instid0(VALU_DEP_2)
	v_add_co_ci_u32_e32 v8, vcc_lo, 0, v10, vcc_lo
	s_and_b32 vcc_lo, exec_lo, s20
	buffer_gl0_inv
	s_cbranch_vccz .LBB16_74
; %bb.57:
	v_sub_co_u32 v5, vcc_lo, v7, v13
	s_ashr_i32 s9, s8, 31
	v_subrev_co_ci_u32_e32 v6, vcc_lo, 0, v8, vcc_lo
	s_lshl_b64 s[16:17], s[8:9], 4
	v_or_b32_e32 v22, 32, v4
	v_add_co_u32 v5, vcc_lo, v5, s16
	s_delay_alu instid0(VALU_DEP_3) | instskip(SKIP_1) | instid1(VALU_DEP_2)
	v_add_co_ci_u32_e32 v6, vcc_lo, s17, v6, vcc_lo
	s_sub_i32 s9, s8, 32
	v_add_co_u32 v5, vcc_lo, 0xfffffdf0, v5
	s_delay_alu instid0(VALU_DEP_2) | instskip(SKIP_3) | instid1(VALU_DEP_4)
	v_add_co_ci_u32_e32 v6, vcc_lo, -1, v6, vcc_lo
	v_cmp_gt_i32_e32 vcc_lo, s8, v22
	v_cmp_le_i32_e64 s6, s9, v11
	v_add_lshl_u32 v22, v12, v4, 4
	v_dual_cndmask_b32 v6, v6, v8 :: v_dual_cndmask_b32 v5, v5, v7
	s_delay_alu instid0(VALU_DEP_3) | instskip(NEXT) | instid1(SALU_CYCLE_1)
	s_and_saveexec_b32 s21, s6
	s_xor_b32 s6, exec_lo, s21
	s_cbranch_execz .LBB16_59
; %bb.58:
	v_mov_b32_e32 v23, 0
	s_delay_alu instid0(VALU_DEP_1)
	v_mov_b32_e32 v24, v23
	v_mov_b32_e32 v25, v23
	;; [unrolled: 1-line block ×3, first 2 shown]
	ds_store_b128 v22, v[23:26]
.LBB16_59:
	s_and_not1_saveexec_b32 s6, s6
	s_cbranch_execz .LBB16_61
; %bb.60:
	global_load_b128 v[23:26], v[5:6], off
	s_waitcnt vmcnt(0)
	ds_store_2addr_b64 v22, v[23:24], v[25:26] offset1:1
.LBB16_61:
	s_or_b32 exec_lo, exec_lo, s6
	v_add_nc_u32_e32 v23, 8, v11
	s_delay_alu instid0(VALU_DEP_1) | instskip(NEXT) | instid1(VALU_DEP_1)
	v_cmp_le_i32_e64 s6, s9, v23
	s_and_saveexec_b32 s21, s6
	s_delay_alu instid0(SALU_CYCLE_1)
	s_xor_b32 s6, exec_lo, s21
	s_cbranch_execz .LBB16_63
; %bb.62:
	v_mul_u32_u24_e32 v24, 33, v23
	v_mov_b32_e32 v23, 0
	s_delay_alu instid0(VALU_DEP_2) | instskip(NEXT) | instid1(VALU_DEP_2)
	v_add_lshl_u32 v27, v24, v4, 4
	v_mov_b32_e32 v24, v23
	v_mov_b32_e32 v25, v23
	;; [unrolled: 1-line block ×3, first 2 shown]
	ds_store_b128 v27, v[23:26]
.LBB16_63:
	s_and_not1_saveexec_b32 s21, s6
	s_cbranch_execz .LBB16_65
; %bb.64:
	s_lshl_b64 s[22:23], s[24:25], 7
	v_add_nc_u32_e32 v27, 0x1080, v22
	v_add_co_u32 v23, s6, v5, s22
	s_delay_alu instid0(VALU_DEP_1)
	v_add_co_ci_u32_e64 v24, s6, s23, v6, s6
	global_load_b128 v[23:26], v[23:24], off
	s_waitcnt vmcnt(0)
	ds_store_2addr_b64 v27, v[23:24], v[25:26] offset1:1
.LBB16_65:
	s_or_b32 exec_lo, exec_lo, s21
	v_add_nc_u32_e32 v23, 16, v11
	s_delay_alu instid0(VALU_DEP_1) | instskip(NEXT) | instid1(VALU_DEP_1)
	v_cmp_le_i32_e64 s6, s9, v23
	s_and_saveexec_b32 s21, s6
	s_delay_alu instid0(SALU_CYCLE_1)
	s_xor_b32 s6, exec_lo, s21
	s_cbranch_execz .LBB16_67
; %bb.66:
	v_mov_b32_e32 v23, 0
	s_delay_alu instid0(VALU_DEP_1)
	v_mov_b32_e32 v24, v23
	v_mov_b32_e32 v25, v23
	;; [unrolled: 1-line block ×3, first 2 shown]
	ds_store_b128 v22, v[23:26] offset:8448
.LBB16_67:
	s_and_not1_saveexec_b32 s21, s6
	s_cbranch_execz .LBB16_69
; %bb.68:
	s_lshl_b64 s[22:23], s[24:25], 8
	v_add_nc_u32_e32 v27, 0x2100, v22
	v_add_co_u32 v23, s6, v5, s22
	s_delay_alu instid0(VALU_DEP_1)
	v_add_co_ci_u32_e64 v24, s6, s23, v6, s6
	global_load_b128 v[23:26], v[23:24], off
	s_waitcnt vmcnt(0)
	ds_store_2addr_b64 v27, v[23:24], v[25:26] offset1:1
.LBB16_69:
	s_or_b32 exec_lo, exec_lo, s21
	v_add_nc_u32_e32 v23, 24, v11
	s_delay_alu instid0(VALU_DEP_1) | instskip(NEXT) | instid1(VALU_DEP_1)
	v_cmp_le_i32_e64 s6, s9, v23
	s_and_saveexec_b32 s9, s6
	s_delay_alu instid0(SALU_CYCLE_1)
	s_xor_b32 s6, exec_lo, s9
	s_cbranch_execz .LBB16_71
; %bb.70:
	v_mov_b32_e32 v23, 0
	s_delay_alu instid0(VALU_DEP_1)
	v_mov_b32_e32 v24, v23
	v_mov_b32_e32 v25, v23
	v_mov_b32_e32 v26, v23
	ds_store_b128 v22, v[23:26] offset:12672
                                        ; implicit-def: $vgpr22
.LBB16_71:
	s_and_not1_saveexec_b32 s6, s6
	s_cbranch_execz .LBB16_73
; %bb.72:
	v_mad_u64_u32 v[23:24], null, 0x180, s24, v[5:6]
	v_add_nc_u32_e32 v22, 0x3180, v22
	s_delay_alu instid0(VALU_DEP_2) | instskip(NEXT) | instid1(VALU_DEP_1)
	v_mad_u64_u32 v[25:26], null, 0x180, s25, v[24:25]
	v_mov_b32_e32 v24, v25
	global_load_b128 v[23:26], v[23:24], off
	s_waitcnt vmcnt(0)
	ds_store_2addr_b64 v22, v[23:24], v[25:26] offset1:1
.LBB16_73:
	s_or_b32 exec_lo, exec_lo, s6
	v_add_co_u32 v5, s6, v5, v13
	s_delay_alu instid0(VALU_DEP_1) | instskip(NEXT) | instid1(VALU_DEP_2)
	v_add_co_ci_u32_e64 v6, s6, 0, v6, s6
	v_sub_co_u32 v5, s6, v5, s16
	s_delay_alu instid0(VALU_DEP_1) | instskip(NEXT) | instid1(VALU_DEP_2)
	v_subrev_co_ci_u32_e64 v6, s6, s17, v6, s6
	v_add_co_u32 v5, s6, 0x210, v5
	s_delay_alu instid0(VALU_DEP_1) | instskip(NEXT) | instid1(VALU_DEP_1)
	v_add_co_ci_u32_e64 v6, s6, 0, v6, s6
	v_dual_cndmask_b32 v5, v5, v7 :: v_dual_cndmask_b32 v6, v6, v8
	s_branch .LBB16_76
.LBB16_74:
                                        ; implicit-def: $vgpr5_vgpr6
	s_cbranch_execz .LBB16_76
; %bb.75:
	v_mad_u64_u32 v[5:6], null, 0x180, s24, v[9:10]
	s_lshl_b64 s[16:17], s[24:25], 7
	s_delay_alu instid0(SALU_CYCLE_1) | instskip(SKIP_1) | instid1(VALU_DEP_3)
	v_add_co_u32 v9, vcc_lo, v9, s16
	v_add_co_ci_u32_e32 v10, vcc_lo, s17, v10, vcc_lo
	v_mad_u64_u32 v[22:23], null, 0x180, s25, v[6:7]
	s_delay_alu instid0(VALU_DEP_3) | instskip(NEXT) | instid1(VALU_DEP_3)
	v_add_co_u32 v30, vcc_lo, v9, s16
	v_add_co_ci_u32_e32 v31, vcc_lo, s17, v10, vcc_lo
	s_delay_alu instid0(VALU_DEP_3)
	v_mov_b32_e32 v6, v22
	s_clause 0x3
	global_load_b128 v[22:25], v[7:8], off
	global_load_b128 v[26:29], v[9:10], off offset:512
	global_load_b128 v[30:33], v[30:31], off offset:512
	;; [unrolled: 1-line block ×3, first 2 shown]
	v_add_lshl_u32 v9, v12, v4, 4
	v_dual_mov_b32 v5, v7 :: v_dual_mov_b32 v6, v8
	s_delay_alu instid0(VALU_DEP_2)
	v_add_nc_u32_e32 v35, 0x3180, v9
	v_add_nc_u32_e32 v10, 0x1080, v9
	;; [unrolled: 1-line block ×3, first 2 shown]
	s_waitcnt vmcnt(3)
	ds_store_2addr_b64 v9, v[22:23], v[24:25] offset1:1
	s_waitcnt vmcnt(2)
	ds_store_2addr_b64 v10, v[26:27], v[28:29] offset1:1
	;; [unrolled: 2-line block ×4, first 2 shown]
.LBB16_76:
	s_waitcnt lgkmcnt(0)
	s_barrier
	buffer_gl0_inv
	s_and_saveexec_b32 s6, s2
	s_delay_alu instid0(SALU_CYCLE_1)
	s_xor_b32 s2, exec_lo, s6
	s_cbranch_execnz .LBB16_105
; %bb.77:
	s_and_not1_saveexec_b32 s2, s2
	s_cbranch_execnz .LBB16_108
.LBB16_78:
	s_or_b32 exec_lo, exec_lo, s2
	s_and_saveexec_b32 s2, s3
	s_delay_alu instid0(SALU_CYCLE_1)
	s_xor_b32 s2, exec_lo, s2
	s_cbranch_execnz .LBB16_109
.LBB16_79:
	s_and_not1_saveexec_b32 s2, s2
	s_cbranch_execnz .LBB16_110
.LBB16_80:
	s_or_b32 exec_lo, exec_lo, s2
	s_and_saveexec_b32 s2, s4
	s_delay_alu instid0(SALU_CYCLE_1)
	s_xor_b32 s2, exec_lo, s2
	s_cbranch_execnz .LBB16_113
.LBB16_81:
	s_and_not1_saveexec_b32 s2, s2
	s_cbranch_execnz .LBB16_116
.LBB16_82:
	s_or_b32 exec_lo, exec_lo, s2
	s_and_saveexec_b32 s2, s5
	s_delay_alu instid0(SALU_CYCLE_1)
	s_xor_b32 s2, exec_lo, s2
	s_cbranch_execnz .LBB16_117
.LBB16_83:
	s_or_saveexec_b32 s2, s2
	v_add_nc_u32_e32 v17, 0x4700, v21
	s_xor_b32 exec_lo, exec_lo, s2
	s_cbranch_execz .LBB16_85
.LBB16_84:
	ds_load_b128 v[7:10], v45 offset:1056
	s_waitcnt lgkmcnt(0)
	v_xor_b32_e32 v10, 0x80000000, v10
	ds_store_b128 v16, v[7:10] offset:48
.LBB16_85:
	s_or_b32 exec_lo, exec_lo, s2
	s_waitcnt lgkmcnt(0)
	s_barrier
	buffer_gl0_inv
	ds_load_b128 v[7:10], v17 offset:512
	ds_load_b128 v[18:21], v15
	v_cmp_eq_u32_e64 s2, 1, v11
	s_waitcnt lgkmcnt(0)
	v_mul_f64 v[32:33], v[9:10], v[20:21]
	v_mul_f64 v[34:35], v[7:8], v[20:21]
	ds_load_b128 v[20:23], v45
	ds_load_b128 v[24:27], v17 offset:528
	ds_load_b128 v[28:31], v17 offset:544
	s_waitcnt lgkmcnt(1)
	v_mul_f64 v[40:41], v[26:27], v[22:23]
	v_mul_f64 v[22:23], v[24:25], v[22:23]
	v_fma_f64 v[46:47], v[7:8], v[18:19], -v[32:33]
	v_fma_f64 v[18:19], v[9:10], v[18:19], v[34:35]
	ds_load_b128 v[7:10], v45 offset:528
	ds_load_b128 v[32:35], v45 offset:1056
	s_waitcnt lgkmcnt(1)
	v_mul_f64 v[48:49], v[30:31], v[9:10]
	v_mul_f64 v[9:10], v[28:29], v[9:10]
	v_fma_f64 v[24:25], v[24:25], v[20:21], -v[40:41]
	v_fma_f64 v[22:23], v[26:27], v[20:21], v[22:23]
	v_add_f64 v[26:27], v[46:47], 0
	v_add_f64 v[40:41], v[18:19], 0
	ds_load_b128 v[18:21], v17 offset:560
	s_waitcnt lgkmcnt(0)
	s_barrier
	buffer_gl0_inv
	v_fma_f64 v[28:29], v[28:29], v[7:8], -v[48:49]
	v_mul_f64 v[46:47], v[20:21], v[34:35]
	v_mul_f64 v[34:35], v[18:19], v[34:35]
	v_fma_f64 v[7:8], v[30:31], v[7:8], v[9:10]
	v_add_f64 v[9:10], v[26:27], v[24:25]
	v_add_f64 v[22:23], v[40:41], v[22:23]
	v_fma_f64 v[18:19], v[18:19], v[32:33], -v[46:47]
	v_fma_f64 v[20:21], v[20:21], v[32:33], v[34:35]
	s_delay_alu instid0(VALU_DEP_4) | instskip(NEXT) | instid1(VALU_DEP_4)
	v_add_f64 v[9:10], v[9:10], v[28:29]
	v_add_f64 v[22:23], v[22:23], v[7:8]
	s_delay_alu instid0(VALU_DEP_2) | instskip(NEXT) | instid1(VALU_DEP_2)
	v_add_f64 v[7:8], v[9:10], v[18:19]
	v_add_f64 v[9:10], v[22:23], v[20:21]
	ds_store_b128 v44, v[7:10]
	s_waitcnt lgkmcnt(0)
	s_barrier
	buffer_gl0_inv
	s_and_saveexec_b32 s3, s2
	s_cbranch_execz .LBB16_87
; %bb.86:
	ds_load_b128 v[0:3], v43
	ds_load_b128 v[7:10], v43 offset:16
	s_waitcnt lgkmcnt(0)
	v_add_f64 v[18:19], v[7:8], v[0:1]
	v_add_f64 v[20:21], v[9:10], v[2:3]
	ds_load_b128 v[0:3], v43 offset:32
	ds_load_b128 v[7:10], v43 offset:48
	s_waitcnt lgkmcnt(1)
	v_add_f64 v[0:1], v[18:19], v[0:1]
	v_add_f64 v[2:3], v[20:21], v[2:3]
	s_waitcnt lgkmcnt(0)
	s_delay_alu instid0(VALU_DEP_2) | instskip(NEXT) | instid1(VALU_DEP_2)
	v_add_f64 v[18:19], v[0:1], v[7:8]
	v_add_f64 v[20:21], v[2:3], v[9:10]
	ds_load_b128 v[0:3], v43 offset:64
	ds_load_b128 v[7:10], v43 offset:80
	s_waitcnt lgkmcnt(1)
	v_add_f64 v[0:1], v[18:19], v[0:1]
	v_add_f64 v[2:3], v[20:21], v[2:3]
	s_waitcnt lgkmcnt(0)
	s_delay_alu instid0(VALU_DEP_2) | instskip(NEXT) | instid1(VALU_DEP_2)
	;; [unrolled: 9-line block ×3, first 2 shown]
	v_add_f64 v[0:1], v[0:1], v[7:8]
	v_add_f64 v[2:3], v[2:3], v[9:10]
.LBB16_87:
	s_or_b32 exec_lo, exec_lo, s3
	v_add_co_u32 v7, vcc_lo, 0xfffffe00, v5
	v_add_co_ci_u32_e32 v8, vcc_lo, -1, v6, vcc_lo
	s_and_b32 vcc_lo, exec_lo, s20
	s_barrier
	buffer_gl0_inv
	s_cbranch_vccz .LBB16_120
; %bb.88:
	v_sub_co_u32 v9, vcc_lo, v5, v13
	s_ashr_i32 s9, s8, 31
	v_subrev_co_ci_u32_e32 v10, vcc_lo, 0, v6, vcc_lo
	s_lshl_b64 s[4:5], s[8:9], 4
	s_sub_i32 s6, s8, 32
	v_add_co_u32 v9, vcc_lo, v9, s4
	s_delay_alu instid0(VALU_DEP_2) | instskip(SKIP_1) | instid1(VALU_DEP_3)
	v_add_co_ci_u32_e32 v10, vcc_lo, s5, v10, vcc_lo
	v_cmp_le_i32_e64 s3, s6, v11
	v_add_co_u32 v9, vcc_lo, 0xfffffdf0, v9
	s_delay_alu instid0(VALU_DEP_3) | instskip(SKIP_2) | instid1(VALU_DEP_3)
	v_add_co_ci_u32_e32 v10, vcc_lo, -1, v10, vcc_lo
	v_cmp_gt_i32_e32 vcc_lo, s8, v4
	v_add_lshl_u32 v20, v12, v4, 4
	v_dual_cndmask_b32 v10, v10, v8 :: v_dual_cndmask_b32 v9, v9, v7
	s_and_saveexec_b32 s9, s3
	s_delay_alu instid0(SALU_CYCLE_1)
	s_xor_b32 s3, exec_lo, s9
	s_cbranch_execz .LBB16_90
; %bb.89:
	v_mov_b32_e32 v21, 0
	s_delay_alu instid0(VALU_DEP_1)
	v_mov_b32_e32 v22, v21
	v_mov_b32_e32 v23, v21
	;; [unrolled: 1-line block ×3, first 2 shown]
	ds_store_b128 v20, v[21:24]
.LBB16_90:
	s_and_not1_saveexec_b32 s3, s3
	s_cbranch_execz .LBB16_92
; %bb.91:
	global_load_b128 v[21:24], v[9:10], off
	s_waitcnt vmcnt(0)
	ds_store_2addr_b64 v20, v[21:22], v[23:24] offset1:1
.LBB16_92:
	s_or_b32 exec_lo, exec_lo, s3
	v_add_nc_u32_e32 v19, 8, v11
	s_delay_alu instid0(VALU_DEP_1) | instskip(NEXT) | instid1(VALU_DEP_1)
	v_cmp_le_i32_e64 s3, s6, v19
	s_and_saveexec_b32 s9, s3
	s_delay_alu instid0(SALU_CYCLE_1)
	s_xor_b32 s3, exec_lo, s9
	s_cbranch_execz .LBB16_94
; %bb.93:
	v_mul_u32_u24_e32 v16, 33, v19
	v_mov_b32_e32 v21, 0
	s_delay_alu instid0(VALU_DEP_2) | instskip(NEXT) | instid1(VALU_DEP_2)
	v_add_lshl_u32 v16, v16, v4, 4
	v_mov_b32_e32 v22, v21
	v_mov_b32_e32 v23, v21
	;; [unrolled: 1-line block ×3, first 2 shown]
	ds_store_b128 v16, v[21:24]
.LBB16_94:
	s_and_not1_saveexec_b32 s9, s3
	s_cbranch_execz .LBB16_96
; %bb.95:
	s_lshl_b64 s[16:17], s[24:25], 7
	v_add_nc_u32_e32 v16, 0x1080, v20
	v_add_co_u32 v21, s3, v9, s16
	s_delay_alu instid0(VALU_DEP_1)
	v_add_co_ci_u32_e64 v22, s3, s17, v10, s3
	global_load_b128 v[21:24], v[21:22], off
	s_waitcnt vmcnt(0)
	ds_store_2addr_b64 v16, v[21:22], v[23:24] offset1:1
.LBB16_96:
	s_or_b32 exec_lo, exec_lo, s9
	v_add_nc_u32_e32 v16, 16, v11
	s_delay_alu instid0(VALU_DEP_1) | instskip(NEXT) | instid1(VALU_DEP_1)
	v_cmp_le_i32_e64 s3, s6, v16
	s_and_saveexec_b32 s9, s3
	s_delay_alu instid0(SALU_CYCLE_1)
	s_xor_b32 s3, exec_lo, s9
	s_cbranch_execz .LBB16_98
; %bb.97:
	v_mov_b32_e32 v21, 0
	s_delay_alu instid0(VALU_DEP_1)
	v_mov_b32_e32 v22, v21
	v_mov_b32_e32 v23, v21
	;; [unrolled: 1-line block ×3, first 2 shown]
	ds_store_b128 v20, v[21:24] offset:8448
.LBB16_98:
	s_and_not1_saveexec_b32 s9, s3
	s_cbranch_execz .LBB16_100
; %bb.99:
	s_lshl_b64 s[16:17], s[24:25], 8
	v_add_nc_u32_e32 v18, 0x2100, v20
	v_add_co_u32 v21, s3, v9, s16
	s_delay_alu instid0(VALU_DEP_1)
	v_add_co_ci_u32_e64 v22, s3, s17, v10, s3
	global_load_b128 v[21:24], v[21:22], off
	s_waitcnt vmcnt(0)
	ds_store_2addr_b64 v18, v[21:22], v[23:24] offset1:1
.LBB16_100:
	s_or_b32 exec_lo, exec_lo, s9
	v_add_nc_u32_e32 v18, 24, v11
	s_delay_alu instid0(VALU_DEP_1) | instskip(NEXT) | instid1(VALU_DEP_1)
	v_cmp_le_i32_e64 s3, s6, v18
	s_and_saveexec_b32 s6, s3
	s_delay_alu instid0(SALU_CYCLE_1)
	s_xor_b32 s3, exec_lo, s6
	s_cbranch_execz .LBB16_102
; %bb.101:
	v_mov_b32_e32 v21, 0
	s_delay_alu instid0(VALU_DEP_1)
	v_mov_b32_e32 v22, v21
	v_mov_b32_e32 v23, v21
	;; [unrolled: 1-line block ×3, first 2 shown]
	ds_store_b128 v20, v[21:24] offset:12672
                                        ; implicit-def: $vgpr20
.LBB16_102:
	s_and_not1_saveexec_b32 s3, s3
	s_cbranch_execz .LBB16_104
; %bb.103:
	v_mad_u64_u32 v[21:22], null, 0x180, s24, v[9:10]
	v_add_nc_u32_e32 v20, 0x3180, v20
	s_delay_alu instid0(VALU_DEP_2) | instskip(NEXT) | instid1(VALU_DEP_1)
	v_mad_u64_u32 v[23:24], null, 0x180, s25, v[22:23]
	v_mov_b32_e32 v22, v23
	global_load_b128 v[21:24], v[21:22], off
	s_waitcnt vmcnt(0)
	ds_store_2addr_b64 v20, v[21:22], v[23:24] offset1:1
.LBB16_104:
	s_or_b32 exec_lo, exec_lo, s3
	v_add_co_u32 v9, s3, v9, v13
	s_delay_alu instid0(VALU_DEP_1) | instskip(NEXT) | instid1(VALU_DEP_2)
	v_add_co_ci_u32_e64 v10, s3, 0, v10, s3
	v_sub_co_u32 v9, s3, v9, s4
	s_delay_alu instid0(VALU_DEP_1) | instskip(NEXT) | instid1(VALU_DEP_2)
	v_subrev_co_ci_u32_e64 v10, s3, s5, v10, s3
	v_add_co_u32 v9, s3, v9, 16
	s_delay_alu instid0(VALU_DEP_1) | instskip(NEXT) | instid1(VALU_DEP_1)
	v_add_co_ci_u32_e64 v10, s3, 0, v10, s3
	v_dual_cndmask_b32 v40, v9, v7 :: v_dual_cndmask_b32 v41, v10, v8
	s_branch .LBB16_122
.LBB16_105:
	s_mov_b32 s6, exec_lo
	v_cmpx_eq_u32_e64 v18, v4
	s_cbranch_execz .LBB16_107
; %bb.106:
	v_mul_u32_u24_e32 v8, 34, v4
	v_mov_b32_e32 v7, 0
	s_delay_alu instid0(VALU_DEP_1)
	v_dual_mov_b32 v8, v7 :: v_dual_lshlrev_b32 v9, 4, v8
	ds_store_b64 v9, v[7:8] offset:8
.LBB16_107:
	s_or_b32 exec_lo, exec_lo, s6
	s_and_not1_saveexec_b32 s2, s2
	s_cbranch_execz .LBB16_78
.LBB16_108:
	ds_load_b128 v[7:10], v15
	s_waitcnt lgkmcnt(0)
	v_xor_b32_e32 v10, 0x80000000, v10
	ds_store_b128 v16, v[7:10]
	s_or_b32 exec_lo, exec_lo, s2
	s_and_saveexec_b32 s2, s3
	s_delay_alu instid0(SALU_CYCLE_1)
	s_xor_b32 s2, exec_lo, s2
	s_cbranch_execz .LBB16_79
.LBB16_109:
	ds_load_b128 v[7:10], v45
                                        ; implicit-def: $vgpr17
	s_waitcnt lgkmcnt(0)
	v_xor_b32_e32 v10, 0x80000000, v10
	ds_store_b128 v16, v[7:10] offset:16
	s_and_not1_saveexec_b32 s2, s2
	s_cbranch_execz .LBB16_80
.LBB16_110:
	s_mov_b32 s3, exec_lo
	v_cmpx_eq_u32_e64 v17, v4
	s_cbranch_execz .LBB16_112
; %bb.111:
	v_mul_u32_u24_e32 v8, 34, v4
	v_mov_b32_e32 v7, 0
	s_delay_alu instid0(VALU_DEP_1)
	v_dual_mov_b32 v8, v7 :: v_dual_lshlrev_b32 v9, 4, v8
	ds_store_b64 v9, v[7:8] offset:8
.LBB16_112:
	s_or_b32 exec_lo, exec_lo, s3
	s_delay_alu instid0(SALU_CYCLE_1) | instskip(SKIP_1) | instid1(SALU_CYCLE_1)
	s_or_b32 exec_lo, exec_lo, s2
	s_and_saveexec_b32 s2, s4
	s_xor_b32 s2, exec_lo, s2
	s_cbranch_execz .LBB16_81
.LBB16_113:
	s_mov_b32 s3, exec_lo
	v_cmpx_eq_u32_e64 v19, v4
	s_cbranch_execz .LBB16_115
; %bb.114:
	v_mul_u32_u24_e32 v8, 34, v4
	v_mov_b32_e32 v7, 0
	s_delay_alu instid0(VALU_DEP_1)
	v_dual_mov_b32 v8, v7 :: v_dual_lshlrev_b32 v9, 4, v8
	ds_store_b64 v9, v[7:8] offset:8
.LBB16_115:
	s_or_b32 exec_lo, exec_lo, s3
	s_and_not1_saveexec_b32 s2, s2
	s_cbranch_execz .LBB16_82
.LBB16_116:
	ds_load_b128 v[7:10], v45 offset:528
	s_waitcnt lgkmcnt(0)
	v_xor_b32_e32 v10, 0x80000000, v10
	ds_store_b128 v16, v[7:10] offset:32
	s_or_b32 exec_lo, exec_lo, s2
	s_and_saveexec_b32 s2, s5
	s_delay_alu instid0(SALU_CYCLE_1)
	s_xor_b32 s2, exec_lo, s2
	s_cbranch_execz .LBB16_83
.LBB16_117:
	s_mov_b32 s3, exec_lo
	v_cmpx_eq_u32_e64 v20, v4
	s_cbranch_execz .LBB16_119
; %bb.118:
	v_mul_u32_u24_e32 v8, 34, v4
	v_mov_b32_e32 v7, 0
	s_delay_alu instid0(VALU_DEP_1)
	v_dual_mov_b32 v8, v7 :: v_dual_lshlrev_b32 v9, 4, v8
	ds_store_b64 v9, v[7:8] offset:8
.LBB16_119:
	s_or_b32 exec_lo, exec_lo, s3
                                        ; implicit-def: $vgpr16
	s_or_saveexec_b32 s2, s2
	v_add_nc_u32_e32 v17, 0x4700, v21
	s_xor_b32 exec_lo, exec_lo, s2
	s_cbranch_execnz .LBB16_84
	s_branch .LBB16_85
.LBB16_120:
                                        ; implicit-def: $vgpr40_vgpr41
                                        ; implicit-def: $vgpr19
                                        ; implicit-def: $vgpr16
                                        ; implicit-def: $vgpr18
	s_cbranch_execz .LBB16_122
; %bb.121:
	v_mad_u64_u32 v[9:10], null, 0x180, s24, v[5:6]
	s_lshl_b64 s[4:5], s[24:25], 7
	v_add_lshl_u32 v4, v12, v4, 4
	v_add_co_u32 v5, vcc_lo, v5, s4
	v_add_co_ci_u32_e32 v6, vcc_lo, s5, v6, vcc_lo
	s_delay_alu instid0(VALU_DEP_4) | instskip(NEXT) | instid1(VALU_DEP_3)
	v_mad_u64_u32 v[18:19], null, 0x180, s25, v[10:11]
	v_add_co_u32 v28, vcc_lo, v5, s4
	s_delay_alu instid0(VALU_DEP_3) | instskip(SKIP_1) | instid1(VALU_DEP_4)
	v_add_co_ci_u32_e32 v29, vcc_lo, s5, v6, vcc_lo
	v_dual_mov_b32 v41, v8 :: v_dual_add_nc_u32 v16, 16, v11
	v_dual_mov_b32 v10, v18 :: v_dual_add_nc_u32 v19, 8, v11
	s_clause 0x3
	global_load_b128 v[20:23], v[7:8], off
	global_load_b128 v[24:27], v[5:6], off offset:-512
	global_load_b128 v[28:31], v[28:29], off offset:-512
	;; [unrolled: 1-line block ×3, first 2 shown]
	v_dual_mov_b32 v40, v7 :: v_dual_add_nc_u32 v5, 0x1080, v4
	v_add_nc_u32_e32 v18, 24, v11
	v_add_nc_u32_e32 v6, 0x2100, v4
	;; [unrolled: 1-line block ×3, first 2 shown]
	s_waitcnt vmcnt(3)
	ds_store_2addr_b64 v4, v[20:21], v[22:23] offset1:1
	s_waitcnt vmcnt(2)
	ds_store_2addr_b64 v5, v[24:25], v[26:27] offset1:1
	;; [unrolled: 2-line block ×4, first 2 shown]
.LBB16_122:
	v_lshlrev_b32_e32 v8, 4, v11
	s_waitcnt lgkmcnt(0)
	s_barrier
	buffer_gl0_inv
	ds_load_b128 v[4:7], v44
	ds_load_b128 v[8:11], v8 offset:18176
	v_add_lshl_u32 v20, v19, v14, 4
	v_lshlrev_b32_e32 v23, 4, v19
	ds_load_b128 v[19:22], v20
	ds_load_b128 v[23:26], v23 offset:18176
	s_waitcnt lgkmcnt(2)
	v_mul_f64 v[12:13], v[6:7], v[10:11]
	v_mul_f64 v[6:7], v[6:7], v[8:9]
	s_waitcnt lgkmcnt(0)
	v_mul_f64 v[27:28], v[21:22], v[25:26]
	v_mul_f64 v[21:22], v[21:22], v[23:24]
	s_delay_alu instid0(VALU_DEP_4) | instskip(NEXT) | instid1(VALU_DEP_4)
	v_fma_f64 v[12:13], v[4:5], v[8:9], v[12:13]
	v_fma_f64 v[29:30], v[4:5], v[10:11], -v[6:7]
	v_add_lshl_u32 v4, v16, v14, 4
	v_lshlrev_b32_e32 v8, 4, v16
	v_add_lshl_u32 v14, v18, v14, 4
	ds_load_b128 v[4:7], v4
	ds_load_b128 v[8:11], v8 offset:18176
	v_fma_f64 v[27:28], v[19:20], v[23:24], v[27:28]
	v_fma_f64 v[33:34], v[19:20], v[25:26], -v[21:22]
	v_lshlrev_b32_e32 v16, 4, v18
	ds_load_b128 v[18:21], v14
	ds_load_b128 v[22:25], v16 offset:18176
	s_waitcnt lgkmcnt(2)
	v_mul_f64 v[31:32], v[6:7], v[10:11]
	v_mul_f64 v[6:7], v[6:7], v[8:9]
	s_waitcnt lgkmcnt(0)
	v_mul_f64 v[46:47], v[20:21], v[24:25]
	v_mul_f64 v[20:21], v[20:21], v[22:23]
	v_add_f64 v[12:13], v[12:13], 0
	v_add_f64 v[29:30], v[29:30], 0
	v_fma_f64 v[8:9], v[4:5], v[8:9], v[31:32]
	v_fma_f64 v[4:5], v[4:5], v[10:11], -v[6:7]
	s_delay_alu instid0(VALU_DEP_4) | instskip(NEXT) | instid1(VALU_DEP_4)
	v_add_f64 v[6:7], v[12:13], v[27:28]
	v_add_f64 v[10:11], v[29:30], v[33:34]
	v_fma_f64 v[12:13], v[18:19], v[22:23], v[46:47]
	v_fma_f64 v[18:19], v[18:19], v[24:25], -v[20:21]
	s_delay_alu instid0(VALU_DEP_4) | instskip(NEXT) | instid1(VALU_DEP_4)
	v_add_f64 v[6:7], v[6:7], v[8:9]
	v_add_f64 v[4:5], v[10:11], v[4:5]
	s_delay_alu instid0(VALU_DEP_2) | instskip(NEXT) | instid1(VALU_DEP_2)
	v_add_f64 v[46:47], v[6:7], v[12:13]
	v_add_f64 v[48:49], v[4:5], v[18:19]
	ds_load_b128 v[20:23], v17 offset:528
	ds_load_b128 v[8:11], v17 offset:544
	;; [unrolled: 1-line block ×3, first 2 shown]
	ds_load_b128 v[32:35], v15
	ds_load_b128 v[4:7], v17 offset:560
	ds_load_b128 v[24:27], v45
	ds_load_b128 v[16:19], v45 offset:528
	ds_load_b128 v[12:15], v45 offset:1056
	s_waitcnt lgkmcnt(0)
	s_barrier
	buffer_gl0_inv
	ds_store_b128 v44, v[46:49]
	s_waitcnt lgkmcnt(0)
	s_barrier
	buffer_gl0_inv
	s_and_saveexec_b32 s3, s2
	s_cbranch_execz .LBB16_124
; %bb.123:
	ds_load_b128 v[45:48], v43
	ds_load_b128 v[49:52], v43 offset:16
	s_waitcnt lgkmcnt(1)
	v_add_f64 v[0:1], v[0:1], v[45:46]
	v_add_f64 v[2:3], v[2:3], v[47:48]
	s_waitcnt lgkmcnt(0)
	s_delay_alu instid0(VALU_DEP_2) | instskip(NEXT) | instid1(VALU_DEP_2)
	v_add_f64 v[49:50], v[0:1], v[49:50]
	v_add_f64 v[51:52], v[2:3], v[51:52]
	ds_load_b128 v[0:3], v43 offset:32
	ds_load_b128 v[45:48], v43 offset:48
	s_waitcnt lgkmcnt(1)
	v_add_f64 v[0:1], v[49:50], v[0:1]
	v_add_f64 v[2:3], v[51:52], v[2:3]
	s_waitcnt lgkmcnt(0)
	s_delay_alu instid0(VALU_DEP_2) | instskip(NEXT) | instid1(VALU_DEP_2)
	v_add_f64 v[49:50], v[0:1], v[45:46]
	v_add_f64 v[51:52], v[2:3], v[47:48]
	ds_load_b128 v[0:3], v43 offset:64
	;; [unrolled: 9-line block ×3, first 2 shown]
	ds_load_b128 v[45:48], v43 offset:112
	s_waitcnt lgkmcnt(1)
	v_add_f64 v[0:1], v[49:50], v[0:1]
	v_add_f64 v[2:3], v[51:52], v[2:3]
	s_waitcnt lgkmcnt(0)
	s_delay_alu instid0(VALU_DEP_2) | instskip(NEXT) | instid1(VALU_DEP_2)
	v_add_f64 v[0:1], v[0:1], v[45:46]
	v_add_f64 v[2:3], v[2:3], v[47:48]
.LBB16_124:
	s_or_b32 exec_lo, exec_lo, s3
	v_mul_f64 v[45:46], v[30:31], v[34:35]
	v_mul_f64 v[34:35], v[28:29], v[34:35]
	;; [unrolled: 1-line block ×4, first 2 shown]
	s_barrier
	buffer_gl0_inv
	v_fma_f64 v[28:29], v[28:29], v[32:33], -v[45:46]
	v_fma_f64 v[30:31], v[30:31], v[32:33], v[34:35]
	v_mul_f64 v[32:33], v[10:11], v[18:19]
	v_mul_f64 v[18:19], v[8:9], v[18:19]
	v_fma_f64 v[20:21], v[20:21], v[24:25], -v[47:48]
	v_fma_f64 v[22:23], v[22:23], v[24:25], v[26:27]
	v_add_f64 v[24:25], v[28:29], 0
	v_add_f64 v[26:27], v[30:31], 0
	v_mul_f64 v[28:29], v[6:7], v[14:15]
	v_mul_f64 v[14:15], v[4:5], v[14:15]
	v_fma_f64 v[8:9], v[8:9], v[16:17], -v[32:33]
	v_fma_f64 v[10:11], v[10:11], v[16:17], v[18:19]
	v_add_f64 v[16:17], v[24:25], v[20:21]
	v_add_f64 v[18:19], v[26:27], v[22:23]
	v_fma_f64 v[4:5], v[4:5], v[12:13], -v[28:29]
	v_fma_f64 v[6:7], v[6:7], v[12:13], v[14:15]
	s_delay_alu instid0(VALU_DEP_4) | instskip(NEXT) | instid1(VALU_DEP_4)
	v_add_f64 v[8:9], v[16:17], v[8:9]
	v_add_f64 v[10:11], v[18:19], v[10:11]
	s_delay_alu instid0(VALU_DEP_2) | instskip(NEXT) | instid1(VALU_DEP_2)
	v_add_f64 v[4:5], v[8:9], v[4:5]
	v_add_f64 v[6:7], v[10:11], v[6:7]
	ds_store_b128 v44, v[4:7]
	s_waitcnt lgkmcnt(0)
	s_barrier
	buffer_gl0_inv
	s_and_saveexec_b32 s2, s1
	s_cbranch_execz .LBB16_126
; %bb.125:
	ds_load_b128 v[4:7], v43
	ds_load_b128 v[8:11], v43 offset:16
	s_waitcnt lgkmcnt(1)
	v_add_f64 v[0:1], v[0:1], v[4:5]
	v_add_f64 v[2:3], v[2:3], v[6:7]
	s_waitcnt lgkmcnt(0)
	s_delay_alu instid0(VALU_DEP_2) | instskip(NEXT) | instid1(VALU_DEP_2)
	v_add_f64 v[8:9], v[0:1], v[8:9]
	v_add_f64 v[10:11], v[2:3], v[10:11]
	ds_load_b128 v[0:3], v43 offset:32
	ds_load_b128 v[4:7], v43 offset:48
	s_waitcnt lgkmcnt(1)
	v_add_f64 v[0:1], v[8:9], v[0:1]
	v_add_f64 v[2:3], v[10:11], v[2:3]
	s_waitcnt lgkmcnt(0)
	s_delay_alu instid0(VALU_DEP_2) | instskip(NEXT) | instid1(VALU_DEP_2)
	v_add_f64 v[8:9], v[0:1], v[4:5]
	v_add_f64 v[10:11], v[2:3], v[6:7]
	ds_load_b128 v[0:3], v43 offset:64
	;; [unrolled: 9-line block ×3, first 2 shown]
	ds_load_b128 v[4:7], v43 offset:112
	s_waitcnt lgkmcnt(1)
	v_add_f64 v[0:1], v[8:9], v[0:1]
	v_add_f64 v[2:3], v[10:11], v[2:3]
	s_waitcnt lgkmcnt(0)
	s_delay_alu instid0(VALU_DEP_2) | instskip(NEXT) | instid1(VALU_DEP_2)
	v_add_f64 v[0:1], v[0:1], v[4:5]
	v_add_f64 v[2:3], v[2:3], v[6:7]
.LBB16_126:
	s_or_b32 exec_lo, exec_lo, s2
	s_mul_hi_u32 s1, s33, s15
	s_mul_i32 s28, s28, s15
	s_mul_i32 s2, s33, s15
	s_add_i32 s1, s1, s28
	s_mul_hi_u32 s3, s2, s7
	s_mul_i32 s1, s1, s7
	s_mul_i32 s2, s2, s7
	s_add_i32 s3, s3, s1
	s_mul_hi_i32 s5, s33, s14
	s_lshl_b64 s[2:3], s[2:3], 4
	s_mul_i32 s4, s33, s14
	s_add_u32 s1, s12, s2
	s_addc_u32 s9, s13, s3
	s_lshl_b64 s[2:3], s[4:5], 4
	v_lshlrev_b32_e32 v185, 4, v183
	s_add_u32 s6, s1, s2
	s_addc_u32 s9, s9, s3
	s_add_i32 s1, s14, 1
	s_delay_alu instid0(SALU_CYCLE_1)
	s_cmp_ge_u32 s1, s7
	s_barrier
	buffer_gl0_inv
	s_cbranch_scc1 .LBB16_184
; %bb.127:
	scratch_load_b32 v7, off, off offset:4  ; 4-byte Folded Reload
	v_and_b32_e32 v9, 48, v183
	v_lshrrev_b32_e32 v11, 4, v42
	v_and_b32_e32 v10, 15, v183
	v_or_b32_e32 v5, 0xf0, v185
	s_mul_i32 s1, s10, s37
	v_lshlrev_b32_e32 v4, 4, v9
	v_lshlrev_b32_e32 v6, 6, v11
	s_mul_hi_u32 s2, s10, s36
	s_mul_i32 s3, s11, s36
	s_add_i32 s1, s2, s1
	v_mad_u32_u24 v191, 0x430, v10, v4
	v_mad_u32_u24 v4, 0x430, v10, v5
	;; [unrolled: 1-line block ×3, first 2 shown]
	s_add_i32 s3, s1, s3
	s_mul_i32 s2, s10, s36
	v_mul_i32_i24_e32 v16, 0xffffffd0, v11
	scratch_store_b32 off, v4, off          ; 4-byte Folded Spill
	s_lshl_b64 s[2:3], s[2:3], 4
	v_cmp_gt_u32_e64 s1, 64, v42
	v_sub_co_u32 v187, vcc_lo, v38, s2
	v_subrev_co_ci_u32_e32 v188, vcc_lo, s3, v39, vcc_lo
	v_add_nc_u32_e32 v244, v193, v16
	s_add_i32 s11, s7, -2
	s_add_i32 s10, s10, 64
	s_lshl_b64 s[4:5], s[24:25], 10
	s_waitcnt vmcnt(0)
	v_lshlrev_b32_e32 v15, 6, v7
	v_lshlrev_b32_e32 v186, 2, v7
	v_mad_u32_u24 v198, 0x10c0, v7, v185
	s_delay_alu instid0(VALU_DEP_3) | instskip(NEXT) | instid1(VALU_DEP_1)
	v_add_nc_u32_e32 v8, 0x200, v15
	v_mad_u64_u32 v[5:6], null, s24, v8, 0
	s_delay_alu instid0(VALU_DEP_1) | instskip(SKIP_1) | instid1(VALU_DEP_3)
	v_mov_b32_e32 v4, v6
	v_or_b32_e32 v211, v9, v10
	v_sub_co_u32 v10, vcc_lo, v5, v36
	s_delay_alu instid0(VALU_DEP_3)
	v_mad_u64_u32 v[6:7], null, s25, v8, v[4:5]
	v_mov_b32_e32 v4, 0
	v_add_nc_u32_e32 v12, 0x530, v15
	v_add_nc_u32_e32 v13, 0x220, v15
	;; [unrolled: 1-line block ×5, first 2 shown]
	v_mad_u64_u32 v[7:8], null, s24, v12, 0
	v_mov_b32_e32 v9, v6
	v_add_nc_u32_e32 v197, 0x4300, v15
	v_add_nc_u32_e32 v20, 0x330, v15
	v_or_b32_e32 v189, 1, v186
	v_or_b32_e32 v192, 2, v186
	v_sub_co_ci_u32_e32 v11, vcc_lo, v9, v37, vcc_lo
	v_mov_b32_e32 v6, v8
	v_or_b32_e32 v196, 3, v186
	s_delay_alu instid0(VALU_DEP_2) | instskip(SKIP_3) | instid1(VALU_DEP_3)
	v_mad_u64_u32 v[8:9], null, s25, v12, v[6:7]
	v_add_co_u32 v9, vcc_lo, v40, v10
	v_add_co_ci_u32_e32 v10, vcc_lo, v41, v11, vcc_lo
	v_mad_u64_u32 v[5:6], null, s24, v13, 0
	v_add_co_u32 v212, vcc_lo, v9, 8
	s_delay_alu instid0(VALU_DEP_3) | instskip(SKIP_3) | instid1(VALU_DEP_3)
	v_add_co_ci_u32_e32 v213, vcc_lo, 0, v10, vcc_lo
	v_dual_mov_b32 v10, v8 :: v_dual_add_nc_u32 v253, 16, v186
	v_mad_u64_u32 v[8:9], null, s24, v17, 0
	v_sub_co_u32 v7, vcc_lo, v7, v36
	v_sub_co_ci_u32_e32 v14, vcc_lo, v10, v37, vcc_lo
	v_add_nc_u32_e32 v255, 18, v186
	s_delay_alu instid0(VALU_DEP_3) | instskip(SKIP_4) | instid1(VALU_DEP_4)
	v_mad_u64_u32 v[10:11], null, s25, v13, v[6:7]
	v_mov_b32_e32 v6, v9
	v_mad_u64_u32 v[11:12], null, s24, v18, 0
	v_add_co_u32 v214, vcc_lo, v40, v7
	v_add_co_ci_u32_e32 v215, vcc_lo, v41, v14, vcc_lo
	v_mad_u64_u32 v[13:14], null, s25, v17, v[6:7]
	v_mov_b32_e32 v7, v10
	v_dual_mov_b32 v6, v12 :: v_dual_add_nc_u32 v203, 32, v186
	v_sub_co_u32 v12, vcc_lo, v5, v36
	s_delay_alu instid0(VALU_DEP_3) | instskip(SKIP_1) | instid1(VALU_DEP_3)
	v_sub_co_ci_u32_e32 v7, vcc_lo, v7, v37, vcc_lo
	v_add_nc_u32_e32 v14, 0x510, v15
	v_add_co_u32 v216, vcc_lo, v40, v12
	s_delay_alu instid0(VALU_DEP_3) | instskip(NEXT) | instid1(VALU_DEP_3)
	v_mad_u64_u32 v[9:10], null, s25, v18, v[6:7]
	v_mad_u64_u32 v[5:6], null, s24, v14, 0
	v_add_co_ci_u32_e32 v217, vcc_lo, v41, v7, vcc_lo
	v_sub_co_u32 v10, vcc_lo, v8, v36
	s_delay_alu instid0(VALU_DEP_4) | instskip(SKIP_3) | instid1(VALU_DEP_4)
	v_mov_b32_e32 v7, v9
	v_sub_co_ci_u32_e32 v12, vcc_lo, v13, v37, vcc_lo
	v_add_nc_u32_e32 v13, 0x230, v15
	v_sub_co_u32 v11, vcc_lo, v11, v36
	v_sub_co_ci_u32_e32 v17, vcc_lo, v7, v37, vcc_lo
	v_mad_u64_u32 v[7:8], null, s25, v14, v[6:7]
	s_delay_alu instid0(VALU_DEP_4)
	v_mad_u64_u32 v[8:9], null, s24, v13, 0
	v_add_co_u32 v218, vcc_lo, v40, v10
	v_add_co_ci_u32_e32 v219, vcc_lo, v41, v12, vcc_lo
	v_add_co_u32 v12, vcc_lo, v40, v11
	v_add_co_ci_u32_e32 v14, vcc_lo, v41, v17, vcc_lo
	v_sub_co_u32 v17, vcc_lo, v5, v36
	v_dual_mov_b32 v6, v9 :: v_dual_add_nc_u32 v205, 34, v186
	v_sub_co_ci_u32_e32 v7, vcc_lo, v7, v37, vcc_lo
	v_add_nc_u32_e32 v18, 0x500, v15
	v_add_co_u32 v220, vcc_lo, v12, 8
	s_delay_alu instid0(VALU_DEP_3) | instskip(SKIP_1) | instid1(VALU_DEP_4)
	v_mad_u64_u32 v[9:10], null, s25, v13, v[6:7]
	v_mad_u64_u32 v[10:11], null, s24, v19, 0
	;; [unrolled: 1-line block ×3, first 2 shown]
	v_add_co_ci_u32_e32 v221, vcc_lo, 0, v14, vcc_lo
	v_add_co_u32 v222, vcc_lo, v40, v17
	v_add_nc_u32_e32 v190, 0x4700, v185
	v_add_co_ci_u32_e32 v223, vcc_lo, v41, v7, vcc_lo
	v_mov_b32_e32 v7, v11
	v_sub_co_u32 v13, vcc_lo, v8, v36
	v_sub_co_ci_u32_e32 v14, vcc_lo, v9, v37, vcc_lo
	s_delay_alu instid0(VALU_DEP_3) | instskip(NEXT) | instid1(VALU_DEP_3)
	v_mad_u64_u32 v[8:9], null, s25, v18, v[6:7]
	v_add_co_u32 v6, vcc_lo, v40, v13
	v_add_nc_u32_e32 v9, 0x430, v15
	v_add_nc_u32_e32 v17, 0x320, v15
	s_delay_alu instid0(VALU_DEP_4) | instskip(SKIP_2) | instid1(VALU_DEP_2)
	v_mad_u64_u32 v[11:12], null, s25, v19, v[7:8]
	v_add_co_ci_u32_e32 v7, vcc_lo, v41, v14, vcc_lo
	v_add_co_u32 v224, vcc_lo, v6, 8
	v_add_co_ci_u32_e32 v225, vcc_lo, 0, v7, vcc_lo
	v_mad_u64_u32 v[6:7], null, s24, v9, 0
	v_sub_co_u32 v12, vcc_lo, v5, v36
	v_sub_co_ci_u32_e32 v13, vcc_lo, v8, v37, vcc_lo
	v_sub_co_u32 v8, vcc_lo, v10, v36
	v_sub_co_ci_u32_e32 v10, vcc_lo, v11, v37, vcc_lo
	v_mov_b32_e32 v5, v7
	s_delay_alu instid0(VALU_DEP_3) | instskip(SKIP_1) | instid1(VALU_DEP_4)
	v_add_co_u32 v14, vcc_lo, v40, v8
	v_add_nc_u32_e32 v11, 0x310, v15
	v_add_co_ci_u32_e32 v10, vcc_lo, v41, v10, vcc_lo
	s_delay_alu instid0(VALU_DEP_4)
	v_mad_u64_u32 v[7:8], null, s25, v9, v[5:6]
	v_add_co_u32 v226, vcc_lo, v40, v12
	v_add_co_ci_u32_e32 v227, vcc_lo, v41, v13, vcc_lo
	v_mad_u64_u32 v[8:9], null, s24, v11, 0
	v_add_co_u32 v228, vcc_lo, v14, 8
	v_add_nc_u32_e32 v14, 0x420, v15
	v_add_co_ci_u32_e32 v229, vcc_lo, 0, v10, vcc_lo
	v_sub_co_u32 v12, vcc_lo, v6, v36
	v_sub_co_ci_u32_e32 v13, vcc_lo, v7, v37, vcc_lo
	s_delay_alu instid0(VALU_DEP_4) | instskip(SKIP_1) | instid1(VALU_DEP_4)
	v_mad_u64_u32 v[6:7], null, s24, v14, 0
	v_dual_mov_b32 v5, v9 :: v_dual_add_nc_u32 v254, 17, v186
	v_add_co_u32 v230, vcc_lo, v40, v12
	s_delay_alu instid0(VALU_DEP_4) | instskip(NEXT) | instid1(VALU_DEP_3)
	v_add_co_ci_u32_e32 v231, vcc_lo, v41, v13, vcc_lo
	v_mad_u64_u32 v[9:10], null, s25, v11, v[5:6]
	v_mov_b32_e32 v5, v7
	v_mad_u64_u32 v[10:11], null, s24, v17, 0
	v_add_nc_u32_e32 v184, 19, v186
	v_sub_co_u32 v8, vcc_lo, v8, v36
	v_dual_mov_b32 v7, v9 :: v_dual_add_nc_u32 v204, 33, v186
	v_mad_u64_u32 v[12:13], null, s25, v14, v[5:6]
	v_mov_b32_e32 v5, v11
	s_delay_alu instid0(VALU_DEP_3) | instskip(SKIP_2) | instid1(VALU_DEP_3)
	v_sub_co_ci_u32_e32 v7, vcc_lo, v7, v37, vcc_lo
	v_add_nc_u32_e32 v14, 0x410, v15
	v_add_co_u32 v11, vcc_lo, v40, v8
	v_add_co_ci_u32_e32 v13, vcc_lo, v41, v7, vcc_lo
	v_mad_u64_u32 v[7:8], null, s25, v17, v[5:6]
	s_delay_alu instid0(VALU_DEP_4) | instskip(NEXT) | instid1(VALU_DEP_4)
	v_mad_u64_u32 v[8:9], null, s24, v14, 0
	v_add_co_u32 v232, vcc_lo, v11, 8
	s_delay_alu instid0(VALU_DEP_4)
	v_add_co_ci_u32_e32 v233, vcc_lo, 0, v13, vcc_lo
	v_add_nc_u32_e32 v206, 35, v186
	v_add_nc_u32_e32 v207, 48, v186
	v_sub_co_u32 v13, vcc_lo, v6, v36
	v_dual_mov_b32 v6, v7 :: v_dual_mov_b32 v5, v9
	v_add_nc_u32_e32 v15, 0x400, v15
	v_sub_co_ci_u32_e32 v17, vcc_lo, v12, v37, vcc_lo
	v_sub_co_u32 v18, vcc_lo, v10, v36
	s_delay_alu instid0(VALU_DEP_4)
	v_sub_co_ci_u32_e32 v19, vcc_lo, v6, v37, vcc_lo
	v_mad_u64_u32 v[6:7], null, s25, v14, v[5:6]
	v_mad_u64_u32 v[9:10], null, s24, v20, 0
	;; [unrolled: 1-line block ×3, first 2 shown]
	v_add_co_u32 v234, vcc_lo, v40, v13
	v_add_co_ci_u32_e32 v235, vcc_lo, v41, v17, vcc_lo
	s_delay_alu instid0(VALU_DEP_4)
	v_dual_mov_b32 v5, v10 :: v_dual_add_nc_u32 v208, 49, v186
	v_add_nc_u32_e32 v209, 50, v186
	v_add_co_u32 v14, vcc_lo, v40, v18
	v_dual_mov_b32 v7, v6 :: v_dual_mov_b32 v6, v12
	v_add_co_ci_u32_e32 v17, vcc_lo, v41, v19, vcc_lo
	v_sub_co_u32 v10, vcc_lo, v8, v36
	s_delay_alu instid0(VALU_DEP_3) | instskip(NEXT) | instid1(VALU_DEP_4)
	v_sub_co_ci_u32_e32 v18, vcc_lo, v7, v37, vcc_lo
	v_mad_u64_u32 v[7:8], null, s25, v20, v[5:6]
	v_add_co_u32 v236, vcc_lo, v14, 8
	v_add_co_ci_u32_e32 v237, vcc_lo, 0, v17, vcc_lo
	v_add_nc_u32_e32 v210, 51, v186
	v_add_co_u32 v238, vcc_lo, v40, v10
	v_mov_b32_e32 v5, v7
	v_mad_u64_u32 v[12:13], null, s25, v15, v[6:7]
	v_add_co_ci_u32_e32 v239, vcc_lo, v41, v18, vcc_lo
	v_sub_co_u32 v7, vcc_lo, v9, v36
	s_delay_alu instid0(VALU_DEP_4) | instskip(NEXT) | instid1(VALU_DEP_4)
	v_sub_co_ci_u32_e32 v5, vcc_lo, v5, v37, vcc_lo
	v_mov_b32_e32 v6, v12
	v_sub_co_u32 v8, vcc_lo, v11, v36
	s_delay_alu instid0(VALU_DEP_2) | instskip(SKIP_2) | instid1(VALU_DEP_4)
	v_sub_co_ci_u32_e32 v6, vcc_lo, v6, v37, vcc_lo
	v_add_co_u32 v7, vcc_lo, v40, v7
	v_add_co_ci_u32_e32 v5, vcc_lo, v41, v5, vcc_lo
	v_add_co_u32 v8, vcc_lo, v40, v8
	s_delay_alu instid0(VALU_DEP_4) | instskip(NEXT) | instid1(VALU_DEP_4)
	v_add_co_ci_u32_e32 v6, vcc_lo, v41, v6, vcc_lo
	v_add_co_u32 v240, vcc_lo, v7, 8
	s_delay_alu instid0(VALU_DEP_4) | instskip(NEXT) | instid1(VALU_DEP_4)
	v_add_co_ci_u32_e32 v241, vcc_lo, 0, v5, vcc_lo
	v_add_co_u32 v242, vcc_lo, v8, 8
	s_delay_alu instid0(VALU_DEP_4)
	v_add_co_ci_u32_e32 v243, vcc_lo, 0, v6, vcc_lo
	s_cmp_eq_u32 s11, s14
	s_cselect_b32 s12, s18, 0
	s_and_saveexec_b32 s2, s0
	s_cbranch_execz .LBB16_132
.LBB16_128:
	v_cmp_le_i32_e32 vcc_lo, s12, v183
	s_cmp_lg_u32 s12, 0
	s_cselect_b32 s3, -1, 0
	s_delay_alu instid0(SALU_CYCLE_1) | instskip(NEXT) | instid1(SALU_CYCLE_1)
	s_and_b32 s3, s3, vcc_lo
	s_and_saveexec_b32 s13, s3
	s_delay_alu instid0(SALU_CYCLE_1)
	s_xor_b32 s3, exec_lo, s13
	s_cbranch_execz .LBB16_130
; %bb.129:
	v_dual_mov_b32 v5, v4 :: v_dual_add_nc_u32 v8, 0x4300, v185
	v_mov_b32_e32 v6, v4
	v_mov_b32_e32 v7, v4
	ds_store_b128 v8, v[4:7]
.LBB16_130:
	s_and_not1_saveexec_b32 s3, s3
	s_cbranch_execz .LBB16_132
; %bb.131:
	s_mul_i32 s3, s10, s37
	s_mul_hi_u32 s13, s10, s36
	s_ashr_i32 s15, s10, 31
	s_add_i32 s3, s13, s3
	s_mul_i32 s15, s15, s36
	s_mul_i32 s16, s10, s36
	s_add_i32 s17, s3, s15
	v_add_nc_u32_e32 v9, 0x4300, v185
	s_lshl_b64 s[16:17], s[16:17], 4
	s_delay_alu instid0(SALU_CYCLE_1)
	v_add_co_u32 v5, vcc_lo, v187, s16
	v_add_co_ci_u32_e32 v6, vcc_lo, s17, v188, vcc_lo
	global_load_b128 v[5:8], v[5:6], off
	s_waitcnt vmcnt(0)
	ds_store_2addr_b64 v9, v[5:6], v[7:8] offset1:1
.LBB16_132:                             ; =>This Inner Loop Header: Depth=1
	s_or_b32 exec_lo, exec_lo, s2
	s_cmp_eq_u32 s12, 0
	v_add_co_u32 v17, vcc_lo, v212, v185
	s_cselect_b32 s13, -1, 0
	s_cmp_lg_u32 s12, 0
	v_add_co_ci_u32_e32 v18, vcc_lo, 0, v213, vcc_lo
	s_cselect_b32 s15, -1, 0
	s_waitcnt lgkmcnt(0)
	s_waitcnt_vscnt null, 0x0
	s_and_b32 vcc_lo, exec_lo, s15
	s_barrier
	buffer_gl0_inv
	s_cbranch_vccz .LBB16_140
; %bb.133:                              ;   in Loop: Header=BB16_132 Depth=1
	v_mov_b32_e32 v5, 0
	v_mov_b32_e32 v6, 0
	s_mov_b32 s2, exec_lo
	s_delay_alu instid0(VALU_DEP_1)
	v_dual_mov_b32 v10, v6 :: v_dual_mov_b32 v9, v5
	v_dual_mov_b32 v12, v6 :: v_dual_mov_b32 v11, v5
	v_cmpx_gt_i32_e64 s12, v186
	s_cbranch_execz .LBB16_135
; %bb.134:                              ;   in Loop: Header=BB16_132 Depth=1
	global_load_b128 v[9:12], v[17:18], off offset:-8
.LBB16_135:                             ;   in Loop: Header=BB16_132 Depth=1
	s_or_b32 exec_lo, exec_lo, s2
	v_dual_mov_b32 v8, v6 :: v_dual_mov_b32 v7, v5
	s_mov_b32 s2, exec_lo
	v_cmpx_gt_i32_e64 s12, v189
	s_cbranch_execz .LBB16_137
; %bb.136:                              ;   in Loop: Header=BB16_132 Depth=1
	v_add_co_u32 v5, vcc_lo, v220, v185
	v_add_co_ci_u32_e32 v6, vcc_lo, 0, v221, vcc_lo
	global_load_b128 v[5:8], v[5:6], off offset:-8
.LBB16_137:                             ;   in Loop: Header=BB16_132 Depth=1
	s_or_b32 exec_lo, exec_lo, s2
	v_mov_b32_e32 v13, 0
	v_mov_b32_e32 v14, 0
	s_mov_b64 s[2:3], 0
	s_mov_b32 s16, exec_lo
	s_delay_alu instid0(VALU_DEP_1)
	v_dual_mov_b32 v16, v14 :: v_dual_mov_b32 v15, v13
	v_cmpx_gt_i32_e64 s12, v192
	s_cbranch_execz .LBB16_139
; %bb.138:                              ;   in Loop: Header=BB16_132 Depth=1
	v_add_co_u32 v13, vcc_lo, v216, v185
	v_add_co_ci_u32_e32 v14, vcc_lo, 0, v217, vcc_lo
	global_load_b128 v[13:16], v[13:14], off
.LBB16_139:                             ;   in Loop: Header=BB16_132 Depth=1
	s_or_b32 exec_lo, exec_lo, s16
	v_cmp_gt_i32_e64 s16, s12, v196
	s_branch .LBB16_142
.LBB16_140:                             ;   in Loop: Header=BB16_132 Depth=1
	s_mov_b32 s16, 0
                                        ; implicit-def: $sgpr2_sgpr3
                                        ; implicit-def: $vgpr15_vgpr16
                                        ; implicit-def: $vgpr7_vgpr8
                                        ; implicit-def: $vgpr11_vgpr12
	s_cbranch_execz .LBB16_142
; %bb.141:                              ;   in Loop: Header=BB16_132 Depth=1
	s_waitcnt vmcnt(0)
	v_add_co_u32 v5, vcc_lo, v220, v185
	v_add_co_ci_u32_e32 v6, vcc_lo, 0, v221, vcc_lo
	v_add_co_u32 v13, vcc_lo, v216, v185
	v_add_co_ci_u32_e32 v14, vcc_lo, 0, v217, vcc_lo
	global_load_b128 v[9:12], v[17:18], off offset:-8
	global_load_b128 v[5:8], v[5:6], off offset:-8
	global_load_b128 v[13:16], v[13:14], off
	s_or_b32 s16, s16, exec_lo
                                        ; implicit-def: $sgpr2_sgpr3
.LBB16_142:                             ;   in Loop: Header=BB16_132 Depth=1
	v_dual_mov_b32 v18, s3 :: v_dual_mov_b32 v17, s2
	v_dual_mov_b32 v20, s3 :: v_dual_mov_b32 v19, s2
	s_delay_alu instid0(VALU_DEP_3)
	s_and_saveexec_b32 s2, s16
	s_cbranch_execz .LBB16_144
; %bb.143:                              ;   in Loop: Header=BB16_132 Depth=1
	v_add_co_u32 v17, vcc_lo, v224, v185
	v_add_co_ci_u32_e32 v18, vcc_lo, 0, v225, vcc_lo
	global_load_b128 v[17:20], v[17:18], off offset:-8
.LBB16_144:                             ;   in Loop: Header=BB16_132 Depth=1
	s_or_b32 exec_lo, exec_lo, s2
	ds_load_b128 v[25:28], v190
	ds_load_b128 v[21:24], v197
	v_add_co_u32 v49, vcc_lo, v228, v185
	v_cndmask_b32_e64 v117, 0, 1, s15
	v_add_co_ci_u32_e32 v50, vcc_lo, 0, v229, vcc_lo
	s_and_not1_b32 vcc_lo, exec_lo, s15
	s_waitcnt vmcnt(0) lgkmcnt(1)
	v_mul_f64 v[29:30], v[11:12], v[27:28]
	v_mul_f64 v[31:32], v[11:12], v[25:26]
	;; [unrolled: 1-line block ×8, first 2 shown]
	v_fma_f64 v[29:30], v[9:10], v[25:26], v[29:30]
	v_fma_f64 v[31:32], v[9:10], v[27:28], -v[31:32]
	v_fma_f64 v[37:38], v[5:6], v[25:26], v[33:34]
	v_fma_f64 v[39:40], v[5:6], v[27:28], -v[35:36]
	;; [unrolled: 2-line block ×4, first 2 shown]
	ds_store_b128 v198, v[29:32]
	ds_load_b128 v[33:36], v197 offset:16
	ds_store_b128 v198, v[37:40] offset:1072
	ds_load_b128 v[29:32], v197 offset:32
	ds_store_b128 v198, v[41:44] offset:2144
	;; [unrolled: 2-line block ×3, first 2 shown]
	s_waitcnt lgkmcnt(0)
	s_barrier
	buffer_gl0_inv
	ds_load_b128 v[93:96], v193
	ds_load_b128 v[89:92], v193 offset:16
	ds_load_b128 v[81:84], v193 offset:32
	;; [unrolled: 1-line block ×3, first 2 shown]
	s_waitcnt lgkmcnt(0)
	s_barrier
	buffer_gl0_inv
	s_cbranch_vccnz .LBB16_152
; %bb.145:                              ;   in Loop: Header=BB16_132 Depth=1
	v_mov_b32_e32 v37, 0
	v_mov_b32_e32 v38, 0
	s_mov_b32 s2, exec_lo
	s_delay_alu instid0(VALU_DEP_1)
	v_dual_mov_b32 v42, v38 :: v_dual_mov_b32 v41, v37
	v_dual_mov_b32 v44, v38 :: v_dual_mov_b32 v43, v37
	v_cmpx_gt_i32_e64 s12, v253
	s_cbranch_execz .LBB16_147
; %bb.146:                              ;   in Loop: Header=BB16_132 Depth=1
	global_load_b128 v[41:44], v[49:50], off offset:-8
.LBB16_147:                             ;   in Loop: Header=BB16_132 Depth=1
	s_or_b32 exec_lo, exec_lo, s2
	v_dual_mov_b32 v40, v38 :: v_dual_mov_b32 v39, v37
	s_mov_b32 s2, exec_lo
	v_cmpx_gt_i32_e64 s12, v254
	s_cbranch_execz .LBB16_149
; %bb.148:                              ;   in Loop: Header=BB16_132 Depth=1
	v_add_co_u32 v37, vcc_lo, v232, v185
	v_add_co_ci_u32_e32 v38, vcc_lo, 0, v233, vcc_lo
	global_load_b128 v[37:40], v[37:38], off offset:-8
.LBB16_149:                             ;   in Loop: Header=BB16_132 Depth=1
	s_or_b32 exec_lo, exec_lo, s2
	v_mov_b32_e32 v45, 0
	v_mov_b32_e32 v46, 0
	s_mov_b64 s[2:3], 0
	s_mov_b32 s15, exec_lo
	s_delay_alu instid0(VALU_DEP_1)
	v_dual_mov_b32 v48, v46 :: v_dual_mov_b32 v47, v45
	v_cmpx_gt_i32_e64 s12, v255
	s_cbranch_execz .LBB16_151
; %bb.150:                              ;   in Loop: Header=BB16_132 Depth=1
	v_add_co_u32 v45, vcc_lo, v236, v185
	v_add_co_ci_u32_e32 v46, vcc_lo, 0, v237, vcc_lo
	global_load_b128 v[45:48], v[45:46], off offset:-8
.LBB16_151:                             ;   in Loop: Header=BB16_132 Depth=1
	s_or_b32 exec_lo, exec_lo, s15
	v_cmp_gt_i32_e64 s15, s12, v184
	s_branch .LBB16_154
.LBB16_152:                             ;   in Loop: Header=BB16_132 Depth=1
	s_mov_b32 s15, 0
                                        ; implicit-def: $sgpr2_sgpr3
                                        ; implicit-def: $vgpr47_vgpr48
                                        ; implicit-def: $vgpr39_vgpr40
                                        ; implicit-def: $vgpr43_vgpr44
	s_cbranch_execz .LBB16_154
; %bb.153:                              ;   in Loop: Header=BB16_132 Depth=1
	s_waitcnt vmcnt(0)
	v_add_co_u32 v37, vcc_lo, v232, v185
	v_add_co_ci_u32_e32 v38, vcc_lo, 0, v233, vcc_lo
	v_add_co_u32 v45, vcc_lo, v236, v185
	v_add_co_ci_u32_e32 v46, vcc_lo, 0, v237, vcc_lo
	global_load_b128 v[41:44], v[49:50], off offset:-8
	global_load_b128 v[37:40], v[37:38], off offset:-8
	;; [unrolled: 1-line block ×3, first 2 shown]
	s_or_b32 s15, s15, exec_lo
                                        ; implicit-def: $sgpr2_sgpr3
.LBB16_154:                             ;   in Loop: Header=BB16_132 Depth=1
	v_dual_mov_b32 v50, s3 :: v_dual_mov_b32 v49, s2
	v_dual_mov_b32 v52, s3 :: v_dual_mov_b32 v51, s2
	s_delay_alu instid0(VALU_DEP_3)
	s_and_saveexec_b32 s2, s15
	s_cbranch_execz .LBB16_156
; %bb.155:                              ;   in Loop: Header=BB16_132 Depth=1
	v_add_co_u32 v49, vcc_lo, v240, v185
	v_add_co_ci_u32_e32 v50, vcc_lo, 0, v241, vcc_lo
	global_load_b128 v[49:52], v[49:50], off offset:-8
.LBB16_156:                             ;   in Loop: Header=BB16_132 Depth=1
	s_or_b32 exec_lo, exec_lo, s2
	ds_load_b128 v[57:60], v190
	ds_load_b128 v[53:56], v197 offset:256
	v_cmp_ne_u32_e32 vcc_lo, 1, v117
	v_add_co_u32 v97, s2, v242, v185
	s_delay_alu instid0(VALU_DEP_1)
	v_add_co_ci_u32_e64 v98, s2, 0, v243, s2
	s_and_b32 vcc_lo, exec_lo, vcc_lo
	s_waitcnt vmcnt(0) lgkmcnt(1)
	v_mul_f64 v[61:62], v[43:44], v[59:60]
	v_mul_f64 v[63:64], v[43:44], v[57:58]
	;; [unrolled: 1-line block ×8, first 2 shown]
	v_fma_f64 v[61:62], v[41:42], v[57:58], v[61:62]
	v_fma_f64 v[63:64], v[41:42], v[59:60], -v[63:64]
	v_fma_f64 v[69:70], v[37:38], v[57:58], v[65:66]
	v_fma_f64 v[71:72], v[37:38], v[59:60], -v[67:68]
	v_fma_f64 v[73:74], v[45:46], v[57:58], v[73:74]
	v_fma_f64 v[75:76], v[45:46], v[59:60], -v[75:76]
	v_fma_f64 v[85:86], v[49:50], v[57:58], v[85:86]
	v_fma_f64 v[87:88], v[49:50], v[59:60], -v[87:88]
	ds_store_b128 v198, v[61:64]
	ds_load_b128 v[65:68], v197 offset:272
	ds_store_b128 v198, v[69:72] offset:1072
	ds_load_b128 v[61:64], v197 offset:288
	ds_store_b128 v198, v[73:76] offset:2144
	;; [unrolled: 2-line block ×3, first 2 shown]
	s_waitcnt lgkmcnt(0)
	s_barrier
	buffer_gl0_inv
	ds_load_b128 v[141:144], v193
	ds_load_b128 v[137:140], v193 offset:16
	ds_load_b128 v[133:136], v193 offset:32
	;; [unrolled: 1-line block ×3, first 2 shown]
	s_waitcnt lgkmcnt(0)
	s_barrier
	buffer_gl0_inv
	s_cbranch_vccnz .LBB16_164
; %bb.157:                              ;   in Loop: Header=BB16_132 Depth=1
	v_mov_b32_e32 v69, 0
	v_mov_b32_e32 v70, 0
	s_mov_b32 s2, exec_lo
	s_delay_alu instid0(VALU_DEP_1)
	v_dual_mov_b32 v74, v70 :: v_dual_mov_b32 v73, v69
	v_dual_mov_b32 v76, v70 :: v_dual_mov_b32 v75, v69
	v_cmpx_gt_i32_e64 s12, v203
	s_cbranch_execz .LBB16_159
; %bb.158:                              ;   in Loop: Header=BB16_132 Depth=1
	global_load_b128 v[73:76], v[97:98], off offset:-8
.LBB16_159:                             ;   in Loop: Header=BB16_132 Depth=1
	s_or_b32 exec_lo, exec_lo, s2
	v_dual_mov_b32 v72, v70 :: v_dual_mov_b32 v71, v69
	s_mov_b32 s2, exec_lo
	v_cmpx_gt_i32_e64 s12, v204
	s_cbranch_execz .LBB16_161
; %bb.160:                              ;   in Loop: Header=BB16_132 Depth=1
	v_add_co_u32 v69, vcc_lo, v238, v185
	v_add_co_ci_u32_e32 v70, vcc_lo, 0, v239, vcc_lo
	global_load_b128 v[69:72], v[69:70], off
.LBB16_161:                             ;   in Loop: Header=BB16_132 Depth=1
	s_or_b32 exec_lo, exec_lo, s2
	v_mov_b32_e32 v85, 0
	v_mov_b32_e32 v86, 0
	s_mov_b64 s[2:3], 0
	s_mov_b32 s15, exec_lo
	s_delay_alu instid0(VALU_DEP_1)
	v_dual_mov_b32 v88, v86 :: v_dual_mov_b32 v87, v85
	v_cmpx_gt_i32_e64 s12, v205
	s_cbranch_execz .LBB16_163
; %bb.162:                              ;   in Loop: Header=BB16_132 Depth=1
	v_add_co_u32 v85, vcc_lo, v234, v185
	v_add_co_ci_u32_e32 v86, vcc_lo, 0, v235, vcc_lo
	global_load_b128 v[85:88], v[85:86], off
.LBB16_163:                             ;   in Loop: Header=BB16_132 Depth=1
	s_or_b32 exec_lo, exec_lo, s15
	v_cmp_gt_i32_e64 s15, s12, v206
	s_branch .LBB16_166
.LBB16_164:                             ;   in Loop: Header=BB16_132 Depth=1
	s_mov_b32 s15, 0
                                        ; implicit-def: $sgpr2_sgpr3
                                        ; implicit-def: $vgpr87_vgpr88
                                        ; implicit-def: $vgpr71_vgpr72
                                        ; implicit-def: $vgpr75_vgpr76
	s_cbranch_execz .LBB16_166
; %bb.165:                              ;   in Loop: Header=BB16_132 Depth=1
	s_waitcnt vmcnt(0)
	v_add_co_u32 v69, vcc_lo, v238, v185
	v_add_co_ci_u32_e32 v70, vcc_lo, 0, v239, vcc_lo
	v_add_co_u32 v85, vcc_lo, v234, v185
	v_add_co_ci_u32_e32 v86, vcc_lo, 0, v235, vcc_lo
	global_load_b128 v[73:76], v[97:98], off offset:-8
	global_load_b128 v[69:72], v[69:70], off
	global_load_b128 v[85:88], v[85:86], off
	s_or_b32 s15, s15, exec_lo
                                        ; implicit-def: $sgpr2_sgpr3
.LBB16_166:                             ;   in Loop: Header=BB16_132 Depth=1
	v_dual_mov_b32 v98, s3 :: v_dual_mov_b32 v97, s2
	v_dual_mov_b32 v100, s3 :: v_dual_mov_b32 v99, s2
	s_delay_alu instid0(VALU_DEP_3)
	s_and_saveexec_b32 s2, s15
	s_cbranch_execz .LBB16_168
; %bb.167:                              ;   in Loop: Header=BB16_132 Depth=1
	v_add_co_u32 v97, vcc_lo, v230, v185
	v_add_co_ci_u32_e32 v98, vcc_lo, 0, v231, vcc_lo
	global_load_b128 v[97:100], v[97:98], off
.LBB16_168:                             ;   in Loop: Header=BB16_132 Depth=1
	s_or_b32 exec_lo, exec_lo, s2
	ds_load_b128 v[105:108], v190
	ds_load_b128 v[101:104], v197 offset:512
	v_cmp_ne_u32_e32 vcc_lo, 1, v117
	s_and_b32 vcc_lo, exec_lo, vcc_lo
	s_waitcnt vmcnt(0) lgkmcnt(1)
	v_mul_f64 v[109:110], v[75:76], v[107:108]
	v_mul_f64 v[111:112], v[75:76], v[105:106]
	;; [unrolled: 1-line block ×8, first 2 shown]
	v_fma_f64 v[109:110], v[73:74], v[105:106], v[109:110]
	v_fma_f64 v[111:112], v[73:74], v[107:108], -v[111:112]
	v_fma_f64 v[118:119], v[69:70], v[105:106], v[113:114]
	v_fma_f64 v[120:121], v[69:70], v[107:108], -v[115:116]
	;; [unrolled: 2-line block ×4, first 2 shown]
	ds_store_b128 v198, v[109:112]
	ds_load_b128 v[113:116], v197 offset:528
	ds_store_b128 v198, v[118:121] offset:1072
	ds_load_b128 v[109:112], v197 offset:544
	ds_store_b128 v198, v[122:125] offset:2144
	;; [unrolled: 2-line block ×3, first 2 shown]
	s_waitcnt lgkmcnt(0)
	s_barrier
	buffer_gl0_inv
	ds_load_b128 v[177:180], v193
	ds_load_b128 v[173:176], v193 offset:16
	ds_load_b128 v[169:172], v193 offset:32
	ds_load_b128 v[165:168], v193 offset:48
	v_add_co_u32 v145, s2, v226, v185
	s_delay_alu instid0(VALU_DEP_1)
	v_add_co_ci_u32_e64 v146, s2, 0, v227, s2
	s_waitcnt lgkmcnt(0)
	s_barrier
	buffer_gl0_inv
	s_cbranch_vccnz .LBB16_176
; %bb.169:                              ;   in Loop: Header=BB16_132 Depth=1
	v_mov_b32_e32 v117, 0
	v_mov_b32_e32 v118, 0
	s_mov_b32 s2, exec_lo
	s_delay_alu instid0(VALU_DEP_1)
	v_dual_mov_b32 v122, v118 :: v_dual_mov_b32 v121, v117
	v_dual_mov_b32 v124, v118 :: v_dual_mov_b32 v123, v117
	v_cmpx_gt_i32_e64 s12, v207
	s_cbranch_execz .LBB16_171
; %bb.170:                              ;   in Loop: Header=BB16_132 Depth=1
	global_load_b128 v[121:124], v[145:146], off
.LBB16_171:                             ;   in Loop: Header=BB16_132 Depth=1
	s_or_b32 exec_lo, exec_lo, s2
	v_dual_mov_b32 v120, v118 :: v_dual_mov_b32 v119, v117
	s_mov_b32 s2, exec_lo
	v_cmpx_gt_i32_e64 s12, v208
	s_cbranch_execz .LBB16_173
; %bb.172:                              ;   in Loop: Header=BB16_132 Depth=1
	v_add_co_u32 v117, vcc_lo, v222, v185
	v_add_co_ci_u32_e32 v118, vcc_lo, 0, v223, vcc_lo
	global_load_b128 v[117:120], v[117:118], off
.LBB16_173:                             ;   in Loop: Header=BB16_132 Depth=1
	s_or_b32 exec_lo, exec_lo, s2
	v_mov_b32_e32 v125, 0
	v_mov_b32_e32 v126, 0
	s_mov_b64 s[2:3], 0
	s_mov_b32 s15, exec_lo
	s_delay_alu instid0(VALU_DEP_1)
	v_dual_mov_b32 v128, v126 :: v_dual_mov_b32 v127, v125
	v_cmpx_gt_i32_e64 s12, v209
	s_cbranch_execz .LBB16_175
; %bb.174:                              ;   in Loop: Header=BB16_132 Depth=1
	v_add_co_u32 v125, vcc_lo, v218, v185
	v_add_co_ci_u32_e32 v126, vcc_lo, 0, v219, vcc_lo
	global_load_b128 v[125:128], v[125:126], off
.LBB16_175:                             ;   in Loop: Header=BB16_132 Depth=1
	s_or_b32 exec_lo, exec_lo, s15
	v_cmp_gt_i32_e64 s15, s12, v210
	s_branch .LBB16_178
.LBB16_176:                             ;   in Loop: Header=BB16_132 Depth=1
	s_mov_b32 s15, 0
                                        ; implicit-def: $sgpr2_sgpr3
                                        ; implicit-def: $vgpr127_vgpr128
                                        ; implicit-def: $vgpr119_vgpr120
                                        ; implicit-def: $vgpr123_vgpr124
	s_cbranch_execz .LBB16_178
; %bb.177:                              ;   in Loop: Header=BB16_132 Depth=1
	s_waitcnt vmcnt(0)
	v_add_co_u32 v117, vcc_lo, v222, v185
	v_add_co_ci_u32_e32 v118, vcc_lo, 0, v223, vcc_lo
	v_add_co_u32 v125, vcc_lo, v218, v185
	v_add_co_ci_u32_e32 v126, vcc_lo, 0, v219, vcc_lo
	global_load_b128 v[121:124], v[145:146], off
	global_load_b128 v[117:120], v[117:118], off
	;; [unrolled: 1-line block ×3, first 2 shown]
	s_or_b32 s15, s15, exec_lo
                                        ; implicit-def: $sgpr2_sgpr3
.LBB16_178:                             ;   in Loop: Header=BB16_132 Depth=1
	v_dual_mov_b32 v146, s3 :: v_dual_mov_b32 v145, s2
	v_dual_mov_b32 v148, s3 :: v_dual_mov_b32 v147, s2
	s_delay_alu instid0(VALU_DEP_3)
	s_and_saveexec_b32 s2, s15
	s_cbranch_execz .LBB16_180
; %bb.179:                              ;   in Loop: Header=BB16_132 Depth=1
	v_add_co_u32 v145, vcc_lo, v214, v185
	v_add_co_ci_u32_e32 v146, vcc_lo, 0, v215, vcc_lo
	global_load_b128 v[145:148], v[145:146], off
.LBB16_180:                             ;   in Loop: Header=BB16_132 Depth=1
	s_or_b32 exec_lo, exec_lo, s2
	ds_load_b128 v[153:156], v190
	ds_load_b128 v[149:152], v197 offset:768
	v_add_f64 v[141:142], v[141:142], 0
	v_add_f64 v[143:144], v[143:144], 0
	;; [unrolled: 1-line block ×4, first 2 shown]
	v_cmp_gt_i32_e32 vcc_lo, s12, v183
	s_or_b32 s2, s13, vcc_lo
	s_delay_alu instid0(SALU_CYCLE_1)
	s_and_b32 s3, s1, s2
	s_waitcnt vmcnt(0) lgkmcnt(1)
	v_mul_f64 v[157:158], v[123:124], v[155:156]
	v_mul_f64 v[159:160], v[123:124], v[153:154]
	v_mul_f64 v[161:162], v[119:120], v[155:156]
	v_mul_f64 v[163:164], v[119:120], v[153:154]
	v_mul_f64 v[199:200], v[127:128], v[155:156]
	v_mul_f64 v[201:202], v[127:128], v[153:154]
	v_mul_f64 v[181:182], v[147:148], v[155:156]
	v_mul_f64 v[194:195], v[147:148], v[153:154]
	v_add_f64 v[137:138], v[141:142], v[137:138]
	v_add_f64 v[139:140], v[143:144], v[139:140]
	;; [unrolled: 1-line block ×4, first 2 shown]
	v_fma_f64 v[157:158], v[121:122], v[153:154], v[157:158]
	v_fma_f64 v[159:160], v[121:122], v[155:156], -v[159:160]
	v_fma_f64 v[245:246], v[117:118], v[153:154], v[161:162]
	v_fma_f64 v[247:248], v[117:118], v[155:156], -v[163:164]
	;; [unrolled: 2-line block ×4, first 2 shown]
	v_add_f64 v[181:182], v[93:94], 0
	v_add_f64 v[194:195], v[95:96], 0
	;; [unrolled: 1-line block ×6, first 2 shown]
	ds_store_b128 v198, v[157:160]
	ds_load_b128 v[161:164], v197 offset:784
	ds_store_b128 v198, v[245:248] offset:1072
	ds_load_b128 v[157:160], v197 offset:800
	ds_store_b128 v198, v[249:252] offset:2144
	;; [unrolled: 2-line block ×3, first 2 shown]
	s_waitcnt lgkmcnt(0)
	s_barrier
	buffer_gl0_inv
	ds_load_b128 v[199:202], v193
	ds_load_b128 v[93:96], v193 offset:16
	v_add_f64 v[141:142], v[181:182], v[89:90]
	v_add_f64 v[143:144], v[194:195], v[91:92]
	ds_load_b128 v[89:92], v193 offset:32
	s_waitcnt lgkmcnt(2)
	v_add_f64 v[199:200], v[199:200], 0
	v_add_f64 v[201:202], v[201:202], 0
	;; [unrolled: 1-line block ×4, first 2 shown]
	ds_load_b128 v[81:84], v193 offset:48
	s_waitcnt lgkmcnt(0)
	s_barrier
	buffer_gl0_inv
	v_add_f64 v[93:94], v[199:200], v[93:94]
	v_add_f64 v[95:96], v[201:202], v[95:96]
	;; [unrolled: 1-line block ×4, first 2 shown]
	s_delay_alu instid0(VALU_DEP_4) | instskip(NEXT) | instid1(VALU_DEP_4)
	v_add_f64 v[141:142], v[93:94], v[89:90]
	v_add_f64 v[143:144], v[95:96], v[91:92]
	v_add_f64 v[93:94], v[133:134], v[129:130]
	v_add_f64 v[95:96], v[135:136], v[131:132]
	v_add_f64 v[89:90], v[169:170], v[165:166]
	v_add_f64 v[91:92], v[171:172], v[167:168]
	v_add_f64 v[81:82], v[141:142], v[81:82]
	v_add_f64 v[83:84], v[143:144], v[83:84]
	ds_store_b128 v244, v[77:80]
	ds_store_b128 v244, v[93:96] offset:256
	ds_store_b128 v244, v[89:92] offset:512
	;; [unrolled: 1-line block ×3, first 2 shown]
	s_waitcnt lgkmcnt(0)
	s_barrier
	buffer_gl0_inv
	s_and_saveexec_b32 s2, s3
	s_cbranch_execz .LBB16_182
; %bb.181:                              ;   in Loop: Header=BB16_132 Depth=1
	ds_load_b128 v[77:80], v191
	ds_load_b128 v[81:84], v191 offset:16
	s_waitcnt lgkmcnt(0)
	v_add_f64 v[89:90], v[81:82], v[77:78]
	v_add_f64 v[91:92], v[83:84], v[79:80]
	ds_load_b128 v[77:80], v191 offset:32
	ds_load_b128 v[81:84], v191 offset:48
	s_waitcnt lgkmcnt(1)
	v_add_f64 v[77:78], v[89:90], v[77:78]
	v_add_f64 v[79:80], v[91:92], v[79:80]
	s_waitcnt lgkmcnt(0)
	s_delay_alu instid0(VALU_DEP_2) | instskip(NEXT) | instid1(VALU_DEP_2)
	v_add_f64 v[89:90], v[77:78], v[81:82]
	v_add_f64 v[91:92], v[79:80], v[83:84]
	ds_load_b128 v[77:80], v191 offset:64
	ds_load_b128 v[81:84], v191 offset:80
	s_waitcnt lgkmcnt(1)
	v_add_f64 v[77:78], v[89:90], v[77:78]
	v_add_f64 v[79:80], v[91:92], v[79:80]
	s_waitcnt lgkmcnt(0)
	s_delay_alu instid0(VALU_DEP_2) | instskip(NEXT) | instid1(VALU_DEP_2)
	;; [unrolled: 9-line block ×5, first 2 shown]
	v_add_f64 v[89:90], v[77:78], v[81:82]
	v_add_f64 v[91:92], v[79:80], v[83:84]
	ds_load_b128 v[77:80], v191 offset:192
	ds_load_b128 v[81:84], v191 offset:208
	s_waitcnt lgkmcnt(1)
	v_add_f64 v[77:78], v[89:90], v[77:78]
	v_add_f64 v[79:80], v[91:92], v[79:80]
	s_waitcnt lgkmcnt(0)
	s_delay_alu instid0(VALU_DEP_2)
	v_add_f64 v[89:90], v[77:78], v[81:82]
	scratch_load_b32 v81, off, off          ; 4-byte Folded Reload
	v_add_f64 v[91:92], v[79:80], v[83:84]
	ds_load_b128 v[77:80], v191 offset:224
	s_waitcnt vmcnt(0)
	ds_load_b128 v[81:84], v81
	s_waitcnt lgkmcnt(1)
	v_add_f64 v[77:78], v[89:90], v[77:78]
	v_add_f64 v[79:80], v[91:92], v[79:80]
	s_waitcnt lgkmcnt(0)
	s_delay_alu instid0(VALU_DEP_2) | instskip(NEXT) | instid1(VALU_DEP_2)
	v_add_f64 v[77:78], v[77:78], v[81:82]
	v_add_f64 v[79:80], v[79:80], v[83:84]
	v_add_nc_u32_e32 v81, s10, v211
	s_delay_alu instid0(VALU_DEP_1) | instskip(NEXT) | instid1(VALU_DEP_1)
	v_ashrrev_i32_e32 v82, 31, v81
	v_lshlrev_b64 v[81:82], 4, v[81:82]
	s_delay_alu instid0(VALU_DEP_1) | instskip(NEXT) | instid1(VALU_DEP_2)
	v_add_co_u32 v81, vcc_lo, s6, v81
	v_add_co_ci_u32_e32 v82, vcc_lo, s9, v82, vcc_lo
	global_store_b128 v[81:82], v[77:80], off
.LBB16_182:                             ;   in Loop: Header=BB16_132 Depth=1
	s_or_b32 exec_lo, exec_lo, s2
	v_mul_f64 v[77:78], v[11:12], v[23:24]
	v_mul_f64 v[23:24], v[9:10], v[23:24]
	;; [unrolled: 1-line block ×4, first 2 shown]
	v_add_co_u32 v212, vcc_lo, v212, s4
	v_add_co_ci_u32_e32 v213, vcc_lo, s5, v213, vcc_lo
	v_add_co_u32 v214, vcc_lo, v214, s4
	v_add_co_ci_u32_e32 v215, vcc_lo, s5, v215, vcc_lo
	;; [unrolled: 2-line block ×8, first 2 shown]
	v_add_co_u32 v228, vcc_lo, v228, s4
	v_fma_f64 v[9:10], v[9:10], v[21:22], -v[77:78]
	v_fma_f64 v[11:12], v[11:12], v[21:22], v[23:24]
	v_mul_f64 v[21:22], v[15:16], v[31:32]
	v_mul_f64 v[23:24], v[13:14], v[31:32]
	v_fma_f64 v[5:6], v[5:6], v[33:34], -v[79:80]
	v_fma_f64 v[7:8], v[7:8], v[33:34], v[35:36]
	v_add_co_ci_u32_e32 v229, vcc_lo, s5, v229, vcc_lo
	v_add_co_u32 v230, vcc_lo, v230, s4
	v_add_co_ci_u32_e32 v231, vcc_lo, s5, v231, vcc_lo
	v_add_co_u32 v232, vcc_lo, v232, s4
	;; [unrolled: 2-line block ×7, first 2 shown]
	v_add_co_ci_u32_e32 v243, vcc_lo, s5, v243, vcc_lo
	s_add_i32 s3, s14, 2
	s_add_i32 s2, s14, 1
	v_add_f64 v[0:1], v[0:1], v[9:10]
	v_add_f64 v[2:3], v[2:3], v[11:12]
	v_mul_f64 v[9:10], v[19:20], v[27:28]
	v_mul_f64 v[11:12], v[17:18], v[27:28]
	v_fma_f64 v[13:14], v[13:14], v[29:30], -v[21:22]
	v_fma_f64 v[15:16], v[15:16], v[29:30], v[23:24]
	s_add_i32 s10, s10, 64
	s_cmp_ge_u32 s3, s7
	s_waitcnt_vscnt null, 0x0
	s_barrier
	buffer_gl0_inv
	v_add_f64 v[0:1], v[0:1], v[5:6]
	v_add_f64 v[2:3], v[2:3], v[7:8]
	v_mul_f64 v[5:6], v[43:44], v[55:56]
	v_mul_f64 v[7:8], v[41:42], v[55:56]
	v_fma_f64 v[9:10], v[17:18], v[25:26], -v[9:10]
	v_fma_f64 v[11:12], v[19:20], v[25:26], v[11:12]
	v_add_f64 v[0:1], v[0:1], v[13:14]
	v_add_f64 v[2:3], v[2:3], v[15:16]
	v_mul_f64 v[13:14], v[39:40], v[67:68]
	v_mul_f64 v[15:16], v[37:38], v[67:68]
	v_fma_f64 v[5:6], v[41:42], v[53:54], -v[5:6]
	v_fma_f64 v[7:8], v[43:44], v[53:54], v[7:8]
	;; [unrolled: 6-line block ×12, first 2 shown]
	v_add_f64 v[0:1], v[0:1], v[5:6]
	v_add_f64 v[2:3], v[2:3], v[7:8]
	v_fma_f64 v[5:6], v[145:146], v[153:154], -v[9:10]
	v_fma_f64 v[7:8], v[147:148], v[153:154], v[11:12]
	s_delay_alu instid0(VALU_DEP_4) | instskip(NEXT) | instid1(VALU_DEP_4)
	v_add_f64 v[0:1], v[0:1], v[13:14]
	v_add_f64 v[2:3], v[2:3], v[15:16]
	s_delay_alu instid0(VALU_DEP_2) | instskip(NEXT) | instid1(VALU_DEP_2)
	v_add_f64 v[0:1], v[0:1], v[5:6]
	v_add_f64 v[2:3], v[2:3], v[7:8]
	s_cbranch_scc1 .LBB16_184
; %bb.183:                              ;   in Loop: Header=BB16_132 Depth=1
	s_mov_b32 s14, s2
	s_delay_alu instid0(SALU_CYCLE_1)
	s_cmp_eq_u32 s11, s14
	s_cselect_b32 s12, s18, 0
	s_and_saveexec_b32 s2, s0
	s_cbranch_execnz .LBB16_128
	s_branch .LBB16_132
.LBB16_184:
	scratch_load_b32 v4, off, off offset:4  ; 4-byte Folded Reload
	v_cmp_gt_i32_e32 vcc_lo, s8, v183
	s_or_b32 s1, s19, vcc_lo
	s_delay_alu instid0(SALU_CYCLE_1)
	s_and_b32 s0, s0, s1
	s_waitcnt vmcnt(0)
	v_mad_u32_u24 v4, 0x430, v4, v185
	ds_store_b128 v4, v[0:3]
	s_waitcnt lgkmcnt(0)
	s_barrier
	buffer_gl0_inv
	s_and_saveexec_b32 s1, s0
	s_cbranch_execz .LBB16_186
; %bb.185:
	ds_load_b128 v[0:3], v185 offset:1072
	ds_load_b128 v[4:7], v185
	s_waitcnt lgkmcnt(0)
	v_add_f64 v[8:9], v[0:1], v[4:5]
	v_add_f64 v[10:11], v[2:3], v[6:7]
	ds_load_b128 v[0:3], v185 offset:2144
	ds_load_b128 v[4:7], v185 offset:3216
	s_waitcnt lgkmcnt(1)
	v_add_f64 v[0:1], v[8:9], v[0:1]
	v_add_f64 v[2:3], v[10:11], v[2:3]
	s_waitcnt lgkmcnt(0)
	s_delay_alu instid0(VALU_DEP_2) | instskip(SKIP_4) | instid1(VALU_DEP_1)
	v_add_f64 v[0:1], v[0:1], v[4:5]
	scratch_load_b64 v[4:5], off, off offset:8 ; 8-byte Folded Reload
	v_add_f64 v[2:3], v[2:3], v[6:7]
	s_waitcnt vmcnt(0)
	v_lshlrev_b64 v[4:5], 4, v[4:5]
	v_add_co_u32 v4, vcc_lo, s6, v4
	s_delay_alu instid0(VALU_DEP_2)
	v_add_co_ci_u32_e32 v5, vcc_lo, s9, v5, vcc_lo
	global_store_b128 v[4:5], v[0:3], off
.LBB16_186:
	s_nop 0
	s_sendmsg sendmsg(MSG_DEALLOC_VGPRS)
	s_endpgm
	.section	.rodata,"a",@progbits
	.p2align	6, 0x0
	.amdhsa_kernel _ZL26rocblas_hemvn_kernel_upperILb1ELi64ELi4ELi33ELi32ELi16ElPK19rocblas_complex_numIdES3_PS1_EviT6_lT7_lT5_lS6_lS7_lS5_lT8_i
		.amdhsa_group_segment_fixed_size 19200
		.amdhsa_private_segment_fixed_size 20
		.amdhsa_kernarg_size 376
		.amdhsa_user_sgpr_count 14
		.amdhsa_user_sgpr_dispatch_ptr 0
		.amdhsa_user_sgpr_queue_ptr 0
		.amdhsa_user_sgpr_kernarg_segment_ptr 1
		.amdhsa_user_sgpr_dispatch_id 0
		.amdhsa_user_sgpr_private_segment_size 0
		.amdhsa_wavefront_size32 1
		.amdhsa_uses_dynamic_stack 0
		.amdhsa_enable_private_segment 1
		.amdhsa_system_sgpr_workgroup_id_x 1
		.amdhsa_system_sgpr_workgroup_id_y 0
		.amdhsa_system_sgpr_workgroup_id_z 1
		.amdhsa_system_sgpr_workgroup_info 0
		.amdhsa_system_vgpr_workitem_id 1
		.amdhsa_next_free_vgpr 256
		.amdhsa_next_free_sgpr 44
		.amdhsa_reserve_vcc 1
		.amdhsa_float_round_mode_32 0
		.amdhsa_float_round_mode_16_64 0
		.amdhsa_float_denorm_mode_32 3
		.amdhsa_float_denorm_mode_16_64 3
		.amdhsa_dx10_clamp 1
		.amdhsa_ieee_mode 1
		.amdhsa_fp16_overflow 0
		.amdhsa_workgroup_processor_mode 1
		.amdhsa_memory_ordered 1
		.amdhsa_forward_progress 0
		.amdhsa_shared_vgpr_count 0
		.amdhsa_exception_fp_ieee_invalid_op 0
		.amdhsa_exception_fp_denorm_src 0
		.amdhsa_exception_fp_ieee_div_zero 0
		.amdhsa_exception_fp_ieee_overflow 0
		.amdhsa_exception_fp_ieee_underflow 0
		.amdhsa_exception_fp_ieee_inexact 0
		.amdhsa_exception_int_div_zero 0
	.end_amdhsa_kernel
	.section	.text._ZL26rocblas_hemvn_kernel_upperILb1ELi64ELi4ELi33ELi32ELi16ElPK19rocblas_complex_numIdES3_PS1_EviT6_lT7_lT5_lS6_lS7_lS5_lT8_i,"axG",@progbits,_ZL26rocblas_hemvn_kernel_upperILb1ELi64ELi4ELi33ELi32ELi16ElPK19rocblas_complex_numIdES3_PS1_EviT6_lT7_lT5_lS6_lS7_lS5_lT8_i,comdat
.Lfunc_end16:
	.size	_ZL26rocblas_hemvn_kernel_upperILb1ELi64ELi4ELi33ELi32ELi16ElPK19rocblas_complex_numIdES3_PS1_EviT6_lT7_lT5_lS6_lS7_lS5_lT8_i, .Lfunc_end16-_ZL26rocblas_hemvn_kernel_upperILb1ELi64ELi4ELi33ELi32ELi16ElPK19rocblas_complex_numIdES3_PS1_EviT6_lT7_lT5_lS6_lS7_lS5_lT8_i
                                        ; -- End function
	.section	.AMDGPU.csdata,"",@progbits
; Kernel info:
; codeLenInByte = 13012
; NumSgprs: 46
; NumVgprs: 256
; ScratchSize: 20
; MemoryBound: 1
; FloatMode: 240
; IeeeMode: 1
; LDSByteSize: 19200 bytes/workgroup (compile time only)
; SGPRBlocks: 5
; VGPRBlocks: 31
; NumSGPRsForWavesPerEU: 46
; NumVGPRsForWavesPerEU: 256
; Occupancy: 5
; WaveLimiterHint : 0
; COMPUTE_PGM_RSRC2:SCRATCH_EN: 1
; COMPUTE_PGM_RSRC2:USER_SGPR: 14
; COMPUTE_PGM_RSRC2:TRAP_HANDLER: 0
; COMPUTE_PGM_RSRC2:TGID_X_EN: 1
; COMPUTE_PGM_RSRC2:TGID_Y_EN: 0
; COMPUTE_PGM_RSRC2:TGID_Z_EN: 1
; COMPUTE_PGM_RSRC2:TIDIG_COMP_CNT: 1
	.section	.text._ZL36rocblas_hemvn_kernel_upper_block_sumILi64ElPK19rocblas_complex_numIdEPS1_S1_EviT1_lS5_lT2_lT0_lPT3_i,"axG",@progbits,_ZL36rocblas_hemvn_kernel_upper_block_sumILi64ElPK19rocblas_complex_numIdEPS1_S1_EviT1_lS5_lT2_lT0_lPT3_i,comdat
	.globl	_ZL36rocblas_hemvn_kernel_upper_block_sumILi64ElPK19rocblas_complex_numIdEPS1_S1_EviT1_lS5_lT2_lT0_lPT3_i ; -- Begin function _ZL36rocblas_hemvn_kernel_upper_block_sumILi64ElPK19rocblas_complex_numIdEPS1_S1_EviT1_lS5_lT2_lT0_lPT3_i
	.p2align	8
	.type	_ZL36rocblas_hemvn_kernel_upper_block_sumILi64ElPK19rocblas_complex_numIdEPS1_S1_EviT1_lS5_lT2_lT0_lPT3_i,@function
_ZL36rocblas_hemvn_kernel_upper_block_sumILi64ElPK19rocblas_complex_numIdEPS1_S1_EviT1_lS5_lT2_lT0_lPT3_i: ; @_ZL36rocblas_hemvn_kernel_upper_block_sumILi64ElPK19rocblas_complex_numIdEPS1_S1_EviT1_lS5_lT2_lT0_lPT3_i
; %bb.0:
	s_load_b256 s[4:11], s[0:1], 0x8
	s_waitcnt lgkmcnt(0)
	s_mul_i32 s3, s15, s7
	s_mul_hi_u32 s7, s15, s6
	s_mul_i32 s2, s15, s6
	s_add_i32 s3, s7, s3
	s_delay_alu instid0(SALU_CYCLE_1) | instskip(NEXT) | instid1(SALU_CYCLE_1)
	s_lshl_b64 s[2:3], s[2:3], 4
	s_add_u32 s2, s4, s2
	s_addc_u32 s3, s5, s3
	s_load_b128 s[20:23], s[2:3], 0x0
	s_mul_i32 s2, s15, s11
	s_mul_hi_u32 s3, s15, s10
	s_delay_alu instid0(SALU_CYCLE_1) | instskip(SKIP_1) | instid1(SALU_CYCLE_1)
	s_add_i32 s3, s3, s2
	s_mul_i32 s2, s15, s10
	s_lshl_b64 s[2:3], s[2:3], 4
	s_delay_alu instid0(SALU_CYCLE_1)
	s_add_u32 s2, s8, s2
	s_addc_u32 s3, s9, s3
	s_load_b128 s[16:19], s[2:3], 0x0
	s_mov_b32 s3, -1
	s_waitcnt lgkmcnt(0)
	v_cmp_neq_f64_e64 s4, s[20:21], 0
	v_cmp_neq_f64_e64 s5, s[22:23], 0
	s_delay_alu instid0(VALU_DEP_1) | instskip(NEXT) | instid1(SALU_CYCLE_1)
	s_or_b32 s2, s4, s5
	s_and_b32 vcc_lo, exec_lo, s2
	s_cbranch_vccnz .LBB17_2
; %bb.1:
	v_cmp_neq_f64_e64 s3, s[16:17], 1.0
	v_cmp_neq_f64_e64 s4, s[18:19], 0
	s_delay_alu instid0(VALU_DEP_1)
	s_or_b32 s3, s3, s4
.LBB17_2:
	s_delay_alu instid0(SALU_CYCLE_1)
	s_and_not1_b32 vcc_lo, exec_lo, s3
	s_cbranch_vccnz .LBB17_22
; %bb.3:
	s_clause 0x2
	s_load_b256 s[4:11], s[0:1], 0x30
	s_load_b64 s[24:25], s[0:1], 0x28
	s_load_b32 s12, s[0:1], 0x0
	s_xor_b32 s13, s2, -1
	v_lshl_or_b32 v4, s14, 6, v0
	s_waitcnt lgkmcnt(0)
	s_mul_i32 s3, s15, s9
	s_mul_hi_u32 s9, s15, s8
	s_mul_i32 s2, s15, s8
	s_add_i32 s3, s9, s3
	s_delay_alu instid0(SALU_CYCLE_1) | instskip(NEXT) | instid1(SALU_CYCLE_1)
	s_lshl_b64 s[2:3], s[2:3], 4
	s_add_u32 s8, s24, s2
	s_addc_u32 s9, s25, s3
	s_lshl_b64 s[4:5], s[4:5], 4
	v_cmp_gt_i32_e64 s2, s12, v4
	s_add_u32 s3, s8, s4
	s_addc_u32 s4, s9, s5
	s_and_not1_b32 vcc_lo, exec_lo, s13
	s_mov_b32 s5, 0
	s_cbranch_vccnz .LBB17_8
; %bb.4:
	s_mov_b32 s8, 0
                                        ; implicit-def: $vgpr2_vgpr3
                                        ; implicit-def: $vgpr5_vgpr6
	s_and_saveexec_b32 s9, s2
	s_cbranch_execz .LBB17_9
; %bb.5:
	v_cmp_neq_f64_e64 s2, s[16:17], 0
	v_cmp_neq_f64_e64 s5, s[18:19], 0
	v_ashrrev_i32_e32 v0, 31, v4
	v_mul_lo_u32 v1, v4, s7
	v_mad_u64_u32 v[5:6], null, v4, s6, 0
	v_mov_b32_e32 v2, 0
	s_delay_alu instid0(VALU_DEP_4) | instskip(SKIP_1) | instid1(VALU_DEP_2)
	v_mul_lo_u32 v0, v0, s6
	v_mov_b32_e32 v3, 0
	v_add3_u32 v6, v6, v1, v0
	s_delay_alu instid0(VALU_DEP_2) | instskip(SKIP_1) | instid1(SALU_CYCLE_1)
	v_dual_mov_b32 v0, v2 :: v_dual_mov_b32 v1, v3
	s_or_b32 s2, s2, s5
	s_and_not1_b32 vcc_lo, exec_lo, s2
	s_cbranch_vccnz .LBB17_7
; %bb.6:
	v_lshlrev_b64 v[0:1], 4, v[5:6]
	s_delay_alu instid0(VALU_DEP_1) | instskip(NEXT) | instid1(VALU_DEP_2)
	v_add_co_u32 v0, vcc_lo, s3, v0
	v_add_co_ci_u32_e32 v1, vcc_lo, s4, v1, vcc_lo
	global_load_b128 v[7:10], v[0:1], off
	s_waitcnt vmcnt(0)
	v_mul_f64 v[0:1], s[18:19], v[9:10]
	v_mul_f64 v[2:3], s[16:17], v[9:10]
	s_delay_alu instid0(VALU_DEP_2) | instskip(NEXT) | instid1(VALU_DEP_2)
	v_fma_f64 v[0:1], s[16:17], v[7:8], -v[0:1]
	v_fma_f64 v[2:3], s[18:19], v[7:8], v[2:3]
.LBB17_7:
	s_mov_b32 s5, exec_lo
	s_or_b32 exec_lo, exec_lo, s9
	s_delay_alu instid0(SALU_CYCLE_1)
	s_and_b32 vcc_lo, exec_lo, s8
	s_cbranch_vccnz .LBB17_10
	s_branch .LBB17_20
.LBB17_8:
                                        ; implicit-def: $vgpr2_vgpr3
                                        ; implicit-def: $vgpr5_vgpr6
	s_cbranch_execnz .LBB17_10
	s_branch .LBB17_20
.LBB17_9:
	s_or_b32 exec_lo, exec_lo, s9
	s_delay_alu instid0(SALU_CYCLE_1)
	s_and_b32 vcc_lo, exec_lo, s8
	s_cbranch_vccz .LBB17_20
.LBB17_10:
	s_mov_b32 s2, exec_lo
                                        ; implicit-def: $vgpr2_vgpr3
                                        ; implicit-def: $vgpr5_vgpr6
	v_cmpx_gt_i32_e64 s12, v4
	s_cbranch_execz .LBB17_19
; %bb.11:
	v_mov_b32_e32 v0, 0
	v_mov_b32_e32 v1, 0
	v_ashrrev_i32_e32 v5, 31, v4
	s_cmp_lt_i32 s14, 0
	s_delay_alu instid0(VALU_DEP_2)
	v_dual_mov_b32 v3, v1 :: v_dual_mov_b32 v2, v0
	s_cbranch_scc1 .LBB17_14
; %bb.12:
	s_load_b32 s0, s[0:1], 0x58
	s_ashr_i32 s13, s12, 31
	s_mul_hi_u32 s1, s12, s15
	s_mul_i32 s9, s13, s15
	s_add_i32 s8, s14, 1
	s_add_i32 s1, s1, s9
	s_mul_i32 s9, s12, s15
	v_lshlrev_b64 v[2:3], 4, v[4:5]
	v_mov_b32_e32 v0, 0
	v_mov_b32_e32 v1, 0
	s_waitcnt lgkmcnt(0)
	s_mul_i32 s1, s1, s0
	s_mul_hi_u32 s14, s9, s0
	s_mul_i32 s0, s9, s0
	s_add_i32 s1, s14, s1
	s_delay_alu instid0(SALU_CYCLE_1) | instskip(NEXT) | instid1(SALU_CYCLE_1)
	s_lshl_b64 s[0:1], s[0:1], 4
	s_add_u32 s0, s10, s0
	s_addc_u32 s1, s11, s1
	v_add_co_u32 v2, vcc_lo, s0, v2
	v_add_co_ci_u32_e32 v3, vcc_lo, s1, v3, vcc_lo
	s_lshl_b64 s[0:1], s[12:13], 4
	s_delay_alu instid0(VALU_DEP_2) | instskip(NEXT) | instid1(VALU_DEP_2)
	v_add_co_u32 v6, vcc_lo, v2, 8
	v_add_co_ci_u32_e32 v7, vcc_lo, 0, v3, vcc_lo
	v_dual_mov_b32 v3, v1 :: v_dual_mov_b32 v2, v0
.LBB17_13:                              ; =>This Inner Loop Header: Depth=1
	global_load_b128 v[8:11], v[6:7], off offset:-8
	v_add_co_u32 v6, vcc_lo, v6, s0
	v_add_co_ci_u32_e32 v7, vcc_lo, s1, v7, vcc_lo
	s_add_i32 s8, s8, -1
	s_delay_alu instid0(SALU_CYCLE_1)
	s_cmp_eq_u32 s8, 0
	s_waitcnt vmcnt(0)
	v_add_f64 v[2:3], v[2:3], v[8:9]
	v_add_f64 v[0:1], v[0:1], v[10:11]
	s_cbranch_scc0 .LBB17_13
.LBB17_14:
	s_delay_alu instid0(VALU_DEP_1) | instskip(SKIP_3) | instid1(VALU_DEP_4)
	v_mul_f64 v[6:7], s[22:23], v[0:1]
	v_mul_f64 v[8:9], s[20:21], v[0:1]
	v_cmp_neq_f64_e64 s0, s[16:17], 0
	v_cmp_neq_f64_e64 s1, s[18:19], 0
	v_fma_f64 v[0:1], s[20:21], v[2:3], -v[6:7]
	s_delay_alu instid0(VALU_DEP_4) | instskip(SKIP_3) | instid1(SALU_CYCLE_1)
	v_fma_f64 v[2:3], s[22:23], v[2:3], v[8:9]
	v_mul_lo_u32 v7, v5, s6
	v_mul_lo_u32 v8, v4, s7
	s_or_b32 s0, s0, s1
	s_and_not1_b32 vcc_lo, exec_lo, s0
	s_cbranch_vccz .LBB17_16
; %bb.15:
	v_mad_u64_u32 v[5:6], null, v4, s6, 0
	s_delay_alu instid0(VALU_DEP_1)
	v_add3_u32 v6, v6, v8, v7
	s_cbranch_execz .LBB17_17
	s_branch .LBB17_18
.LBB17_16:
                                        ; implicit-def: $vgpr5_vgpr6
.LBB17_17:
	v_mad_u64_u32 v[5:6], null, v4, s6, 0
	s_delay_alu instid0(VALU_DEP_1) | instskip(NEXT) | instid1(VALU_DEP_1)
	v_add3_u32 v6, v6, v8, v7
	v_lshlrev_b64 v[7:8], 4, v[5:6]
	s_delay_alu instid0(VALU_DEP_1) | instskip(NEXT) | instid1(VALU_DEP_2)
	v_add_co_u32 v7, vcc_lo, s3, v7
	v_add_co_ci_u32_e32 v8, vcc_lo, s4, v8, vcc_lo
	global_load_b128 v[7:10], v[7:8], off
	s_waitcnt vmcnt(0)
	v_mul_f64 v[11:12], s[18:19], v[9:10]
	v_mul_f64 v[9:10], s[16:17], v[9:10]
	s_delay_alu instid0(VALU_DEP_2) | instskip(NEXT) | instid1(VALU_DEP_2)
	v_fma_f64 v[11:12], s[16:17], v[7:8], -v[11:12]
	v_fma_f64 v[7:8], s[18:19], v[7:8], v[9:10]
	s_delay_alu instid0(VALU_DEP_2) | instskip(NEXT) | instid1(VALU_DEP_2)
	v_add_f64 v[0:1], v[0:1], v[11:12]
	v_add_f64 v[2:3], v[2:3], v[7:8]
.LBB17_18:
	s_or_b32 s5, s5, exec_lo
.LBB17_19:
	s_or_b32 exec_lo, exec_lo, s2
.LBB17_20:
	s_and_saveexec_b32 s0, s5
	s_cbranch_execz .LBB17_22
; %bb.21:
	v_lshlrev_b64 v[4:5], 4, v[5:6]
	s_delay_alu instid0(VALU_DEP_1) | instskip(NEXT) | instid1(VALU_DEP_2)
	v_add_co_u32 v4, vcc_lo, s3, v4
	v_add_co_ci_u32_e32 v5, vcc_lo, s4, v5, vcc_lo
	global_store_b128 v[4:5], v[0:3], off
.LBB17_22:
	s_nop 0
	s_sendmsg sendmsg(MSG_DEALLOC_VGPRS)
	s_endpgm
	.section	.rodata,"a",@progbits
	.p2align	6, 0x0
	.amdhsa_kernel _ZL36rocblas_hemvn_kernel_upper_block_sumILi64ElPK19rocblas_complex_numIdEPS1_S1_EviT1_lS5_lT2_lT0_lPT3_i
		.amdhsa_group_segment_fixed_size 0
		.amdhsa_private_segment_fixed_size 0
		.amdhsa_kernarg_size 344
		.amdhsa_user_sgpr_count 14
		.amdhsa_user_sgpr_dispatch_ptr 0
		.amdhsa_user_sgpr_queue_ptr 0
		.amdhsa_user_sgpr_kernarg_segment_ptr 1
		.amdhsa_user_sgpr_dispatch_id 0
		.amdhsa_user_sgpr_private_segment_size 0
		.amdhsa_wavefront_size32 1
		.amdhsa_uses_dynamic_stack 0
		.amdhsa_enable_private_segment 0
		.amdhsa_system_sgpr_workgroup_id_x 1
		.amdhsa_system_sgpr_workgroup_id_y 0
		.amdhsa_system_sgpr_workgroup_id_z 1
		.amdhsa_system_sgpr_workgroup_info 0
		.amdhsa_system_vgpr_workitem_id 0
		.amdhsa_next_free_vgpr 13
		.amdhsa_next_free_sgpr 26
		.amdhsa_reserve_vcc 1
		.amdhsa_float_round_mode_32 0
		.amdhsa_float_round_mode_16_64 0
		.amdhsa_float_denorm_mode_32 3
		.amdhsa_float_denorm_mode_16_64 3
		.amdhsa_dx10_clamp 1
		.amdhsa_ieee_mode 1
		.amdhsa_fp16_overflow 0
		.amdhsa_workgroup_processor_mode 1
		.amdhsa_memory_ordered 1
		.amdhsa_forward_progress 0
		.amdhsa_shared_vgpr_count 0
		.amdhsa_exception_fp_ieee_invalid_op 0
		.amdhsa_exception_fp_denorm_src 0
		.amdhsa_exception_fp_ieee_div_zero 0
		.amdhsa_exception_fp_ieee_overflow 0
		.amdhsa_exception_fp_ieee_underflow 0
		.amdhsa_exception_fp_ieee_inexact 0
		.amdhsa_exception_int_div_zero 0
	.end_amdhsa_kernel
	.section	.text._ZL36rocblas_hemvn_kernel_upper_block_sumILi64ElPK19rocblas_complex_numIdEPS1_S1_EviT1_lS5_lT2_lT0_lPT3_i,"axG",@progbits,_ZL36rocblas_hemvn_kernel_upper_block_sumILi64ElPK19rocblas_complex_numIdEPS1_S1_EviT1_lS5_lT2_lT0_lPT3_i,comdat
.Lfunc_end17:
	.size	_ZL36rocblas_hemvn_kernel_upper_block_sumILi64ElPK19rocblas_complex_numIdEPS1_S1_EviT1_lS5_lT2_lT0_lPT3_i, .Lfunc_end17-_ZL36rocblas_hemvn_kernel_upper_block_sumILi64ElPK19rocblas_complex_numIdEPS1_S1_EviT1_lS5_lT2_lT0_lPT3_i
                                        ; -- End function
	.section	.AMDGPU.csdata,"",@progbits
; Kernel info:
; codeLenInByte = 1012
; NumSgprs: 28
; NumVgprs: 13
; ScratchSize: 0
; MemoryBound: 0
; FloatMode: 240
; IeeeMode: 1
; LDSByteSize: 0 bytes/workgroup (compile time only)
; SGPRBlocks: 3
; VGPRBlocks: 1
; NumSGPRsForWavesPerEU: 28
; NumVGPRsForWavesPerEU: 13
; Occupancy: 16
; WaveLimiterHint : 0
; COMPUTE_PGM_RSRC2:SCRATCH_EN: 0
; COMPUTE_PGM_RSRC2:USER_SGPR: 14
; COMPUTE_PGM_RSRC2:TRAP_HANDLER: 0
; COMPUTE_PGM_RSRC2:TGID_X_EN: 1
; COMPUTE_PGM_RSRC2:TGID_Y_EN: 0
; COMPUTE_PGM_RSRC2:TGID_Z_EN: 1
; COMPUTE_PGM_RSRC2:TIDIG_COMP_CNT: 0
	.section	.text._ZL26rocblas_hemvn_kernel_upperILb1ELi64ELi4ELi33ELi32ELi16EiPK19rocblas_complex_numIdES3_PS1_EviT6_lT7_lT5_lS6_lS7_lS5_lT8_i,"axG",@progbits,_ZL26rocblas_hemvn_kernel_upperILb1ELi64ELi4ELi33ELi32ELi16EiPK19rocblas_complex_numIdES3_PS1_EviT6_lT7_lT5_lS6_lS7_lS5_lT8_i,comdat
	.globl	_ZL26rocblas_hemvn_kernel_upperILb1ELi64ELi4ELi33ELi32ELi16EiPK19rocblas_complex_numIdES3_PS1_EviT6_lT7_lT5_lS6_lS7_lS5_lT8_i ; -- Begin function _ZL26rocblas_hemvn_kernel_upperILb1ELi64ELi4ELi33ELi32ELi16EiPK19rocblas_complex_numIdES3_PS1_EviT6_lT7_lT5_lS6_lS7_lS5_lT8_i
	.p2align	8
	.type	_ZL26rocblas_hemvn_kernel_upperILb1ELi64ELi4ELi33ELi32ELi16EiPK19rocblas_complex_numIdES3_PS1_EviT6_lT7_lT5_lS6_lS7_lS5_lT8_i,@function
_ZL26rocblas_hemvn_kernel_upperILb1ELi64ELi4ELi33ELi32ELi16EiPK19rocblas_complex_numIdES3_PS1_EviT6_lT7_lT5_lS6_lS7_lS5_lT8_i: ; @_ZL26rocblas_hemvn_kernel_upperILb1ELi64ELi4ELi33ELi32ELi16EiPK19rocblas_complex_numIdES3_PS1_EviT6_lT7_lT5_lS6_lS7_lS5_lT8_i
; %bb.0:
	s_load_b64 s[4:5], s[0:1], 0x84
	s_add_u32 s2, s0, 0x78
	s_addc_u32 s3, s1, 0
	s_waitcnt lgkmcnt(0)
	s_lshr_b32 s6, s4, 16
	s_and_b32 s4, s4, 0xffff
	s_and_b32 s5, s5, 0xffff
	s_mul_i32 s4, s6, s4
	s_delay_alu instid0(SALU_CYCLE_1) | instskip(NEXT) | instid1(SALU_CYCLE_1)
	s_mul_i32 s4, s4, s5
	s_cmpk_lg_i32 s4, 0x100
	s_cbranch_scc1 .LBB18_186
; %bb.1:
	s_load_b256 s[16:23], s[0:1], 0x8
	s_waitcnt lgkmcnt(0)
	s_mul_i32 s5, s15, s19
	s_mul_hi_u32 s6, s15, s18
	s_mul_i32 s4, s15, s18
	s_add_i32 s5, s6, s5
	s_delay_alu instid0(SALU_CYCLE_1) | instskip(NEXT) | instid1(SALU_CYCLE_1)
	s_lshl_b64 s[4:5], s[4:5], 4
	s_add_u32 s4, s16, s4
	s_addc_u32 s5, s17, s5
	s_load_b128 s[4:7], s[4:5], 0x0
	s_waitcnt lgkmcnt(0)
	v_cmp_neq_f64_e64 s12, s[4:5], 0
	v_cmp_neq_f64_e64 s13, s[6:7], 0
	s_load_b256 s[4:11], s[0:1], 0x50
	s_delay_alu instid0(VALU_DEP_1)
	s_or_b32 s12, s12, s13
	s_mov_b32 s13, -1
	s_and_b32 vcc_lo, exec_lo, s12
	s_cbranch_vccnz .LBB18_3
; %bb.2:
	s_waitcnt lgkmcnt(0)
	s_mul_i32 s9, s15, s9
	s_mul_hi_u32 s13, s15, s8
	s_mul_i32 s8, s15, s8
	s_add_i32 s9, s13, s9
	s_delay_alu instid0(SALU_CYCLE_1) | instskip(NEXT) | instid1(SALU_CYCLE_1)
	s_lshl_b64 s[8:9], s[8:9], 4
	s_add_u32 s6, s6, s8
	s_addc_u32 s7, s7, s9
	s_load_b128 s[16:19], s[6:7], 0x0
	s_waitcnt lgkmcnt(0)
	v_cmp_neq_f64_e64 s6, s[16:17], 1.0
	v_cmp_neq_f64_e64 s7, s[18:19], 0
	s_delay_alu instid0(VALU_DEP_1)
	s_or_b32 s13, s6, s7
.LBB18_3:
	s_delay_alu instid0(SALU_CYCLE_1)
	s_and_not1_b32 vcc_lo, exec_lo, s13
	s_cbranch_vccnz .LBB18_186
; %bb.4:
	s_and_not1_b32 vcc_lo, exec_lo, s12
	s_cbranch_vccnz .LBB18_186
; %bb.5:
	s_load_b128 s[16:19], s[0:1], 0x30
	s_waitcnt lgkmcnt(0)
	s_clause 0x1
	s_load_b64 s[8:9], s[0:1], 0x40
	s_load_b32 s7, s[0:1], 0x48
	s_mul_i32 s5, s15, s5
	s_mul_hi_u32 s6, s15, s4
	s_mul_i32 s4, s15, s4
	s_add_i32 s5, s6, s5
	v_and_b32_e32 v170, 0x3ff, v0
	s_lshl_b64 s[4:5], s[4:5], 4
	s_load_b32 s24, s[0:1], 0x0
	s_load_b32 s26, s[2:3], 0x0
	v_bfe_u32 v0, v0, 10, 10
	scratch_store_b32 off, v0, off offset:8 ; 4-byte Folded Spill
	s_add_u32 s6, s18, s4
	s_addc_u32 s12, s19, s5
	s_waitcnt lgkmcnt(0)
	s_lshl_b64 s[4:5], s[8:9], 4
	s_delay_alu instid0(SALU_CYCLE_1) | instskip(SKIP_2) | instid1(SALU_CYCLE_1)
	s_add_u32 s4, s6, s4
	s_addc_u32 s5, s12, s5
	s_lshl_b32 s12, s14, 6
	v_add_nc_u32_e32 v2, s12, v170
	s_ashr_i32 s25, s24, 31
	s_add_i32 s3, s26, -1
	s_lshr_b32 s2, s25, 26
	s_delay_alu instid0(VALU_DEP_1) | instskip(SKIP_1) | instid1(SALU_CYCLE_1)
	v_mov_b32_e32 v1, v2
	s_add_i32 s2, s24, s2
	s_and_not1_b32 s2, s2, 63
	scratch_store_b64 off, v[1:2], off offset:12 ; 8-byte Folded Spill
	v_mul_lo_u32 v1, v2, s7
	s_sub_i32 s27, s24, s2
	v_cmp_eq_u32_e64 s2, 0, v0
	s_cmp_eq_u32 s14, s3
	s_mov_b32 s3, -1
	s_cselect_b32 s8, s27, 0
	s_delay_alu instid0(VALU_DEP_2) | instskip(NEXT) | instid1(VALU_DEP_1)
	v_ashrrev_i32_e32 v2, 31, v1
	v_lshlrev_b64 v[1:2], 4, v[1:2]
	s_delay_alu instid0(VALU_DEP_1) | instskip(NEXT) | instid1(VALU_DEP_2)
	v_add_co_u32 v36, vcc_lo, s4, v1
	v_add_co_ci_u32_e32 v37, vcc_lo, s5, v2, vcc_lo
	s_and_saveexec_b32 s4, s2
	s_cbranch_execz .LBB18_10
; %bb.6:
	v_cmp_le_i32_e32 vcc_lo, s8, v170
	s_cmp_lg_u32 s8, 0
	v_lshl_add_u32 v0, v170, 4, 0x4700
	s_cselect_b32 s5, -1, 0
	s_delay_alu instid0(SALU_CYCLE_1) | instskip(NEXT) | instid1(SALU_CYCLE_1)
	s_and_b32 s5, s5, vcc_lo
	s_and_saveexec_b32 s6, s5
	s_delay_alu instid0(SALU_CYCLE_1)
	s_xor_b32 s5, exec_lo, s6
	s_cbranch_execz .LBB18_8
; %bb.7:
	v_mov_b32_e32 v1, 0
	s_delay_alu instid0(VALU_DEP_1)
	v_mov_b32_e32 v2, v1
	v_mov_b32_e32 v3, v1
	;; [unrolled: 1-line block ×3, first 2 shown]
	ds_store_b128 v0, v[1:4]
                                        ; implicit-def: $vgpr0
.LBB18_8:
	s_and_not1_saveexec_b32 s5, s5
	s_cbranch_execz .LBB18_10
; %bb.9:
	global_load_b128 v[1:4], v[36:37], off
	s_waitcnt vmcnt(0)
	ds_store_2addr_b64 v0, v[1:2], v[3:4] offset1:1
.LBB18_10:
	s_or_b32 exec_lo, exec_lo, s4
	scratch_load_b32 v0, off, off offset:8  ; 4-byte Folded Reload
	s_load_b32 s18, s[0:1], 0x28
	v_and_b32_e32 v4, 31, v170
	s_mul_i32 s1, s15, s17
	s_mul_hi_u32 s4, s15, s16
	s_mul_i32 s0, s15, s16
	s_add_i32 s1, s4, s1
	v_lshlrev_b32_e32 v13, 4, v4
	s_lshl_b64 s[0:1], s[0:1], 4
	s_delay_alu instid0(SALU_CYCLE_1) | instskip(SKIP_2) | instid1(SALU_CYCLE_1)
	s_add_u32 s4, s20, s0
	s_addc_u32 s5, s21, s1
	s_lshl_b64 s[0:1], s[22:23], 4
	s_add_u32 s4, s4, s0
	s_addc_u32 s5, s5, s1
	s_ashr_i32 s13, s12, 31
	s_delay_alu instid0(SALU_CYCLE_1) | instskip(NEXT) | instid1(SALU_CYCLE_1)
	s_lshl_b64 s[0:1], s[12:13], 4
	s_add_u32 s4, s4, s0
	s_waitcnt lgkmcnt(0)
	s_mul_i32 s0, s12, s18
	s_addc_u32 s5, s5, s1
	s_ashr_i32 s1, s0, 31
	s_delay_alu instid0(SALU_CYCLE_1) | instskip(NEXT) | instid1(SALU_CYCLE_1)
	s_lshl_b64 s[0:1], s[0:1], 4
	s_add_u32 s4, s0, s4
	s_addc_u32 s5, s1, s5
	s_cmp_eq_u32 s8, 0
	v_cmp_gt_i32_e64 s0, s8, v4
	s_cselect_b32 s28, -1, 0
	s_cmp_lg_u32 s8, 0
	s_cselect_b32 s13, -1, 0
	s_delay_alu instid0(SALU_CYCLE_1) | instskip(SKIP_2) | instid1(VALU_DEP_1)
	s_and_b32 vcc_lo, exec_lo, s13
	s_waitcnt vmcnt(0)
	v_lshl_add_u32 v42, v0, 6, v170
	v_lshrrev_b32_e32 v11, 5, v42
	s_delay_alu instid0(VALU_DEP_1) | instskip(SKIP_1) | instid1(VALU_DEP_2)
	v_mad_u64_u32 v[0:1], null, v11, s18, v[4:5]
	v_mul_u32_u24_e32 v12, 33, v11
	v_ashrrev_i32_e32 v1, 31, v0
	s_delay_alu instid0(VALU_DEP_1) | instskip(NEXT) | instid1(VALU_DEP_1)
	v_lshlrev_b64 v[38:39], 4, v[0:1]
	v_add_co_u32 v0, s1, s4, v38
	s_delay_alu instid0(VALU_DEP_1)
	v_add_co_ci_u32_e64 v1, s1, s5, v39, s1
	s_cbranch_vccz .LBB18_28
; %bb.11:
	s_delay_alu instid0(VALU_DEP_2) | instskip(SKIP_1) | instid1(VALU_DEP_2)
	v_sub_co_u32 v2, vcc_lo, v0, v13
	s_ashr_i32 s9, s8, 31
	v_subrev_co_ci_u32_e32 v3, vcc_lo, 0, v1, vcc_lo
	s_lshl_b64 s[4:5], s[8:9], 4
	v_add_lshl_u32 v5, v12, v4, 4
	v_add_co_u32 v2, vcc_lo, v2, s4
	s_delay_alu instid0(VALU_DEP_3) | instskip(SKIP_1) | instid1(VALU_DEP_2)
	v_add_co_ci_u32_e32 v3, vcc_lo, s5, v3, vcc_lo
	s_mov_b32 s1, exec_lo
	v_add_co_u32 v2, vcc_lo, v2, -16
	s_delay_alu instid0(VALU_DEP_2) | instskip(NEXT) | instid1(VALU_DEP_2)
	v_add_co_ci_u32_e32 v3, vcc_lo, -1, v3, vcc_lo
	v_cndmask_b32_e64 v2, v2, v0, s0
	s_delay_alu instid0(VALU_DEP_2)
	v_cndmask_b32_e64 v3, v3, v1, s0
	v_cmpx_le_i32_e64 s8, v11
	s_xor_b32 s1, exec_lo, s1
	s_cbranch_execz .LBB18_13
; %bb.12:
	v_mov_b32_e32 v6, 0
	s_delay_alu instid0(VALU_DEP_1)
	v_mov_b32_e32 v7, v6
	v_mov_b32_e32 v8, v6
	;; [unrolled: 1-line block ×3, first 2 shown]
	ds_store_b128 v5, v[6:9]
.LBB18_13:
	s_and_not1_saveexec_b32 s1, s1
	s_cbranch_execz .LBB18_15
; %bb.14:
	global_load_b128 v[6:9], v[2:3], off
	s_waitcnt vmcnt(0)
	ds_store_2addr_b64 v5, v[6:7], v[8:9] offset1:1
.LBB18_15:
	s_or_b32 exec_lo, exec_lo, s1
	v_add_nc_u32_e32 v6, 8, v11
	s_mov_b32 s1, exec_lo
	s_delay_alu instid0(VALU_DEP_1)
	v_cmpx_le_i32_e64 s8, v6
	s_xor_b32 s1, exec_lo, s1
	s_cbranch_execz .LBB18_17
; %bb.16:
	v_mul_u32_u24_e32 v7, 33, v6
	v_mov_b32_e32 v6, 0
	s_delay_alu instid0(VALU_DEP_2) | instskip(NEXT) | instid1(VALU_DEP_2)
	v_add_lshl_u32 v10, v7, v4, 4
	v_mov_b32_e32 v7, v6
	v_mov_b32_e32 v8, v6
	;; [unrolled: 1-line block ×3, first 2 shown]
	ds_store_b128 v10, v[6:9]
.LBB18_17:
	s_and_not1_saveexec_b32 s1, s1
	s_cbranch_execz .LBB18_19
; %bb.18:
	s_lshl_b32 s16, s18, 3
	v_add_nc_u32_e32 v10, 0x1080, v5
	s_ashr_i32 s17, s16, 31
	s_delay_alu instid0(SALU_CYCLE_1) | instskip(NEXT) | instid1(SALU_CYCLE_1)
	s_lshl_b64 s[16:17], s[16:17], 4
	v_add_co_u32 v6, vcc_lo, v2, s16
	v_add_co_ci_u32_e32 v7, vcc_lo, s17, v3, vcc_lo
	global_load_b128 v[6:9], v[6:7], off
	s_waitcnt vmcnt(0)
	ds_store_2addr_b64 v10, v[6:7], v[8:9] offset1:1
.LBB18_19:
	s_or_b32 exec_lo, exec_lo, s1
	v_add_nc_u32_e32 v6, 16, v11
	s_mov_b32 s1, exec_lo
	s_delay_alu instid0(VALU_DEP_1)
	v_cmpx_le_i32_e64 s8, v6
	s_xor_b32 s1, exec_lo, s1
	s_cbranch_execz .LBB18_21
; %bb.20:
	v_mul_u32_u24_e32 v7, 33, v6
	v_mov_b32_e32 v6, 0
	s_delay_alu instid0(VALU_DEP_2) | instskip(NEXT) | instid1(VALU_DEP_2)
	v_add_lshl_u32 v10, v7, v4, 4
	v_mov_b32_e32 v7, v6
	v_mov_b32_e32 v8, v6
	;; [unrolled: 1-line block ×3, first 2 shown]
	ds_store_b128 v10, v[6:9]
.LBB18_21:
	s_and_not1_saveexec_b32 s1, s1
	s_cbranch_execz .LBB18_23
; %bb.22:
	s_lshl_b32 s16, s18, 4
	v_add_nc_u32_e32 v10, 0x2100, v5
	s_ashr_i32 s17, s16, 31
	s_delay_alu instid0(SALU_CYCLE_1) | instskip(NEXT) | instid1(SALU_CYCLE_1)
	s_lshl_b64 s[16:17], s[16:17], 4
	v_add_co_u32 v6, vcc_lo, v2, s16
	v_add_co_ci_u32_e32 v7, vcc_lo, s17, v3, vcc_lo
	global_load_b128 v[6:9], v[6:7], off
	s_waitcnt vmcnt(0)
	ds_store_2addr_b64 v10, v[6:7], v[8:9] offset1:1
.LBB18_23:
	s_or_b32 exec_lo, exec_lo, s1
	v_add_nc_u32_e32 v6, 24, v11
	s_mov_b32 s1, exec_lo
	s_delay_alu instid0(VALU_DEP_1)
	v_cmpx_le_i32_e64 s8, v6
	s_xor_b32 s1, exec_lo, s1
	s_cbranch_execz .LBB18_25
; %bb.24:
	v_mov_b32_e32 v6, 0
	s_delay_alu instid0(VALU_DEP_1)
	v_mov_b32_e32 v7, v6
	v_mov_b32_e32 v8, v6
	;; [unrolled: 1-line block ×3, first 2 shown]
	ds_store_b128 v5, v[6:9] offset:12672
                                        ; implicit-def: $vgpr5
.LBB18_25:
	s_and_not1_saveexec_b32 s1, s1
	s_cbranch_execz .LBB18_27
; %bb.26:
	s_mul_i32 s16, s18, 24
	v_add_nc_u32_e32 v5, 0x3180, v5
	s_ashr_i32 s17, s16, 31
	s_delay_alu instid0(SALU_CYCLE_1) | instskip(NEXT) | instid1(SALU_CYCLE_1)
	s_lshl_b64 s[16:17], s[16:17], 4
	v_add_co_u32 v6, vcc_lo, v2, s16
	v_add_co_ci_u32_e32 v7, vcc_lo, s17, v3, vcc_lo
	global_load_b128 v[6:9], v[6:7], off
	s_waitcnt vmcnt(0)
	ds_store_2addr_b64 v5, v[6:7], v[8:9] offset1:1
.LBB18_27:
	s_or_b32 exec_lo, exec_lo, s1
	v_add_co_u32 v2, vcc_lo, v2, v13
	v_add_co_ci_u32_e32 v3, vcc_lo, 0, v3, vcc_lo
	s_delay_alu instid0(VALU_DEP_2) | instskip(NEXT) | instid1(VALU_DEP_2)
	v_sub_co_u32 v2, vcc_lo, v2, s4
	v_subrev_co_ci_u32_e32 v3, vcc_lo, s5, v3, vcc_lo
	s_delay_alu instid0(VALU_DEP_2) | instskip(NEXT) | instid1(VALU_DEP_2)
	v_add_co_u32 v2, vcc_lo, v2, 16
	v_add_co_ci_u32_e32 v3, vcc_lo, 0, v3, vcc_lo
	s_delay_alu instid0(VALU_DEP_2) | instskip(NEXT) | instid1(VALU_DEP_2)
	v_cndmask_b32_e64 v5, v2, v0, s0
	v_cndmask_b32_e64 v6, v3, v1, s0
	s_branch .LBB18_30
.LBB18_28:
                                        ; implicit-def: $vgpr5_vgpr6
	s_and_b32 vcc_lo, exec_lo, s3
	s_cbranch_vccz .LBB18_30
; %bb.29:
	s_lshl_b32 s0, s18, 3
	s_ashr_i32 s19, s18, 31
	s_ashr_i32 s1, s0, 31
	s_delay_alu instid0(SALU_CYCLE_1) | instskip(NEXT) | instid1(SALU_CYCLE_1)
	s_lshl_b64 s[0:1], s[0:1], 4
	v_add_co_u32 v2, vcc_lo, v0, s0
	v_add_co_ci_u32_e32 v3, vcc_lo, s1, v1, vcc_lo
	s_lshl_b64 s[0:1], s[18:19], 7
	s_delay_alu instid0(VALU_DEP_2) | instid1(SALU_CYCLE_1)
	v_add_co_u32 v5, vcc_lo, v2, s0
	s_delay_alu instid0(VALU_DEP_2) | instskip(NEXT) | instid1(VALU_DEP_2)
	v_add_co_ci_u32_e32 v6, vcc_lo, s1, v3, vcc_lo
	v_add_co_u32 v22, vcc_lo, v5, s0
	s_delay_alu instid0(VALU_DEP_2)
	v_add_co_ci_u32_e32 v23, vcc_lo, s1, v6, vcc_lo
	s_clause 0x1
	global_load_b128 v[7:10], v[0:1], off
	global_load_b128 v[14:17], v[2:3], off
	;; [unrolled: 1-line block ×4, first 2 shown]
	v_add_lshl_u32 v2, v12, v4, 4
	v_dual_mov_b32 v6, v1 :: v_dual_mov_b32 v5, v0
	s_delay_alu instid0(VALU_DEP_2)
	v_add_nc_u32_e32 v3, 0x1080, v2
	v_add_nc_u32_e32 v26, 0x2100, v2
	;; [unrolled: 1-line block ×3, first 2 shown]
	s_waitcnt vmcnt(3)
	ds_store_2addr_b64 v2, v[7:8], v[9:10] offset1:1
	s_waitcnt vmcnt(2)
	ds_store_2addr_b64 v3, v[14:15], v[16:17] offset1:1
	;; [unrolled: 2-line block ×4, first 2 shown]
.LBB18_30:
	v_lshlrev_b32_e32 v16, 2, v11
	s_waitcnt lgkmcnt(0)
	s_waitcnt_vscnt null, 0x0
	s_barrier
	buffer_gl0_inv
	v_cmp_le_u32_e64 s1, v16, v4
	s_delay_alu instid0(VALU_DEP_1) | instskip(NEXT) | instid1(SALU_CYCLE_1)
	s_and_saveexec_b32 s0, s1
	s_xor_b32 s0, exec_lo, s0
	s_cbranch_execz .LBB18_34
; %bb.31:
	s_mov_b32 s3, exec_lo
	v_cmpx_eq_u32_e64 v16, v4
	s_cbranch_execz .LBB18_33
; %bb.32:
	v_mul_u32_u24_e32 v1, 34, v4
	v_mov_b32_e32 v0, 0
	s_delay_alu instid0(VALU_DEP_1)
	v_dual_mov_b32 v1, v0 :: v_dual_lshlrev_b32 v2, 4, v1
	ds_store_b64 v2, v[0:1] offset:8
.LBB18_33:
	s_or_b32 exec_lo, exec_lo, s3
.LBB18_34:
	s_or_saveexec_b32 s0, s0
	v_mul_u32_u24_e32 v14, 33, v4
	v_mul_u32_u24_e32 v1, 0x84, v11
	s_delay_alu instid0(VALU_DEP_2)
	v_add_lshl_u32 v9, v16, v14, 4
	s_xor_b32 exec_lo, exec_lo, s0
	s_cbranch_execz .LBB18_36
; %bb.35:
	s_delay_alu instid0(VALU_DEP_2)
	v_add_lshl_u32 v0, v1, v4, 4
	ds_load_b128 v[17:20], v0
	s_waitcnt lgkmcnt(0)
	v_xor_b32_e32 v20, 0x80000000, v20
	ds_store_b128 v9, v[17:20]
.LBB18_36:
	s_or_b32 exec_lo, exec_lo, s0
	v_or_b32_e32 v10, 1, v16
	v_cmp_ge_u32_e64 s3, v16, v4
	s_delay_alu instid0(VALU_DEP_2) | instskip(NEXT) | instid1(VALU_DEP_2)
	v_mul_u32_u24_e32 v0, 33, v10
	s_and_saveexec_b32 s0, s3
	s_delay_alu instid0(SALU_CYCLE_1)
	s_xor_b32 s0, exec_lo, s0
	s_cbranch_execz .LBB18_38
; %bb.37:
	s_delay_alu instid0(VALU_DEP_1)
	v_add_lshl_u32 v2, v0, v4, 4
	ds_load_b128 v[17:20], v2
	s_waitcnt lgkmcnt(0)
	v_xor_b32_e32 v20, 0x80000000, v20
	ds_store_b128 v9, v[17:20] offset:16
.LBB18_38:
	s_and_not1_saveexec_b32 s0, s0
	s_cbranch_execz .LBB18_42
; %bb.39:
	s_mov_b32 s4, exec_lo
	v_cmpx_eq_u32_e64 v10, v4
	s_cbranch_execz .LBB18_41
; %bb.40:
	v_mul_u32_u24_e32 v3, 34, v4
	s_delay_alu instid0(VALU_DEP_1) | instskip(NEXT) | instid1(VALU_DEP_1)
	v_dual_mov_b32 v2, 0 :: v_dual_lshlrev_b32 v7, 4, v3
	v_mov_b32_e32 v3, v2
	ds_store_b64 v7, v[2:3] offset:8
.LBB18_41:
	s_or_b32 exec_lo, exec_lo, s4
.LBB18_42:
	s_delay_alu instid0(SALU_CYCLE_1) | instskip(SKIP_1) | instid1(VALU_DEP_1)
	s_or_b32 exec_lo, exec_lo, s0
	v_or_b32_e32 v17, 2, v16
	v_cmp_le_u32_e64 s4, v17, v4
	s_delay_alu instid0(VALU_DEP_1) | instskip(NEXT) | instid1(SALU_CYCLE_1)
	s_and_saveexec_b32 s0, s4
	s_xor_b32 s0, exec_lo, s0
	s_cbranch_execz .LBB18_46
; %bb.43:
	s_mov_b32 s5, exec_lo
	v_cmpx_eq_u32_e64 v17, v4
	s_cbranch_execz .LBB18_45
; %bb.44:
	v_mul_u32_u24_e32 v3, 34, v4
	s_delay_alu instid0(VALU_DEP_1) | instskip(NEXT) | instid1(VALU_DEP_1)
	v_dual_mov_b32 v2, 0 :: v_dual_lshlrev_b32 v7, 4, v3
	v_mov_b32_e32 v3, v2
	ds_store_b64 v7, v[2:3] offset:8
.LBB18_45:
	s_or_b32 exec_lo, exec_lo, s5
.LBB18_46:
	s_and_not1_saveexec_b32 s0, s0
	s_cbranch_execz .LBB18_48
; %bb.47:
	v_mul_u32_u24_e32 v2, 33, v17
	s_delay_alu instid0(VALU_DEP_1)
	v_add_lshl_u32 v2, v2, v4, 4
	ds_load_b128 v[18:21], v2
	s_waitcnt lgkmcnt(0)
	v_xor_b32_e32 v21, 0x80000000, v21
	ds_store_b128 v9, v[18:21] offset:32
.LBB18_48:
	s_or_b32 exec_lo, exec_lo, s0
	v_or_b32_e32 v18, 3, v16
	s_delay_alu instid0(VALU_DEP_1) | instskip(NEXT) | instid1(VALU_DEP_1)
	v_cmp_le_u32_e64 s5, v18, v4
	s_and_saveexec_b32 s0, s5
	s_delay_alu instid0(SALU_CYCLE_1)
	s_xor_b32 s0, exec_lo, s0
	s_cbranch_execz .LBB18_52
; %bb.49:
	s_mov_b32 s6, exec_lo
	v_cmpx_eq_u32_e64 v18, v4
	s_cbranch_execz .LBB18_51
; %bb.50:
	v_mul_u32_u24_e32 v3, 34, v4
	s_delay_alu instid0(VALU_DEP_1) | instskip(NEXT) | instid1(VALU_DEP_1)
	v_dual_mov_b32 v2, 0 :: v_dual_lshlrev_b32 v7, 4, v3
	v_mov_b32_e32 v3, v2
	ds_store_b64 v7, v[2:3] offset:8
.LBB18_51:
	s_or_b32 exec_lo, exec_lo, s6
.LBB18_52:
	s_and_not1_saveexec_b32 s0, s0
	s_cbranch_execz .LBB18_54
; %bb.53:
	v_mul_u32_u24_e32 v2, 33, v18
	s_delay_alu instid0(VALU_DEP_1)
	v_add_lshl_u32 v2, v2, v4, 4
	ds_load_b128 v[19:22], v2
	s_waitcnt lgkmcnt(0)
	v_xor_b32_e32 v22, 0x80000000, v22
	ds_store_b128 v9, v[19:22] offset:48
.LBB18_54:
	s_or_b32 exec_lo, exec_lo, s0
	v_add_lshl_u32 v15, v1, v4, 4
	v_lshlrev_b32_e32 v19, 4, v16
	s_waitcnt lgkmcnt(0)
	s_barrier
	buffer_gl0_inv
	ds_load_b128 v[20:23], v15
	ds_load_b128 v[24:27], v19 offset:18176
	v_add_lshl_u32 v45, v0, v4, 4
	ds_load_b128 v[0:3], v19 offset:18192
	ds_load_b128 v[28:31], v45
	v_cmp_gt_u32_e64 s0, 32, v42
	s_waitcnt lgkmcnt(2)
	v_mul_f64 v[7:8], v[26:27], v[22:23]
	v_mul_f64 v[22:23], v[24:25], v[22:23]
	s_waitcnt lgkmcnt(0)
	v_mul_f64 v[34:35], v[2:3], v[30:31]
	v_mul_f64 v[40:41], v[0:1], v[30:31]
	s_delay_alu instid0(VALU_DEP_4) | instskip(NEXT) | instid1(VALU_DEP_4)
	v_fma_f64 v[7:8], v[24:25], v[20:21], -v[7:8]
	v_fma_f64 v[43:44], v[26:27], v[20:21], v[22:23]
	ds_load_b128 v[20:23], v45 offset:528
	ds_load_b128 v[24:27], v19 offset:18208
	;; [unrolled: 1-line block ×4, first 2 shown]
	s_waitcnt lgkmcnt(0)
	s_barrier
	v_fma_f64 v[0:1], v[0:1], v[28:29], -v[34:35]
	v_fma_f64 v[2:3], v[2:3], v[28:29], v[40:41]
	buffer_gl0_inv
	v_mul_f64 v[50:51], v[26:27], v[22:23]
	v_mul_f64 v[22:23], v[24:25], v[22:23]
	;; [unrolled: 1-line block ×4, first 2 shown]
	v_add_f64 v[7:8], v[7:8], 0
	v_add_f64 v[28:29], v[43:44], 0
	v_add_lshl_u32 v44, v11, v14, 4
	v_fma_f64 v[24:25], v[24:25], v[20:21], -v[50:51]
	v_fma_f64 v[20:21], v[26:27], v[20:21], v[22:23]
	v_fma_f64 v[22:23], v[32:33], v[46:47], v[40:41]
	v_add_f64 v[0:1], v[7:8], v[0:1]
	v_add_f64 v[2:3], v[28:29], v[2:3]
	v_fma_f64 v[7:8], v[30:31], v[46:47], -v[34:35]
	s_delay_alu instid0(VALU_DEP_3) | instskip(NEXT) | instid1(VALU_DEP_3)
	v_add_f64 v[0:1], v[0:1], v[24:25]
	v_add_f64 v[2:3], v[2:3], v[20:21]
	s_delay_alu instid0(VALU_DEP_2) | instskip(SKIP_1) | instid1(VALU_DEP_3)
	v_add_f64 v[20:21], v[0:1], v[7:8]
	v_mov_b32_e32 v0, 0
	v_add_f64 v[22:23], v[2:3], v[22:23]
	v_mov_b32_e32 v1, 0
	v_lshlrev_b32_e32 v43, 4, v14
	s_delay_alu instid0(VALU_DEP_2)
	v_dual_mov_b32 v3, v1 :: v_dual_mov_b32 v2, v0
	ds_store_b128 v44, v[20:23]
	s_waitcnt lgkmcnt(0)
	s_barrier
	buffer_gl0_inv
	s_and_saveexec_b32 s6, s0
	s_cbranch_execz .LBB18_56
; %bb.55:
	ds_load_b128 v[0:3], v43
	ds_load_b128 v[20:23], v43 offset:16
	s_waitcnt lgkmcnt(0)
	v_add_f64 v[7:8], v[20:21], v[0:1]
	v_add_f64 v[24:25], v[22:23], v[2:3]
	ds_load_b128 v[0:3], v43 offset:32
	ds_load_b128 v[20:23], v43 offset:48
	s_waitcnt lgkmcnt(1)
	v_add_f64 v[0:1], v[7:8], v[0:1]
	v_add_f64 v[2:3], v[24:25], v[2:3]
	s_waitcnt lgkmcnt(0)
	s_delay_alu instid0(VALU_DEP_2) | instskip(NEXT) | instid1(VALU_DEP_2)
	v_add_f64 v[7:8], v[0:1], v[20:21]
	v_add_f64 v[24:25], v[2:3], v[22:23]
	ds_load_b128 v[0:3], v43 offset:64
	ds_load_b128 v[20:23], v43 offset:80
	s_waitcnt lgkmcnt(1)
	v_add_f64 v[0:1], v[7:8], v[0:1]
	v_add_f64 v[2:3], v[24:25], v[2:3]
	s_waitcnt lgkmcnt(0)
	s_delay_alu instid0(VALU_DEP_2) | instskip(NEXT) | instid1(VALU_DEP_2)
	;; [unrolled: 9-line block ×3, first 2 shown]
	v_add_f64 v[0:1], v[0:1], v[20:21]
	v_add_f64 v[2:3], v[2:3], v[22:23]
.LBB18_56:
	s_or_b32 exec_lo, exec_lo, s6
	s_lshl_b32 s20, s18, 5
	s_delay_alu instid0(SALU_CYCLE_1)
	s_ashr_i32 s21, s20, 31
	s_barrier
	s_lshl_b64 s[16:17], s[20:21], 4
	buffer_gl0_inv
	v_add_co_u32 v20, vcc_lo, v5, s16
	v_add_co_ci_u32_e32 v21, vcc_lo, s17, v6, vcc_lo
	s_delay_alu instid0(VALU_DEP_2) | instskip(NEXT) | instid1(VALU_DEP_2)
	v_add_co_u32 v7, vcc_lo, 0x200, v20
	v_add_co_ci_u32_e32 v8, vcc_lo, 0, v21, vcc_lo
	s_and_b32 vcc_lo, exec_lo, s13
	s_cbranch_vccz .LBB18_74
; %bb.57:
	s_delay_alu instid0(VALU_DEP_2)
	v_sub_co_u32 v5, vcc_lo, v7, v13
	s_ashr_i32 s9, s8, 31
	v_subrev_co_ci_u32_e32 v6, vcc_lo, 0, v8, vcc_lo
	s_lshl_b64 s[22:23], s[8:9], 4
	v_or_b32_e32 v22, 32, v4
	v_add_co_u32 v5, vcc_lo, v5, s22
	s_delay_alu instid0(VALU_DEP_3) | instskip(SKIP_1) | instid1(VALU_DEP_2)
	v_add_co_ci_u32_e32 v6, vcc_lo, s23, v6, vcc_lo
	s_sub_i32 s9, s8, 32
	v_add_co_u32 v5, vcc_lo, 0xfffffdf0, v5
	s_delay_alu instid0(VALU_DEP_2) | instskip(SKIP_3) | instid1(VALU_DEP_4)
	v_add_co_ci_u32_e32 v6, vcc_lo, -1, v6, vcc_lo
	v_cmp_gt_i32_e32 vcc_lo, s8, v22
	v_cmp_le_i32_e64 s6, s9, v11
	v_add_lshl_u32 v22, v12, v4, 4
	v_dual_cndmask_b32 v6, v6, v8 :: v_dual_cndmask_b32 v5, v5, v7
	s_delay_alu instid0(VALU_DEP_3) | instskip(NEXT) | instid1(SALU_CYCLE_1)
	s_and_saveexec_b32 s19, s6
	s_xor_b32 s6, exec_lo, s19
	s_cbranch_execz .LBB18_59
; %bb.58:
	v_mov_b32_e32 v23, 0
	s_delay_alu instid0(VALU_DEP_1)
	v_mov_b32_e32 v24, v23
	v_mov_b32_e32 v25, v23
	;; [unrolled: 1-line block ×3, first 2 shown]
	ds_store_b128 v22, v[23:26]
.LBB18_59:
	s_and_not1_saveexec_b32 s6, s6
	s_cbranch_execz .LBB18_61
; %bb.60:
	global_load_b128 v[23:26], v[5:6], off
	s_waitcnt vmcnt(0)
	ds_store_2addr_b64 v22, v[23:24], v[25:26] offset1:1
.LBB18_61:
	s_or_b32 exec_lo, exec_lo, s6
	v_add_nc_u32_e32 v23, 8, v11
	s_delay_alu instid0(VALU_DEP_1) | instskip(NEXT) | instid1(VALU_DEP_1)
	v_cmp_le_i32_e64 s6, s9, v23
	s_and_saveexec_b32 s19, s6
	s_delay_alu instid0(SALU_CYCLE_1)
	s_xor_b32 s6, exec_lo, s19
	s_cbranch_execz .LBB18_63
; %bb.62:
	v_mul_u32_u24_e32 v24, 33, v23
	v_mov_b32_e32 v23, 0
	s_delay_alu instid0(VALU_DEP_2) | instskip(NEXT) | instid1(VALU_DEP_2)
	v_add_lshl_u32 v27, v24, v4, 4
	v_mov_b32_e32 v24, v23
	v_mov_b32_e32 v25, v23
	;; [unrolled: 1-line block ×3, first 2 shown]
	ds_store_b128 v27, v[23:26]
.LBB18_63:
	s_and_not1_saveexec_b32 s19, s6
	s_cbranch_execz .LBB18_65
; %bb.64:
	s_lshl_b32 s30, s18, 3
	v_add_nc_u32_e32 v27, 0x1080, v22
	s_ashr_i32 s31, s30, 31
	s_delay_alu instid0(SALU_CYCLE_1) | instskip(NEXT) | instid1(SALU_CYCLE_1)
	s_lshl_b64 s[30:31], s[30:31], 4
	v_add_co_u32 v23, s6, v5, s30
	s_delay_alu instid0(VALU_DEP_1)
	v_add_co_ci_u32_e64 v24, s6, s31, v6, s6
	global_load_b128 v[23:26], v[23:24], off
	s_waitcnt vmcnt(0)
	ds_store_2addr_b64 v27, v[23:24], v[25:26] offset1:1
.LBB18_65:
	s_or_b32 exec_lo, exec_lo, s19
	v_add_nc_u32_e32 v23, 16, v11
	s_delay_alu instid0(VALU_DEP_1) | instskip(NEXT) | instid1(VALU_DEP_1)
	v_cmp_le_i32_e64 s6, s9, v23
	s_and_saveexec_b32 s19, s6
	s_delay_alu instid0(SALU_CYCLE_1)
	s_xor_b32 s6, exec_lo, s19
	s_cbranch_execz .LBB18_67
; %bb.66:
	v_mul_u32_u24_e32 v24, 33, v23
	v_mov_b32_e32 v23, 0
	s_delay_alu instid0(VALU_DEP_2) | instskip(NEXT) | instid1(VALU_DEP_2)
	v_add_lshl_u32 v27, v24, v4, 4
	v_mov_b32_e32 v24, v23
	v_mov_b32_e32 v25, v23
	v_mov_b32_e32 v26, v23
	ds_store_b128 v27, v[23:26]
.LBB18_67:
	s_and_not1_saveexec_b32 s19, s6
	s_cbranch_execz .LBB18_69
; %bb.68:
	s_lshl_b32 s30, s18, 4
	v_add_nc_u32_e32 v27, 0x2100, v22
	s_ashr_i32 s31, s30, 31
	s_delay_alu instid0(SALU_CYCLE_1) | instskip(NEXT) | instid1(SALU_CYCLE_1)
	s_lshl_b64 s[30:31], s[30:31], 4
	v_add_co_u32 v23, s6, v5, s30
	s_delay_alu instid0(VALU_DEP_1)
	v_add_co_ci_u32_e64 v24, s6, s31, v6, s6
	global_load_b128 v[23:26], v[23:24], off
	s_waitcnt vmcnt(0)
	ds_store_2addr_b64 v27, v[23:24], v[25:26] offset1:1
.LBB18_69:
	s_or_b32 exec_lo, exec_lo, s19
	v_add_nc_u32_e32 v23, 24, v11
	s_delay_alu instid0(VALU_DEP_1) | instskip(NEXT) | instid1(VALU_DEP_1)
	v_cmp_le_i32_e64 s6, s9, v23
	s_and_saveexec_b32 s9, s6
	s_delay_alu instid0(SALU_CYCLE_1)
	s_xor_b32 s6, exec_lo, s9
	s_cbranch_execz .LBB18_71
; %bb.70:
	v_mov_b32_e32 v23, 0
	s_delay_alu instid0(VALU_DEP_1)
	v_mov_b32_e32 v24, v23
	v_mov_b32_e32 v25, v23
	;; [unrolled: 1-line block ×3, first 2 shown]
	ds_store_b128 v22, v[23:26] offset:12672
                                        ; implicit-def: $vgpr22
.LBB18_71:
	s_and_not1_saveexec_b32 s9, s6
	s_cbranch_execz .LBB18_73
; %bb.72:
	s_mul_i32 s30, s18, 24
	v_add_nc_u32_e32 v22, 0x3180, v22
	s_ashr_i32 s31, s30, 31
	s_delay_alu instid0(SALU_CYCLE_1) | instskip(NEXT) | instid1(SALU_CYCLE_1)
	s_lshl_b64 s[30:31], s[30:31], 4
	v_add_co_u32 v23, s6, v5, s30
	s_delay_alu instid0(VALU_DEP_1)
	v_add_co_ci_u32_e64 v24, s6, s31, v6, s6
	global_load_b128 v[23:26], v[23:24], off
	s_waitcnt vmcnt(0)
	ds_store_2addr_b64 v22, v[23:24], v[25:26] offset1:1
.LBB18_73:
	s_or_b32 exec_lo, exec_lo, s9
	v_add_co_u32 v5, s6, v5, v13
	s_delay_alu instid0(VALU_DEP_1) | instskip(NEXT) | instid1(VALU_DEP_2)
	v_add_co_ci_u32_e64 v6, s6, 0, v6, s6
	v_sub_co_u32 v5, s6, v5, s22
	s_delay_alu instid0(VALU_DEP_1) | instskip(NEXT) | instid1(VALU_DEP_2)
	v_subrev_co_ci_u32_e64 v6, s6, s23, v6, s6
	v_add_co_u32 v5, s6, 0x210, v5
	s_delay_alu instid0(VALU_DEP_1) | instskip(NEXT) | instid1(VALU_DEP_1)
	v_add_co_ci_u32_e64 v6, s6, 0, v6, s6
	v_dual_cndmask_b32 v5, v5, v7 :: v_dual_cndmask_b32 v6, v6, v8
	s_branch .LBB18_76
.LBB18_74:
                                        ; implicit-def: $vgpr5_vgpr6
	s_cbranch_execz .LBB18_76
; %bb.75:
	s_lshl_b32 s22, s18, 3
	s_ashr_i32 s19, s18, 31
	s_ashr_i32 s23, s22, 31
	v_add_lshl_u32 v40, v12, v4, 4
	s_lshl_b64 s[22:23], s[22:23], 4
	s_delay_alu instid0(SALU_CYCLE_1) | instskip(SKIP_3) | instid1(VALU_DEP_3)
	v_add_co_u32 v5, vcc_lo, v20, s22
	v_add_co_ci_u32_e32 v6, vcc_lo, s23, v21, vcc_lo
	s_lshl_b64 s[22:23], s[18:19], 7
	v_add_nc_u32_e32 v46, 0x2100, v40
	v_add_co_u32 v28, vcc_lo, v5, s22
	s_delay_alu instid0(VALU_DEP_3) | instskip(SKIP_1) | instid1(VALU_DEP_3)
	v_add_co_ci_u32_e32 v29, vcc_lo, s23, v6, vcc_lo
	v_add_nc_u32_e32 v41, 0x1080, v40
	v_add_co_u32 v32, vcc_lo, v28, s22
	s_delay_alu instid0(VALU_DEP_3)
	v_add_co_ci_u32_e32 v33, vcc_lo, s23, v29, vcc_lo
	s_clause 0x3
	global_load_b128 v[20:23], v[7:8], off
	global_load_b128 v[24:27], v[5:6], off offset:512
	global_load_b128 v[28:31], v[28:29], off offset:512
	;; [unrolled: 1-line block ×3, first 2 shown]
	v_dual_mov_b32 v5, v7 :: v_dual_mov_b32 v6, v8
	v_add_nc_u32_e32 v47, 0x3180, v40
	s_waitcnt vmcnt(3)
	ds_store_2addr_b64 v40, v[20:21], v[22:23] offset1:1
	s_waitcnt vmcnt(2)
	ds_store_2addr_b64 v41, v[24:25], v[26:27] offset1:1
	;; [unrolled: 2-line block ×4, first 2 shown]
.LBB18_76:
	s_waitcnt lgkmcnt(0)
	s_barrier
	buffer_gl0_inv
	s_and_saveexec_b32 s6, s1
	s_delay_alu instid0(SALU_CYCLE_1)
	s_xor_b32 s1, exec_lo, s6
	s_cbranch_execnz .LBB18_105
; %bb.77:
	s_and_not1_saveexec_b32 s1, s1
	s_cbranch_execnz .LBB18_108
.LBB18_78:
	s_or_b32 exec_lo, exec_lo, s1
	s_and_saveexec_b32 s1, s3
	s_delay_alu instid0(SALU_CYCLE_1)
	s_xor_b32 s1, exec_lo, s1
	s_cbranch_execnz .LBB18_109
.LBB18_79:
	s_and_not1_saveexec_b32 s1, s1
	s_cbranch_execnz .LBB18_110
.LBB18_80:
	s_or_b32 exec_lo, exec_lo, s1
	s_and_saveexec_b32 s1, s4
	s_delay_alu instid0(SALU_CYCLE_1)
	s_xor_b32 s1, exec_lo, s1
	s_cbranch_execnz .LBB18_113
.LBB18_81:
	s_and_not1_saveexec_b32 s1, s1
	s_cbranch_execnz .LBB18_116
.LBB18_82:
	s_or_b32 exec_lo, exec_lo, s1
	s_and_saveexec_b32 s1, s5
	s_delay_alu instid0(SALU_CYCLE_1)
	s_xor_b32 s1, exec_lo, s1
	s_cbranch_execnz .LBB18_117
.LBB18_83:
	s_or_saveexec_b32 s1, s1
	v_add_nc_u32_e32 v16, 0x4700, v19
	s_xor_b32 exec_lo, exec_lo, s1
	s_cbranch_execz .LBB18_85
.LBB18_84:
	ds_load_b128 v[17:20], v45 offset:1056
	s_waitcnt lgkmcnt(0)
	v_xor_b32_e32 v20, 0x80000000, v20
	ds_store_b128 v9, v[17:20] offset:48
.LBB18_85:
	s_or_b32 exec_lo, exec_lo, s1
	s_waitcnt lgkmcnt(0)
	s_barrier
	buffer_gl0_inv
	ds_load_b128 v[7:10], v16 offset:512
	ds_load_b128 v[17:20], v15
	v_cmp_eq_u32_e64 s1, 1, v11
	s_waitcnt lgkmcnt(0)
	v_mul_f64 v[31:32], v[9:10], v[19:20]
	v_mul_f64 v[33:34], v[7:8], v[19:20]
	ds_load_b128 v[19:22], v45
	ds_load_b128 v[23:26], v16 offset:528
	ds_load_b128 v[27:30], v16 offset:544
	s_waitcnt lgkmcnt(1)
	v_mul_f64 v[40:41], v[25:26], v[21:22]
	v_mul_f64 v[21:22], v[23:24], v[21:22]
	v_fma_f64 v[46:47], v[7:8], v[17:18], -v[31:32]
	v_fma_f64 v[17:18], v[9:10], v[17:18], v[33:34]
	ds_load_b128 v[7:10], v45 offset:528
	ds_load_b128 v[31:34], v45 offset:1056
	s_waitcnt lgkmcnt(1)
	v_mul_f64 v[48:49], v[29:30], v[9:10]
	v_mul_f64 v[9:10], v[27:28], v[9:10]
	v_fma_f64 v[23:24], v[23:24], v[19:20], -v[40:41]
	v_fma_f64 v[21:22], v[25:26], v[19:20], v[21:22]
	v_add_f64 v[25:26], v[46:47], 0
	v_add_f64 v[40:41], v[17:18], 0
	ds_load_b128 v[17:20], v16 offset:560
	s_waitcnt lgkmcnt(0)
	s_barrier
	buffer_gl0_inv
	v_fma_f64 v[27:28], v[27:28], v[7:8], -v[48:49]
	v_mul_f64 v[46:47], v[19:20], v[33:34]
	v_mul_f64 v[33:34], v[17:18], v[33:34]
	v_fma_f64 v[7:8], v[29:30], v[7:8], v[9:10]
	v_add_f64 v[9:10], v[25:26], v[23:24]
	v_add_f64 v[21:22], v[40:41], v[21:22]
	v_fma_f64 v[17:18], v[17:18], v[31:32], -v[46:47]
	v_fma_f64 v[19:20], v[19:20], v[31:32], v[33:34]
	s_delay_alu instid0(VALU_DEP_4) | instskip(NEXT) | instid1(VALU_DEP_4)
	v_add_f64 v[9:10], v[9:10], v[27:28]
	v_add_f64 v[21:22], v[21:22], v[7:8]
	s_delay_alu instid0(VALU_DEP_2) | instskip(NEXT) | instid1(VALU_DEP_2)
	v_add_f64 v[7:8], v[9:10], v[17:18]
	v_add_f64 v[9:10], v[21:22], v[19:20]
	ds_store_b128 v44, v[7:10]
	s_waitcnt lgkmcnt(0)
	s_barrier
	buffer_gl0_inv
	s_and_saveexec_b32 s3, s1
	s_cbranch_execz .LBB18_87
; %bb.86:
	ds_load_b128 v[0:3], v43
	ds_load_b128 v[7:10], v43 offset:16
	s_waitcnt lgkmcnt(0)
	v_add_f64 v[17:18], v[7:8], v[0:1]
	v_add_f64 v[19:20], v[9:10], v[2:3]
	ds_load_b128 v[0:3], v43 offset:32
	ds_load_b128 v[7:10], v43 offset:48
	s_waitcnt lgkmcnt(1)
	v_add_f64 v[0:1], v[17:18], v[0:1]
	v_add_f64 v[2:3], v[19:20], v[2:3]
	s_waitcnt lgkmcnt(0)
	s_delay_alu instid0(VALU_DEP_2) | instskip(NEXT) | instid1(VALU_DEP_2)
	v_add_f64 v[17:18], v[0:1], v[7:8]
	v_add_f64 v[19:20], v[2:3], v[9:10]
	ds_load_b128 v[0:3], v43 offset:64
	ds_load_b128 v[7:10], v43 offset:80
	s_waitcnt lgkmcnt(1)
	v_add_f64 v[0:1], v[17:18], v[0:1]
	v_add_f64 v[2:3], v[19:20], v[2:3]
	s_waitcnt lgkmcnt(0)
	s_delay_alu instid0(VALU_DEP_2) | instskip(NEXT) | instid1(VALU_DEP_2)
	;; [unrolled: 9-line block ×3, first 2 shown]
	v_add_f64 v[0:1], v[0:1], v[7:8]
	v_add_f64 v[2:3], v[2:3], v[9:10]
.LBB18_87:
	s_or_b32 exec_lo, exec_lo, s3
	v_add_co_u32 v7, vcc_lo, 0xfffffe00, v5
	v_add_co_ci_u32_e32 v8, vcc_lo, -1, v6, vcc_lo
	s_and_b32 vcc_lo, exec_lo, s13
	s_barrier
	buffer_gl0_inv
	s_cbranch_vccz .LBB18_120
; %bb.88:
	v_sub_co_u32 v9, vcc_lo, v5, v13
	s_ashr_i32 s9, s8, 31
	v_subrev_co_ci_u32_e32 v10, vcc_lo, 0, v6, vcc_lo
	s_lshl_b64 s[4:5], s[8:9], 4
	s_sub_i32 s6, s8, 32
	v_add_co_u32 v9, vcc_lo, v9, s4
	s_delay_alu instid0(VALU_DEP_2) | instskip(SKIP_1) | instid1(VALU_DEP_3)
	v_add_co_ci_u32_e32 v10, vcc_lo, s5, v10, vcc_lo
	v_cmp_le_i32_e64 s3, s6, v11
	v_add_co_u32 v9, vcc_lo, 0xfffffdf0, v9
	s_delay_alu instid0(VALU_DEP_3) | instskip(SKIP_2) | instid1(VALU_DEP_3)
	v_add_co_ci_u32_e32 v10, vcc_lo, -1, v10, vcc_lo
	v_cmp_gt_i32_e32 vcc_lo, s8, v4
	v_add_lshl_u32 v20, v12, v4, 4
	v_dual_cndmask_b32 v10, v10, v8 :: v_dual_cndmask_b32 v9, v9, v7
	s_and_saveexec_b32 s9, s3
	s_delay_alu instid0(SALU_CYCLE_1)
	s_xor_b32 s3, exec_lo, s9
	s_cbranch_execz .LBB18_90
; %bb.89:
	v_mov_b32_e32 v21, 0
	s_delay_alu instid0(VALU_DEP_1)
	v_mov_b32_e32 v22, v21
	v_mov_b32_e32 v23, v21
	;; [unrolled: 1-line block ×3, first 2 shown]
	ds_store_b128 v20, v[21:24]
.LBB18_90:
	s_and_not1_saveexec_b32 s3, s3
	s_cbranch_execz .LBB18_92
; %bb.91:
	global_load_b128 v[21:24], v[9:10], off
	s_waitcnt vmcnt(0)
	ds_store_2addr_b64 v20, v[21:22], v[23:24] offset1:1
.LBB18_92:
	s_or_b32 exec_lo, exec_lo, s3
	v_add_nc_u32_e32 v19, 8, v11
	s_delay_alu instid0(VALU_DEP_1) | instskip(NEXT) | instid1(VALU_DEP_1)
	v_cmp_le_i32_e64 s3, s6, v19
	s_and_saveexec_b32 s9, s3
	s_delay_alu instid0(SALU_CYCLE_1)
	s_xor_b32 s3, exec_lo, s9
	s_cbranch_execz .LBB18_94
; %bb.93:
	v_mul_u32_u24_e32 v17, 33, v19
	v_mov_b32_e32 v21, 0
	s_delay_alu instid0(VALU_DEP_2) | instskip(NEXT) | instid1(VALU_DEP_2)
	v_add_lshl_u32 v17, v17, v4, 4
	v_mov_b32_e32 v22, v21
	v_mov_b32_e32 v23, v21
	;; [unrolled: 1-line block ×3, first 2 shown]
	ds_store_b128 v17, v[21:24]
.LBB18_94:
	s_and_not1_saveexec_b32 s9, s3
	s_cbranch_execz .LBB18_96
; %bb.95:
	s_lshl_b32 s22, s18, 3
	s_delay_alu instid0(SALU_CYCLE_1) | instskip(NEXT) | instid1(SALU_CYCLE_1)
	s_ashr_i32 s23, s22, 31
	s_lshl_b64 s[22:23], s[22:23], 4
	s_delay_alu instid0(SALU_CYCLE_1) | instskip(NEXT) | instid1(VALU_DEP_1)
	v_add_co_u32 v17, s3, v9, s22
	v_add_co_ci_u32_e64 v18, s3, s23, v10, s3
	global_load_b128 v[21:24], v[17:18], off
	v_add_nc_u32_e32 v17, 0x1080, v20
	s_waitcnt vmcnt(0)
	ds_store_2addr_b64 v17, v[21:22], v[23:24] offset1:1
.LBB18_96:
	s_or_b32 exec_lo, exec_lo, s9
	v_add_nc_u32_e32 v17, 16, v11
	s_delay_alu instid0(VALU_DEP_1) | instskip(NEXT) | instid1(VALU_DEP_1)
	v_cmp_le_i32_e64 s3, s6, v17
	s_and_saveexec_b32 s9, s3
	s_delay_alu instid0(SALU_CYCLE_1)
	s_xor_b32 s3, exec_lo, s9
	s_cbranch_execz .LBB18_98
; %bb.97:
	v_mul_u32_u24_e32 v18, 33, v17
	v_mov_b32_e32 v21, 0
	s_delay_alu instid0(VALU_DEP_2) | instskip(NEXT) | instid1(VALU_DEP_2)
	v_add_lshl_u32 v18, v18, v4, 4
	v_mov_b32_e32 v22, v21
	v_mov_b32_e32 v23, v21
	;; [unrolled: 1-line block ×3, first 2 shown]
	ds_store_b128 v18, v[21:24]
.LBB18_98:
	s_and_not1_saveexec_b32 s9, s3
	s_cbranch_execz .LBB18_100
; %bb.99:
	s_lshl_b32 s22, s18, 4
	v_add_nc_u32_e32 v18, 0x2100, v20
	s_ashr_i32 s23, s22, 31
	s_delay_alu instid0(SALU_CYCLE_1) | instskip(NEXT) | instid1(SALU_CYCLE_1)
	s_lshl_b64 s[22:23], s[22:23], 4
	v_add_co_u32 v21, s3, v9, s22
	s_delay_alu instid0(VALU_DEP_1)
	v_add_co_ci_u32_e64 v22, s3, s23, v10, s3
	global_load_b128 v[21:24], v[21:22], off
	s_waitcnt vmcnt(0)
	ds_store_2addr_b64 v18, v[21:22], v[23:24] offset1:1
.LBB18_100:
	s_or_b32 exec_lo, exec_lo, s9
	v_add_nc_u32_e32 v18, 24, v11
	s_delay_alu instid0(VALU_DEP_1) | instskip(NEXT) | instid1(VALU_DEP_1)
	v_cmp_le_i32_e64 s3, s6, v18
	s_and_saveexec_b32 s6, s3
	s_delay_alu instid0(SALU_CYCLE_1)
	s_xor_b32 s3, exec_lo, s6
	s_cbranch_execz .LBB18_102
; %bb.101:
	v_mov_b32_e32 v21, 0
	s_delay_alu instid0(VALU_DEP_1)
	v_mov_b32_e32 v22, v21
	v_mov_b32_e32 v23, v21
	;; [unrolled: 1-line block ×3, first 2 shown]
	ds_store_b128 v20, v[21:24] offset:12672
                                        ; implicit-def: $vgpr20
.LBB18_102:
	s_and_not1_saveexec_b32 s6, s3
	s_cbranch_execz .LBB18_104
; %bb.103:
	s_mul_i32 s22, s18, 24
	v_add_nc_u32_e32 v20, 0x3180, v20
	s_ashr_i32 s23, s22, 31
	s_delay_alu instid0(SALU_CYCLE_1) | instskip(NEXT) | instid1(SALU_CYCLE_1)
	s_lshl_b64 s[22:23], s[22:23], 4
	v_add_co_u32 v21, s3, v9, s22
	s_delay_alu instid0(VALU_DEP_1)
	v_add_co_ci_u32_e64 v22, s3, s23, v10, s3
	global_load_b128 v[21:24], v[21:22], off
	s_waitcnt vmcnt(0)
	ds_store_2addr_b64 v20, v[21:22], v[23:24] offset1:1
.LBB18_104:
	s_or_b32 exec_lo, exec_lo, s6
	v_add_co_u32 v9, s3, v9, v13
	s_delay_alu instid0(VALU_DEP_1) | instskip(NEXT) | instid1(VALU_DEP_2)
	v_add_co_ci_u32_e64 v10, s3, 0, v10, s3
	v_sub_co_u32 v9, s3, v9, s4
	s_delay_alu instid0(VALU_DEP_1) | instskip(NEXT) | instid1(VALU_DEP_2)
	v_subrev_co_ci_u32_e64 v10, s3, s5, v10, s3
	v_add_co_u32 v9, s3, v9, 16
	s_delay_alu instid0(VALU_DEP_1) | instskip(NEXT) | instid1(VALU_DEP_1)
	v_add_co_ci_u32_e64 v10, s3, 0, v10, s3
	v_dual_cndmask_b32 v40, v9, v7 :: v_dual_cndmask_b32 v41, v10, v8
	s_branch .LBB18_122
.LBB18_105:
	s_mov_b32 s6, exec_lo
	v_cmpx_eq_u32_e64 v16, v4
	s_cbranch_execz .LBB18_107
; %bb.106:
	v_mul_u32_u24_e32 v8, 34, v4
	s_delay_alu instid0(VALU_DEP_1) | instskip(NEXT) | instid1(VALU_DEP_1)
	v_dual_mov_b32 v7, 0 :: v_dual_lshlrev_b32 v16, 4, v8
	v_mov_b32_e32 v8, v7
	ds_store_b64 v16, v[7:8] offset:8
.LBB18_107:
	s_or_b32 exec_lo, exec_lo, s6
	s_and_not1_saveexec_b32 s1, s1
	s_cbranch_execz .LBB18_78
.LBB18_108:
	ds_load_b128 v[20:23], v15
	s_waitcnt lgkmcnt(0)
	v_xor_b32_e32 v23, 0x80000000, v23
	ds_store_b128 v9, v[20:23]
	s_or_b32 exec_lo, exec_lo, s1
	s_and_saveexec_b32 s1, s3
	s_delay_alu instid0(SALU_CYCLE_1)
	s_xor_b32 s1, exec_lo, s1
	s_cbranch_execz .LBB18_79
.LBB18_109:
	ds_load_b128 v[20:23], v45
                                        ; implicit-def: $vgpr10
	s_waitcnt lgkmcnt(0)
	v_xor_b32_e32 v23, 0x80000000, v23
	ds_store_b128 v9, v[20:23] offset:16
	s_and_not1_saveexec_b32 s1, s1
	s_cbranch_execz .LBB18_80
.LBB18_110:
	s_mov_b32 s3, exec_lo
	v_cmpx_eq_u32_e64 v10, v4
	s_cbranch_execz .LBB18_112
; %bb.111:
	v_mul_u32_u24_e32 v8, 34, v4
	s_delay_alu instid0(VALU_DEP_1) | instskip(NEXT) | instid1(VALU_DEP_1)
	v_dual_mov_b32 v7, 0 :: v_dual_lshlrev_b32 v10, 4, v8
	v_mov_b32_e32 v8, v7
	ds_store_b64 v10, v[7:8] offset:8
.LBB18_112:
	s_or_b32 exec_lo, exec_lo, s3
	s_delay_alu instid0(SALU_CYCLE_1) | instskip(SKIP_1) | instid1(SALU_CYCLE_1)
	s_or_b32 exec_lo, exec_lo, s1
	s_and_saveexec_b32 s1, s4
	s_xor_b32 s1, exec_lo, s1
	s_cbranch_execz .LBB18_81
.LBB18_113:
	s_mov_b32 s3, exec_lo
	v_cmpx_eq_u32_e64 v17, v4
	s_cbranch_execz .LBB18_115
; %bb.114:
	v_mul_u32_u24_e32 v8, 34, v4
	s_delay_alu instid0(VALU_DEP_1) | instskip(NEXT) | instid1(VALU_DEP_1)
	v_dual_mov_b32 v7, 0 :: v_dual_lshlrev_b32 v10, 4, v8
	v_mov_b32_e32 v8, v7
	ds_store_b64 v10, v[7:8] offset:8
.LBB18_115:
	s_or_b32 exec_lo, exec_lo, s3
	s_and_not1_saveexec_b32 s1, s1
	s_cbranch_execz .LBB18_82
.LBB18_116:
	ds_load_b128 v[20:23], v45 offset:528
	s_waitcnt lgkmcnt(0)
	v_xor_b32_e32 v23, 0x80000000, v23
	ds_store_b128 v9, v[20:23] offset:32
	s_or_b32 exec_lo, exec_lo, s1
	s_and_saveexec_b32 s1, s5
	s_delay_alu instid0(SALU_CYCLE_1)
	s_xor_b32 s1, exec_lo, s1
	s_cbranch_execz .LBB18_83
.LBB18_117:
	s_mov_b32 s3, exec_lo
	v_cmpx_eq_u32_e64 v18, v4
	s_cbranch_execz .LBB18_119
; %bb.118:
	v_mul_u32_u24_e32 v8, 34, v4
	v_mov_b32_e32 v7, 0
	s_delay_alu instid0(VALU_DEP_1)
	v_dual_mov_b32 v8, v7 :: v_dual_lshlrev_b32 v9, 4, v8
	ds_store_b64 v9, v[7:8] offset:8
.LBB18_119:
	s_or_b32 exec_lo, exec_lo, s3
                                        ; implicit-def: $vgpr9
	s_or_saveexec_b32 s1, s1
	v_add_nc_u32_e32 v16, 0x4700, v19
	s_xor_b32 exec_lo, exec_lo, s1
	s_cbranch_execnz .LBB18_84
	s_branch .LBB18_85
.LBB18_120:
                                        ; implicit-def: $vgpr40_vgpr41
                                        ; implicit-def: $vgpr19
                                        ; implicit-def: $vgpr17
                                        ; implicit-def: $vgpr18
	s_cbranch_execz .LBB18_122
; %bb.121:
	s_lshl_b32 s4, s18, 3
	s_ashr_i32 s19, s18, 31
	s_ashr_i32 s5, s4, 31
	v_add_lshl_u32 v4, v12, v4, 4
	s_lshl_b64 s[4:5], s[4:5], 4
	v_add_nc_u32_e32 v19, 8, v11
	v_add_co_u32 v5, vcc_lo, v5, s4
	v_add_co_ci_u32_e32 v6, vcc_lo, s5, v6, vcc_lo
	s_lshl_b64 s[4:5], s[18:19], 7
	v_dual_mov_b32 v41, v8 :: v_dual_mov_b32 v40, v7
	s_delay_alu instid0(VALU_DEP_3) | instskip(NEXT) | instid1(VALU_DEP_3)
	v_add_co_u32 v9, vcc_lo, v5, s4
	v_add_co_ci_u32_e32 v10, vcc_lo, s5, v6, vcc_lo
	s_delay_alu instid0(VALU_DEP_2) | instskip(NEXT) | instid1(VALU_DEP_2)
	v_add_co_u32 v17, vcc_lo, v9, s4
	v_add_co_ci_u32_e32 v18, vcc_lo, s5, v10, vcc_lo
	s_clause 0x3
	global_load_b128 v[20:23], v[7:8], off
	global_load_b128 v[24:27], v[5:6], off offset:-512
	global_load_b128 v[28:31], v[9:10], off offset:-512
	;; [unrolled: 1-line block ×3, first 2 shown]
	v_add_nc_u32_e32 v6, 0x2100, v4
	v_add_nc_u32_e32 v17, 16, v11
	;; [unrolled: 1-line block ×5, first 2 shown]
	s_waitcnt vmcnt(3)
	ds_store_2addr_b64 v4, v[20:21], v[22:23] offset1:1
	s_waitcnt vmcnt(2)
	ds_store_2addr_b64 v5, v[24:25], v[26:27] offset1:1
	;; [unrolled: 2-line block ×4, first 2 shown]
.LBB18_122:
	v_lshlrev_b32_e32 v8, 4, v11
	s_waitcnt lgkmcnt(0)
	s_barrier
	buffer_gl0_inv
	ds_load_b128 v[4:7], v44
	ds_load_b128 v[8:11], v8 offset:18176
	v_add_lshl_u32 v20, v19, v14, 4
	v_lshlrev_b32_e32 v23, 4, v19
	ds_load_b128 v[19:22], v20
	ds_load_b128 v[23:26], v23 offset:18176
	s_waitcnt lgkmcnt(2)
	v_mul_f64 v[12:13], v[6:7], v[10:11]
	v_mul_f64 v[6:7], v[6:7], v[8:9]
	s_waitcnt lgkmcnt(0)
	v_mul_f64 v[27:28], v[21:22], v[25:26]
	v_mul_f64 v[21:22], v[21:22], v[23:24]
	s_delay_alu instid0(VALU_DEP_4) | instskip(NEXT) | instid1(VALU_DEP_4)
	v_fma_f64 v[12:13], v[4:5], v[8:9], v[12:13]
	v_fma_f64 v[29:30], v[4:5], v[10:11], -v[6:7]
	v_add_lshl_u32 v4, v17, v14, 4
	v_lshlrev_b32_e32 v8, 4, v17
	v_add_lshl_u32 v14, v18, v14, 4
	ds_load_b128 v[4:7], v4
	ds_load_b128 v[8:11], v8 offset:18176
	v_fma_f64 v[27:28], v[19:20], v[23:24], v[27:28]
	v_fma_f64 v[25:26], v[19:20], v[25:26], -v[21:22]
	v_lshlrev_b32_e32 v21, 4, v18
	ds_load_b128 v[17:20], v14
	ds_load_b128 v[21:24], v21 offset:18176
	s_waitcnt lgkmcnt(2)
	v_mul_f64 v[31:32], v[6:7], v[10:11]
	v_mul_f64 v[6:7], v[6:7], v[8:9]
	s_waitcnt lgkmcnt(0)
	v_mul_f64 v[33:34], v[19:20], v[23:24]
	v_mul_f64 v[19:20], v[19:20], v[21:22]
	v_add_f64 v[12:13], v[12:13], 0
	v_add_f64 v[29:30], v[29:30], 0
	v_fma_f64 v[8:9], v[4:5], v[8:9], v[31:32]
	v_fma_f64 v[4:5], v[4:5], v[10:11], -v[6:7]
	s_delay_alu instid0(VALU_DEP_4) | instskip(NEXT) | instid1(VALU_DEP_4)
	v_add_f64 v[6:7], v[12:13], v[27:28]
	v_add_f64 v[10:11], v[29:30], v[25:26]
	v_fma_f64 v[12:13], v[17:18], v[21:22], v[33:34]
	v_fma_f64 v[17:18], v[17:18], v[23:24], -v[19:20]
	s_delay_alu instid0(VALU_DEP_4) | instskip(NEXT) | instid1(VALU_DEP_4)
	v_add_f64 v[6:7], v[6:7], v[8:9]
	v_add_f64 v[4:5], v[10:11], v[4:5]
	s_delay_alu instid0(VALU_DEP_2) | instskip(NEXT) | instid1(VALU_DEP_2)
	v_add_f64 v[46:47], v[6:7], v[12:13]
	v_add_f64 v[48:49], v[4:5], v[17:18]
	ds_load_b128 v[20:23], v16 offset:528
	ds_load_b128 v[8:11], v16 offset:544
	;; [unrolled: 1-line block ×3, first 2 shown]
	ds_load_b128 v[32:35], v15
	ds_load_b128 v[4:7], v16 offset:560
	ds_load_b128 v[24:27], v45
	ds_load_b128 v[16:19], v45 offset:528
	ds_load_b128 v[12:15], v45 offset:1056
	s_waitcnt lgkmcnt(0)
	s_barrier
	buffer_gl0_inv
	ds_store_b128 v44, v[46:49]
	s_waitcnt lgkmcnt(0)
	s_barrier
	buffer_gl0_inv
	s_and_saveexec_b32 s3, s1
	s_cbranch_execz .LBB18_124
; %bb.123:
	ds_load_b128 v[45:48], v43
	ds_load_b128 v[49:52], v43 offset:16
	s_waitcnt lgkmcnt(1)
	v_add_f64 v[0:1], v[0:1], v[45:46]
	v_add_f64 v[2:3], v[2:3], v[47:48]
	s_waitcnt lgkmcnt(0)
	s_delay_alu instid0(VALU_DEP_2) | instskip(NEXT) | instid1(VALU_DEP_2)
	v_add_f64 v[49:50], v[0:1], v[49:50]
	v_add_f64 v[51:52], v[2:3], v[51:52]
	ds_load_b128 v[0:3], v43 offset:32
	ds_load_b128 v[45:48], v43 offset:48
	s_waitcnt lgkmcnt(1)
	v_add_f64 v[0:1], v[49:50], v[0:1]
	v_add_f64 v[2:3], v[51:52], v[2:3]
	s_waitcnt lgkmcnt(0)
	s_delay_alu instid0(VALU_DEP_2) | instskip(NEXT) | instid1(VALU_DEP_2)
	v_add_f64 v[49:50], v[0:1], v[45:46]
	v_add_f64 v[51:52], v[2:3], v[47:48]
	ds_load_b128 v[0:3], v43 offset:64
	;; [unrolled: 9-line block ×3, first 2 shown]
	ds_load_b128 v[45:48], v43 offset:112
	s_waitcnt lgkmcnt(1)
	v_add_f64 v[0:1], v[49:50], v[0:1]
	v_add_f64 v[2:3], v[51:52], v[2:3]
	s_waitcnt lgkmcnt(0)
	s_delay_alu instid0(VALU_DEP_2) | instskip(NEXT) | instid1(VALU_DEP_2)
	v_add_f64 v[0:1], v[0:1], v[45:46]
	v_add_f64 v[2:3], v[2:3], v[47:48]
.LBB18_124:
	s_or_b32 exec_lo, exec_lo, s3
	v_mul_f64 v[45:46], v[30:31], v[34:35]
	v_mul_f64 v[34:35], v[28:29], v[34:35]
	;; [unrolled: 1-line block ×4, first 2 shown]
	s_barrier
	buffer_gl0_inv
	v_fma_f64 v[28:29], v[28:29], v[32:33], -v[45:46]
	v_fma_f64 v[30:31], v[30:31], v[32:33], v[34:35]
	v_mul_f64 v[32:33], v[10:11], v[18:19]
	v_mul_f64 v[18:19], v[8:9], v[18:19]
	v_fma_f64 v[20:21], v[20:21], v[24:25], -v[47:48]
	v_fma_f64 v[22:23], v[22:23], v[24:25], v[26:27]
	v_add_f64 v[24:25], v[28:29], 0
	v_add_f64 v[26:27], v[30:31], 0
	v_mul_f64 v[28:29], v[6:7], v[14:15]
	v_mul_f64 v[14:15], v[4:5], v[14:15]
	v_fma_f64 v[8:9], v[8:9], v[16:17], -v[32:33]
	v_fma_f64 v[10:11], v[10:11], v[16:17], v[18:19]
	v_add_f64 v[16:17], v[24:25], v[20:21]
	v_add_f64 v[18:19], v[26:27], v[22:23]
	v_fma_f64 v[4:5], v[4:5], v[12:13], -v[28:29]
	v_fma_f64 v[6:7], v[6:7], v[12:13], v[14:15]
	s_delay_alu instid0(VALU_DEP_4) | instskip(NEXT) | instid1(VALU_DEP_4)
	v_add_f64 v[8:9], v[16:17], v[8:9]
	v_add_f64 v[10:11], v[18:19], v[10:11]
	s_delay_alu instid0(VALU_DEP_2) | instskip(NEXT) | instid1(VALU_DEP_2)
	v_add_f64 v[4:5], v[8:9], v[4:5]
	v_add_f64 v[6:7], v[10:11], v[6:7]
	ds_store_b128 v44, v[4:7]
	s_waitcnt lgkmcnt(0)
	s_barrier
	buffer_gl0_inv
	s_and_saveexec_b32 s1, s0
	s_cbranch_execz .LBB18_126
; %bb.125:
	ds_load_b128 v[4:7], v43
	ds_load_b128 v[8:11], v43 offset:16
	s_waitcnt lgkmcnt(1)
	v_add_f64 v[0:1], v[0:1], v[4:5]
	v_add_f64 v[2:3], v[2:3], v[6:7]
	s_waitcnt lgkmcnt(0)
	s_delay_alu instid0(VALU_DEP_2) | instskip(NEXT) | instid1(VALU_DEP_2)
	v_add_f64 v[8:9], v[0:1], v[8:9]
	v_add_f64 v[10:11], v[2:3], v[10:11]
	ds_load_b128 v[0:3], v43 offset:32
	ds_load_b128 v[4:7], v43 offset:48
	s_waitcnt lgkmcnt(1)
	v_add_f64 v[0:1], v[8:9], v[0:1]
	v_add_f64 v[2:3], v[10:11], v[2:3]
	s_waitcnt lgkmcnt(0)
	s_delay_alu instid0(VALU_DEP_2) | instskip(NEXT) | instid1(VALU_DEP_2)
	v_add_f64 v[8:9], v[0:1], v[4:5]
	v_add_f64 v[10:11], v[2:3], v[6:7]
	ds_load_b128 v[0:3], v43 offset:64
	ds_load_b128 v[4:7], v43 offset:80
	s_waitcnt lgkmcnt(1)
	v_add_f64 v[0:1], v[8:9], v[0:1]
	v_add_f64 v[2:3], v[10:11], v[2:3]
	s_waitcnt lgkmcnt(0)
	s_delay_alu instid0(VALU_DEP_2) | instskip(NEXT) | instid1(VALU_DEP_2)
	v_add_f64 v[8:9], v[0:1], v[4:5]
	v_add_f64 v[10:11], v[2:3], v[6:7]
	ds_load_b128 v[0:3], v43 offset:96
	ds_load_b128 v[4:7], v43 offset:112
	s_waitcnt lgkmcnt(1)
	v_add_f64 v[0:1], v[8:9], v[0:1]
	v_add_f64 v[2:3], v[10:11], v[2:3]
	s_waitcnt lgkmcnt(0)
	s_delay_alu instid0(VALU_DEP_2) | instskip(NEXT) | instid1(VALU_DEP_2)
	v_add_f64 v[0:1], v[0:1], v[4:5]
	v_add_f64 v[2:3], v[2:3], v[6:7]
.LBB18_126:
	s_or_b32 exec_lo, exec_lo, s1
	s_mul_hi_u32 s0, s24, s15
	s_mul_i32 s25, s25, s15
	s_mul_i32 s1, s24, s15
	s_add_i32 s0, s0, s25
	s_mul_hi_u32 s4, s1, s26
	s_mul_i32 s3, s0, s26
	s_mul_i32 s0, s1, s26
	s_add_i32 s1, s4, s3
	s_mul_hi_i32 s5, s24, s14
	s_lshl_b64 s[0:1], s[0:1], 4
	s_mul_i32 s4, s24, s14
	s_add_u32 s3, s10, s0
	s_addc_u32 s6, s11, s1
	s_lshl_b64 s[0:1], s[4:5], 4
	v_lshlrev_b32_e32 v13, 4, v170
	s_add_u32 s3, s3, s0
	s_addc_u32 s9, s6, s1
	s_add_i32 s1, s14, 1
	s_delay_alu instid0(SALU_CYCLE_1)
	s_cmp_ge_u32 s1, s26
	s_barrier
	buffer_gl0_inv
	s_cbranch_scc1 .LBB18_184
; %bb.127:
	scratch_load_b32 v12, off, off offset:8 ; 4-byte Folded Reload
	v_and_b32_e32 v8, 48, v170
	v_add_nc_u32_e32 v9, 0x4300, v13
	s_mul_i32 s4, s12, s7
	v_and_b32_e32 v6, 15, v170
	v_lshrrev_b32_e32 v7, 4, v42
	s_ashr_i32 s5, s4, 31
	scratch_store_b32 off, v9, off          ; 4-byte Folded Spill
	v_lshlrev_b32_e32 v9, 4, v8
	v_or_b32_e32 v10, 0xf0, v13
	s_lshl_b64 s[4:5], s[4:5], 4
	v_lshlrev_b32_e32 v11, 6, v7
	v_sub_co_u32 v176, vcc_lo, v36, s4
	v_mad_u32_u24 v180, 0x430, v6, v9
	v_mad_u32_u24 v9, 0x430, v6, v10
	v_mul_i32_i24_e32 v10, 0xffffffd0, v7
	v_add_nc_u32_e32 v7, s12, v8
	v_subrev_co_ci_u32_e32 v177, vcc_lo, s5, v37, vcc_lo
	v_sub_co_u32 v200, vcc_lo, 0, v38
	v_sub_co_ci_u32_e32 v201, vcc_lo, 0, v39, vcc_lo
	v_mad_u32_u24 v182, 0x430, v6, v11
	scratch_store_b32 off, v9, off offset:4 ; 4-byte Folded Spill
	s_lshl_b32 s22, s18, 4
	s_mul_i32 s30, s18, 3
	s_ashr_i32 s19, s18, 31
	s_ashr_i32 s31, s30, 31
	s_lshl_b32 s29, s7, 6
	s_lshl_b64 s[12:13], s[30:31], 4
	s_ashr_i32 s23, s22, 31
	s_lshl_b32 s24, s18, 1
	s_mul_i32 s7, s7, s1
	s_lshl_b64 s[10:11], s[18:19], 4
	s_mul_i32 s1, s18, 0x300
	s_add_i32 s15, s26, -2
	s_ashr_i32 s25, s24, 31
	s_lshl_b32 s4, s7, 6
	s_lshl_b64 s[6:7], s[22:23], 6
	s_mul_hi_i32 s5, s22, 48
	v_add_nc_u32_e32 v179, 0x4700, v13
	v_cmp_gt_u32_e64 s0, 64, v42
	v_add_nc_u32_e32 v242, v182, v10
	s_waitcnt vmcnt(0)
	v_lshlrev_b32_e32 v175, 2, v12
	v_lshl_add_u32 v186, v12, 6, 0x4300
	v_mad_u32_u24 v187, 0x10c0, v12, v13
	s_delay_alu instid0(VALU_DEP_3) | instskip(SKIP_2) | instid1(SALU_CYCLE_1)
	v_mad_u64_u32 v[4:5], null, v175, s18, v[170:171]
	v_add3_u32 v171, v7, v6, 64
	s_lshl_b64 s[18:19], s[18:19], 5
	s_add_u32 s30, s18, s16
	s_addc_u32 s31, s19, s17
	s_add_u32 s1, s1, s18
	s_delay_alu instid0(VALU_DEP_2) | instskip(SKIP_1) | instid1(VALU_DEP_1)
	v_ashrrev_i32_e32 v5, 31, v4
	s_addc_u32 s5, s5, s19
	v_lshlrev_b64 v[6:7], 4, v[4:5]
	v_add_co_u32 v4, vcc_lo, s20, v4
	v_add_co_ci_u32_e32 v5, vcc_lo, s21, v5, vcc_lo
	s_delay_alu instid0(VALU_DEP_3) | instskip(NEXT) | instid1(VALU_DEP_2)
	v_add_co_u32 v8, vcc_lo, s16, v6
	v_lshlrev_b64 v[4:5], 4, v[4:5]
	v_add_co_ci_u32_e32 v9, vcc_lo, s17, v7, vcc_lo
	s_delay_alu instid0(VALU_DEP_3) | instskip(NEXT) | instid1(VALU_DEP_2)
	v_add_co_u32 v11, vcc_lo, v8, v40
	v_add_co_ci_u32_e32 v12, vcc_lo, v9, v41, vcc_lo
	s_delay_alu instid0(VALU_DEP_4) | instskip(NEXT) | instid1(VALU_DEP_3)
	v_mad_i64_i32 v[8:9], null, s22, 48, v[4:5]
	v_add_co_u32 v202, vcc_lo, v11, 8
	s_delay_alu instid0(VALU_DEP_3) | instskip(NEXT) | instid1(VALU_DEP_3)
	v_add_co_ci_u32_e32 v203, vcc_lo, 0, v12, vcc_lo
	v_add_co_u32 v11, vcc_lo, v8, s12
	s_delay_alu instid0(VALU_DEP_4) | instskip(NEXT) | instid1(VALU_DEP_2)
	v_add_co_ci_u32_e32 v12, vcc_lo, s13, v9, vcc_lo
	v_add_co_u32 v204, vcc_lo, v40, v11
	s_delay_alu instid0(VALU_DEP_2) | instskip(SKIP_4) | instid1(VALU_DEP_4)
	v_add_co_ci_u32_e32 v205, vcc_lo, v41, v12, vcc_lo
	v_add_co_u32 v11, vcc_lo, s30, v6
	v_add_co_ci_u32_e32 v12, vcc_lo, s31, v7, vcc_lo
	v_add_co_u32 v4, vcc_lo, s1, v4
	;; [unrolled: 2-line block ×3, first 2 shown]
	s_delay_alu instid0(VALU_DEP_4) | instskip(NEXT) | instid1(VALU_DEP_4)
	v_add_co_ci_u32_e32 v207, vcc_lo, v41, v12, vcc_lo
	v_add_co_u32 v4, vcc_lo, v4, v40
	s_add_u32 s1, s10, s16
	v_add_co_ci_u32_e32 v5, vcc_lo, v5, v41, vcc_lo
	s_addc_u32 s5, s11, s17
	v_add_co_u32 v11, vcc_lo, s1, v6
	v_add_co_ci_u32_e32 v12, vcc_lo, s5, v7, vcc_lo
	v_add_co_u32 v208, vcc_lo, v4, 8
	v_add_co_ci_u32_e32 v209, vcc_lo, 0, v5, vcc_lo
	s_delay_alu instid0(VALU_DEP_4) | instskip(NEXT) | instid1(VALU_DEP_4)
	v_add_co_u32 v4, vcc_lo, v11, v40
	v_add_co_ci_u32_e32 v5, vcc_lo, v12, v41, vcc_lo
	s_lshl_b64 s[18:19], s[24:25], 4
	s_delay_alu instid0(VALU_DEP_2) | instskip(SKIP_1) | instid1(VALU_DEP_2)
	v_add_co_u32 v210, vcc_lo, v4, 8
	s_add_u32 s20, s16, s18
	v_add_co_ci_u32_e32 v211, vcc_lo, 0, v5, vcc_lo
	s_addc_u32 s21, s17, s19
	v_add_co_u32 v4, vcc_lo, s20, v6
	v_add_co_ci_u32_e32 v5, vcc_lo, s21, v7, vcc_lo
	v_add_co_u32 v11, vcc_lo, v8, s18
	v_add_co_ci_u32_e32 v12, vcc_lo, s19, v9, vcc_lo
	s_delay_alu instid0(VALU_DEP_4) | instskip(NEXT) | instid1(VALU_DEP_4)
	v_add_co_u32 v4, vcc_lo, v4, v40
	v_add_co_ci_u32_e32 v5, vcc_lo, v5, v41, vcc_lo
	s_delay_alu instid0(VALU_DEP_4) | instskip(NEXT) | instid1(VALU_DEP_4)
	;; [unrolled: 3-line block ×3, first 2 shown]
	v_add_co_u32 v214, vcc_lo, v4, 8
	v_add_co_ci_u32_e32 v215, vcc_lo, 0, v5, vcc_lo
	v_add_co_u32 v4, vcc_lo, v8, s10
	s_add_u32 s20, s16, s12
	v_add_co_ci_u32_e32 v5, vcc_lo, s11, v9, vcc_lo
	s_addc_u32 s21, s17, s13
	v_add_co_u32 v11, vcc_lo, s20, v6
	v_add_co_ci_u32_e32 v12, vcc_lo, s21, v7, vcc_lo
	v_add_co_u32 v216, vcc_lo, v40, v4
	v_add_co_ci_u32_e32 v217, vcc_lo, v41, v5, vcc_lo
	s_delay_alu instid0(VALU_DEP_4) | instskip(NEXT) | instid1(VALU_DEP_4)
	v_add_co_u32 v4, vcc_lo, v11, v40
	v_add_co_ci_u32_e32 v5, vcc_lo, v12, v41, vcc_lo
	s_lshl_b64 s[20:21], s[22:23], 4
	s_delay_alu instid0(VALU_DEP_2) | instskip(SKIP_1) | instid1(VALU_DEP_2)
	v_add_co_u32 v218, vcc_lo, v4, 8
	s_add_u32 s24, s16, s20
	v_add_co_ci_u32_e32 v219, vcc_lo, 0, v5, vcc_lo
	s_addc_u32 s25, s17, s21
	v_add_co_u32 v4, vcc_lo, s24, v6
	v_add_co_ci_u32_e32 v5, vcc_lo, s25, v7, vcc_lo
	v_add_co_u32 v220, vcc_lo, v40, v8
	v_add_co_ci_u32_e32 v221, vcc_lo, v41, v9, vcc_lo
	s_delay_alu instid0(VALU_DEP_4) | instskip(NEXT) | instid1(VALU_DEP_4)
	v_add_co_u32 v4, vcc_lo, v4, v40
	v_add_co_ci_u32_e32 v5, vcc_lo, v5, v41, vcc_lo
	s_lshl_b64 s[22:23], s[22:23], 5
	s_delay_alu instid0(VALU_DEP_2)
	v_add_co_u32 v222, vcc_lo, v4, 8
	s_add_u32 s16, s22, s16
	s_addc_u32 s17, s23, s17
	s_add_u32 s33, s16, s12
	v_add_co_ci_u32_e32 v223, vcc_lo, 0, v5, vcc_lo
	s_addc_u32 s34, s17, s13
	v_add_co_u32 v4, vcc_lo, s33, v6
	s_add_u32 s1, s1, s20
	v_add_co_ci_u32_e32 v5, vcc_lo, s34, v7, vcc_lo
	s_addc_u32 s5, s5, s21
	v_add_co_u32 v8, vcc_lo, s1, v6
	v_add_co_ci_u32_e32 v9, vcc_lo, s5, v7, vcc_lo
	v_add_co_u32 v224, vcc_lo, v40, v4
	v_add_co_ci_u32_e32 v225, vcc_lo, v41, v5, vcc_lo
	s_delay_alu instid0(VALU_DEP_4)
	v_add_co_u32 v4, vcc_lo, v8, v40
	s_add_u32 s1, s30, s22
	v_add_co_ci_u32_e32 v5, vcc_lo, v9, v41, vcc_lo
	s_addc_u32 s5, s31, s23
	v_add_co_u32 v8, vcc_lo, s1, v6
	v_add_co_ci_u32_e32 v9, vcc_lo, s5, v7, vcc_lo
	v_add_co_u32 v226, vcc_lo, v4, 8
	v_add_co_ci_u32_e32 v227, vcc_lo, 0, v5, vcc_lo
	s_delay_alu instid0(VALU_DEP_4)
	;; [unrolled: 9-line block ×4, first 2 shown]
	v_add_co_u32 v232, vcc_lo, v40, v8
	s_add_u32 s1, s30, s20
	v_add_co_ci_u32_e32 v233, vcc_lo, v41, v9, vcc_lo
	s_addc_u32 s5, s31, s21
	v_add_co_u32 v4, vcc_lo, s1, v6
	s_add_u32 s1, s16, s10
	v_add_co_ci_u32_e32 v5, vcc_lo, s5, v7, vcc_lo
	s_addc_u32 s5, s17, s11
	v_add_co_u32 v8, vcc_lo, s1, v6
	v_add_co_ci_u32_e32 v9, vcc_lo, s5, v7, vcc_lo
	v_add_co_u32 v234, vcc_lo, v40, v4
	v_add_co_ci_u32_e32 v235, vcc_lo, v41, v5, vcc_lo
	s_delay_alu instid0(VALU_DEP_4)
	v_add_co_u32 v236, vcc_lo, v40, v8
	s_add_u32 s1, s24, s12
	v_add_co_ci_u32_e32 v237, vcc_lo, v41, v9, vcc_lo
	s_addc_u32 s5, s25, s13
	v_add_co_u32 v4, vcc_lo, s1, v6
	v_add_co_ci_u32_e32 v5, vcc_lo, s5, v7, vcc_lo
	v_add_co_u32 v6, vcc_lo, s16, v6
	v_add_co_ci_u32_e32 v7, vcc_lo, s17, v7, vcc_lo
	s_delay_alu instid0(VALU_DEP_4) | instskip(NEXT) | instid1(VALU_DEP_4)
	v_add_co_u32 v4, vcc_lo, v4, v40
	v_add_co_ci_u32_e32 v5, vcc_lo, v5, v41, vcc_lo
	s_delay_alu instid0(VALU_DEP_4) | instskip(NEXT) | instid1(VALU_DEP_4)
	v_add_co_u32 v6, vcc_lo, v6, v40
	v_add_co_ci_u32_e32 v7, vcc_lo, v7, v41, vcc_lo
	s_delay_alu instid0(VALU_DEP_4)
	v_add_co_u32 v238, vcc_lo, v4, 8
	v_mov_b32_e32 v4, 0
	v_add_co_ci_u32_e32 v239, vcc_lo, 0, v5, vcc_lo
	v_add_co_u32 v240, vcc_lo, v6, 8
	v_or_b32_e32 v181, 2, v175
	v_or_b32_e32 v185, 3, v175
	v_add_nc_u32_e32 v255, 16, v175
	v_add_nc_u32_e32 v169, 17, v175
	;; [unrolled: 1-line block ×12, first 2 shown]
	v_add_co_ci_u32_e32 v241, vcc_lo, 0, v7, vcc_lo
	s_cmp_eq_u32 s15, s14
	s_cselect_b32 s12, s27, 0
	s_and_saveexec_b32 s1, s2
	s_cbranch_execz .LBB18_132
.LBB18_128:
	v_cmp_le_i32_e32 vcc_lo, s12, v170
	s_cmp_lg_u32 s12, 0
	s_cselect_b32 s5, -1, 0
	s_delay_alu instid0(SALU_CYCLE_1) | instskip(NEXT) | instid1(SALU_CYCLE_1)
	s_and_b32 s5, s5, vcc_lo
	s_and_saveexec_b32 s10, s5
	s_delay_alu instid0(SALU_CYCLE_1)
	s_xor_b32 s5, exec_lo, s10
	s_cbranch_execz .LBB18_130
; %bb.129:
	scratch_load_b32 v8, off, off           ; 4-byte Folded Reload
	v_mov_b32_e32 v5, v4
	v_mov_b32_e32 v6, v4
	;; [unrolled: 1-line block ×3, first 2 shown]
	s_waitcnt vmcnt(0)
	ds_store_b128 v8, v[4:7]
.LBB18_130:
	s_and_not1_saveexec_b32 s5, s5
	s_cbranch_execz .LBB18_132
; %bb.131:
	s_ashr_i32 s5, s4, 31
	s_delay_alu instid0(SALU_CYCLE_1) | instskip(NEXT) | instid1(SALU_CYCLE_1)
	s_lshl_b64 s[10:11], s[4:5], 4
	v_add_co_u32 v5, vcc_lo, v176, s10
	v_add_co_ci_u32_e32 v6, vcc_lo, s11, v177, vcc_lo
	global_load_b128 v[5:8], v[5:6], off
	scratch_load_b32 v9, off, off           ; 4-byte Folded Reload
	s_waitcnt vmcnt(0)
	ds_store_2addr_b64 v9, v[5:6], v[7:8] offset1:1
.LBB18_132:                             ; =>This Inner Loop Header: Depth=1
	s_or_b32 exec_lo, exec_lo, s1
	s_cmp_eq_u32 s12, 0
	v_add_co_u32 v17, vcc_lo, v202, v200
	s_cselect_b32 s5, -1, 0
	s_cmp_lg_u32 s12, 0
	v_add_co_ci_u32_e32 v18, vcc_lo, v203, v201, vcc_lo
	s_cselect_b32 s1, -1, 0
	s_waitcnt lgkmcnt(0)
	s_waitcnt_vscnt null, 0x0
	s_and_b32 vcc_lo, exec_lo, s1
	s_barrier
	buffer_gl0_inv
	s_cbranch_vccz .LBB18_140
; %bb.133:                              ;   in Loop: Header=BB18_132 Depth=1
	v_mov_b32_e32 v5, 0
	v_mov_b32_e32 v6, 0
	s_mov_b32 s10, exec_lo
	s_delay_alu instid0(VALU_DEP_1)
	v_dual_mov_b32 v10, v6 :: v_dual_mov_b32 v9, v5
	v_dual_mov_b32 v12, v6 :: v_dual_mov_b32 v11, v5
	v_cmpx_gt_i32_e64 s12, v175
	s_cbranch_execz .LBB18_135
; %bb.134:                              ;   in Loop: Header=BB18_132 Depth=1
	global_load_b128 v[9:12], v[17:18], off offset:-8
.LBB18_135:                             ;   in Loop: Header=BB18_132 Depth=1
	s_or_b32 exec_lo, exec_lo, s10
	v_or_b32_e32 v7, 1, v175
	s_delay_alu instid0(VALU_DEP_1)
	v_cmp_gt_i32_e32 vcc_lo, s12, v7
	v_dual_mov_b32 v8, v6 :: v_dual_mov_b32 v7, v5
	s_and_saveexec_b32 s10, vcc_lo
	s_cbranch_execz .LBB18_137
; %bb.136:                              ;   in Loop: Header=BB18_132 Depth=1
	v_add_co_u32 v5, vcc_lo, v210, v200
	v_add_co_ci_u32_e32 v6, vcc_lo, v211, v201, vcc_lo
	global_load_b128 v[5:8], v[5:6], off offset:-8
.LBB18_137:                             ;   in Loop: Header=BB18_132 Depth=1
	s_or_b32 exec_lo, exec_lo, s10
	v_mov_b32_e32 v13, 0
	v_mov_b32_e32 v14, 0
	s_mov_b64 s[10:11], 0
	s_mov_b32 s13, exec_lo
	s_delay_alu instid0(VALU_DEP_1)
	v_dual_mov_b32 v16, v14 :: v_dual_mov_b32 v15, v13
	v_cmpx_gt_i32_e64 s12, v181
	s_cbranch_execz .LBB18_139
; %bb.138:                              ;   in Loop: Header=BB18_132 Depth=1
	v_add_co_u32 v13, vcc_lo, v214, v200
	v_add_co_ci_u32_e32 v14, vcc_lo, v215, v201, vcc_lo
	global_load_b128 v[13:16], v[13:14], off offset:-8
.LBB18_139:                             ;   in Loop: Header=BB18_132 Depth=1
	s_or_b32 exec_lo, exec_lo, s13
	v_cmp_gt_i32_e64 s13, s12, v185
	s_branch .LBB18_142
.LBB18_140:                             ;   in Loop: Header=BB18_132 Depth=1
	s_mov_b32 s13, 0
                                        ; implicit-def: $sgpr10_sgpr11
                                        ; implicit-def: $vgpr15_vgpr16
                                        ; implicit-def: $vgpr7_vgpr8
                                        ; implicit-def: $vgpr11_vgpr12
	s_cbranch_execz .LBB18_142
; %bb.141:                              ;   in Loop: Header=BB18_132 Depth=1
	s_waitcnt vmcnt(0)
	v_add_co_u32 v5, vcc_lo, v210, v200
	v_add_co_ci_u32_e32 v6, vcc_lo, v211, v201, vcc_lo
	v_add_co_u32 v13, vcc_lo, v206, v200
	v_add_co_ci_u32_e32 v14, vcc_lo, v207, v201, vcc_lo
	global_load_b128 v[9:12], v[17:18], off offset:-8
	global_load_b128 v[5:8], v[5:6], off offset:-8
	global_load_b128 v[13:16], v[13:14], off
	s_or_b32 s13, s13, exec_lo
                                        ; implicit-def: $sgpr10_sgpr11
.LBB18_142:                             ;   in Loop: Header=BB18_132 Depth=1
	v_dual_mov_b32 v18, s11 :: v_dual_mov_b32 v17, s10
	v_dual_mov_b32 v20, s11 :: v_dual_mov_b32 v19, s10
	s_delay_alu instid0(VALU_DEP_3)
	s_and_saveexec_b32 s10, s13
	s_cbranch_execz .LBB18_144
; %bb.143:                              ;   in Loop: Header=BB18_132 Depth=1
	v_add_co_u32 v17, vcc_lo, v218, v200
	v_add_co_ci_u32_e32 v18, vcc_lo, v219, v201, vcc_lo
	global_load_b128 v[17:20], v[17:18], off offset:-8
.LBB18_144:                             ;   in Loop: Header=BB18_132 Depth=1
	s_or_b32 exec_lo, exec_lo, s10
	ds_load_b128 v[25:28], v179
	ds_load_b128 v[21:24], v186
	v_add_co_u32 v49, vcc_lo, v222, v200
	v_cndmask_b32_e64 v117, 0, 1, s1
	v_add_co_ci_u32_e32 v50, vcc_lo, v223, v201, vcc_lo
	s_and_not1_b32 vcc_lo, exec_lo, s1
	s_waitcnt vmcnt(0) lgkmcnt(1)
	v_mul_f64 v[29:30], v[11:12], v[27:28]
	v_mul_f64 v[31:32], v[11:12], v[25:26]
	v_mul_f64 v[33:34], v[7:8], v[27:28]
	v_mul_f64 v[35:36], v[7:8], v[25:26]
	v_mul_f64 v[41:42], v[15:16], v[27:28]
	v_mul_f64 v[43:44], v[15:16], v[25:26]
	v_mul_f64 v[45:46], v[19:20], v[27:28]
	v_mul_f64 v[47:48], v[19:20], v[25:26]
	v_fma_f64 v[29:30], v[9:10], v[25:26], v[29:30]
	v_fma_f64 v[31:32], v[9:10], v[27:28], -v[31:32]
	v_fma_f64 v[37:38], v[5:6], v[25:26], v[33:34]
	v_fma_f64 v[39:40], v[5:6], v[27:28], -v[35:36]
	;; [unrolled: 2-line block ×4, first 2 shown]
	ds_store_b128 v187, v[29:32]
	ds_load_b128 v[33:36], v186 offset:16
	ds_store_b128 v187, v[37:40] offset:1072
	ds_load_b128 v[29:32], v186 offset:32
	ds_store_b128 v187, v[41:44] offset:2144
	ds_load_b128 v[25:28], v186 offset:48
	ds_store_b128 v187, v[45:48] offset:3216
	s_waitcnt lgkmcnt(0)
	s_barrier
	buffer_gl0_inv
	ds_load_b128 v[93:96], v182
	ds_load_b128 v[89:92], v182 offset:16
	ds_load_b128 v[85:88], v182 offset:32
	;; [unrolled: 1-line block ×3, first 2 shown]
	s_waitcnt lgkmcnt(0)
	s_barrier
	buffer_gl0_inv
	s_cbranch_vccnz .LBB18_152
; %bb.145:                              ;   in Loop: Header=BB18_132 Depth=1
	v_mov_b32_e32 v37, 0
	v_mov_b32_e32 v38, 0
	s_mov_b32 s1, exec_lo
	s_delay_alu instid0(VALU_DEP_1)
	v_dual_mov_b32 v42, v38 :: v_dual_mov_b32 v41, v37
	v_dual_mov_b32 v44, v38 :: v_dual_mov_b32 v43, v37
	v_cmpx_gt_i32_e64 s12, v255
	s_cbranch_execz .LBB18_147
; %bb.146:                              ;   in Loop: Header=BB18_132 Depth=1
	global_load_b128 v[41:44], v[49:50], off offset:-8
.LBB18_147:                             ;   in Loop: Header=BB18_132 Depth=1
	s_or_b32 exec_lo, exec_lo, s1
	v_dual_mov_b32 v40, v38 :: v_dual_mov_b32 v39, v37
	s_mov_b32 s1, exec_lo
	v_cmpx_gt_i32_e64 s12, v169
	s_cbranch_execz .LBB18_149
; %bb.148:                              ;   in Loop: Header=BB18_132 Depth=1
	v_add_co_u32 v37, vcc_lo, v226, v200
	v_add_co_ci_u32_e32 v38, vcc_lo, v227, v201, vcc_lo
	global_load_b128 v[37:40], v[37:38], off offset:-8
.LBB18_149:                             ;   in Loop: Header=BB18_132 Depth=1
	s_or_b32 exec_lo, exec_lo, s1
	v_mov_b32_e32 v45, 0
	v_mov_b32_e32 v46, 0
	s_mov_b64 s[10:11], 0
	s_mov_b32 s1, exec_lo
	s_delay_alu instid0(VALU_DEP_1)
	v_dual_mov_b32 v48, v46 :: v_dual_mov_b32 v47, v45
	v_cmpx_gt_i32_e64 s12, v178
	s_cbranch_execz .LBB18_151
; %bb.150:                              ;   in Loop: Header=BB18_132 Depth=1
	v_add_co_u32 v45, vcc_lo, v230, v200
	v_add_co_ci_u32_e32 v46, vcc_lo, v231, v201, vcc_lo
	global_load_b128 v[45:48], v[45:46], off offset:-8
.LBB18_151:                             ;   in Loop: Header=BB18_132 Depth=1
	s_or_b32 exec_lo, exec_lo, s1
	v_cmp_gt_i32_e64 s1, s12, v174
	s_branch .LBB18_154
.LBB18_152:                             ;   in Loop: Header=BB18_132 Depth=1
	s_mov_b32 s1, 0
                                        ; implicit-def: $sgpr10_sgpr11
                                        ; implicit-def: $vgpr47_vgpr48
                                        ; implicit-def: $vgpr39_vgpr40
                                        ; implicit-def: $vgpr43_vgpr44
	s_cbranch_execz .LBB18_154
; %bb.153:                              ;   in Loop: Header=BB18_132 Depth=1
	s_waitcnt vmcnt(0)
	v_add_co_u32 v37, vcc_lo, v226, v200
	v_add_co_ci_u32_e32 v38, vcc_lo, v227, v201, vcc_lo
	v_add_co_u32 v45, vcc_lo, v234, v200
	v_add_co_ci_u32_e32 v46, vcc_lo, v235, v201, vcc_lo
	global_load_b128 v[41:44], v[49:50], off offset:-8
	global_load_b128 v[37:40], v[37:38], off offset:-8
	global_load_b128 v[45:48], v[45:46], off
	s_or_b32 s1, s1, exec_lo
                                        ; implicit-def: $sgpr10_sgpr11
.LBB18_154:                             ;   in Loop: Header=BB18_132 Depth=1
	v_dual_mov_b32 v50, s11 :: v_dual_mov_b32 v49, s10
	v_dual_mov_b32 v52, s11 :: v_dual_mov_b32 v51, s10
	s_delay_alu instid0(VALU_DEP_3)
	s_and_saveexec_b32 s10, s1
	s_cbranch_execz .LBB18_156
; %bb.155:                              ;   in Loop: Header=BB18_132 Depth=1
	v_add_co_u32 v49, vcc_lo, v238, v200
	v_add_co_ci_u32_e32 v50, vcc_lo, v239, v201, vcc_lo
	global_load_b128 v[49:52], v[49:50], off offset:-8
.LBB18_156:                             ;   in Loop: Header=BB18_132 Depth=1
	s_or_b32 exec_lo, exec_lo, s10
	ds_load_b128 v[57:60], v179
	ds_load_b128 v[53:56], v186 offset:256
	v_cmp_ne_u32_e32 vcc_lo, 1, v117
	v_add_co_u32 v97, s1, v240, v200
	s_delay_alu instid0(VALU_DEP_1)
	v_add_co_ci_u32_e64 v98, s1, v241, v201, s1
	s_and_b32 vcc_lo, exec_lo, vcc_lo
	s_waitcnt vmcnt(0) lgkmcnt(1)
	v_mul_f64 v[61:62], v[43:44], v[59:60]
	v_mul_f64 v[63:64], v[43:44], v[57:58]
	;; [unrolled: 1-line block ×8, first 2 shown]
	v_fma_f64 v[61:62], v[41:42], v[57:58], v[61:62]
	v_fma_f64 v[63:64], v[41:42], v[59:60], -v[63:64]
	v_fma_f64 v[69:70], v[37:38], v[57:58], v[65:66]
	v_fma_f64 v[71:72], v[37:38], v[59:60], -v[67:68]
	;; [unrolled: 2-line block ×4, first 2 shown]
	ds_store_b128 v187, v[61:64]
	ds_load_b128 v[65:68], v186 offset:272
	ds_store_b128 v187, v[69:72] offset:1072
	ds_load_b128 v[61:64], v186 offset:288
	ds_store_b128 v187, v[73:76] offset:2144
	;; [unrolled: 2-line block ×3, first 2 shown]
	s_waitcnt lgkmcnt(0)
	s_barrier
	buffer_gl0_inv
	ds_load_b128 v[141:144], v182
	ds_load_b128 v[137:140], v182 offset:16
	ds_load_b128 v[133:136], v182 offset:32
	;; [unrolled: 1-line block ×3, first 2 shown]
	s_waitcnt lgkmcnt(0)
	s_barrier
	buffer_gl0_inv
	s_cbranch_vccnz .LBB18_164
; %bb.157:                              ;   in Loop: Header=BB18_132 Depth=1
	v_mov_b32_e32 v69, 0
	v_mov_b32_e32 v70, 0
	s_mov_b32 s1, exec_lo
	s_delay_alu instid0(VALU_DEP_1)
	v_dual_mov_b32 v74, v70 :: v_dual_mov_b32 v73, v69
	v_dual_mov_b32 v76, v70 :: v_dual_mov_b32 v75, v69
	v_cmpx_gt_i32_e64 s12, v192
	s_cbranch_execz .LBB18_159
; %bb.158:                              ;   in Loop: Header=BB18_132 Depth=1
	global_load_b128 v[73:76], v[97:98], off offset:-8
.LBB18_159:                             ;   in Loop: Header=BB18_132 Depth=1
	s_or_b32 exec_lo, exec_lo, s1
	v_dual_mov_b32 v72, v70 :: v_dual_mov_b32 v71, v69
	s_mov_b32 s1, exec_lo
	v_cmpx_gt_i32_e64 s12, v193
	s_cbranch_execz .LBB18_161
; %bb.160:                              ;   in Loop: Header=BB18_132 Depth=1
	v_add_co_u32 v69, vcc_lo, v236, v200
	v_add_co_ci_u32_e32 v70, vcc_lo, v237, v201, vcc_lo
	global_load_b128 v[69:72], v[69:70], off
.LBB18_161:                             ;   in Loop: Header=BB18_132 Depth=1
	s_or_b32 exec_lo, exec_lo, s1
	v_mov_b32_e32 v77, 0
	v_mov_b32_e32 v78, 0
	s_mov_b64 s[10:11], 0
	s_mov_b32 s1, exec_lo
	s_delay_alu instid0(VALU_DEP_1)
	v_dual_mov_b32 v80, v78 :: v_dual_mov_b32 v79, v77
	v_cmpx_gt_i32_e64 s12, v194
	s_cbranch_execz .LBB18_163
; %bb.162:                              ;   in Loop: Header=BB18_132 Depth=1
	v_add_co_u32 v77, vcc_lo, v232, v200
	v_add_co_ci_u32_e32 v78, vcc_lo, v233, v201, vcc_lo
	global_load_b128 v[77:80], v[77:78], off
.LBB18_163:                             ;   in Loop: Header=BB18_132 Depth=1
	s_or_b32 exec_lo, exec_lo, s1
	v_cmp_gt_i32_e64 s1, s12, v195
	s_branch .LBB18_166
.LBB18_164:                             ;   in Loop: Header=BB18_132 Depth=1
	s_mov_b32 s1, 0
                                        ; implicit-def: $sgpr10_sgpr11
                                        ; implicit-def: $vgpr79_vgpr80
                                        ; implicit-def: $vgpr71_vgpr72
                                        ; implicit-def: $vgpr75_vgpr76
	s_cbranch_execz .LBB18_166
; %bb.165:                              ;   in Loop: Header=BB18_132 Depth=1
	s_waitcnt vmcnt(0)
	v_add_co_u32 v69, vcc_lo, v236, v200
	v_add_co_ci_u32_e32 v70, vcc_lo, v237, v201, vcc_lo
	v_add_co_u32 v77, vcc_lo, v228, v200
	v_add_co_ci_u32_e32 v78, vcc_lo, v229, v201, vcc_lo
	global_load_b128 v[73:76], v[97:98], off offset:-8
	global_load_b128 v[69:72], v[69:70], off
	global_load_b128 v[77:80], v[77:78], off offset:-8
	s_or_b32 s1, s1, exec_lo
                                        ; implicit-def: $sgpr10_sgpr11
.LBB18_166:                             ;   in Loop: Header=BB18_132 Depth=1
	v_dual_mov_b32 v98, s11 :: v_dual_mov_b32 v97, s10
	v_dual_mov_b32 v100, s11 :: v_dual_mov_b32 v99, s10
	s_delay_alu instid0(VALU_DEP_3)
	s_and_saveexec_b32 s10, s1
	s_cbranch_execz .LBB18_168
; %bb.167:                              ;   in Loop: Header=BB18_132 Depth=1
	v_add_co_u32 v97, vcc_lo, v224, v200
	v_add_co_ci_u32_e32 v98, vcc_lo, v225, v201, vcc_lo
	global_load_b128 v[97:100], v[97:98], off
.LBB18_168:                             ;   in Loop: Header=BB18_132 Depth=1
	s_or_b32 exec_lo, exec_lo, s10
	ds_load_b128 v[105:108], v179
	ds_load_b128 v[101:104], v186 offset:512
	v_cmp_ne_u32_e32 vcc_lo, 1, v117
	s_and_b32 vcc_lo, exec_lo, vcc_lo
	s_waitcnt vmcnt(0) lgkmcnt(1)
	v_mul_f64 v[109:110], v[75:76], v[107:108]
	v_mul_f64 v[111:112], v[75:76], v[105:106]
	;; [unrolled: 1-line block ×8, first 2 shown]
	v_fma_f64 v[109:110], v[73:74], v[105:106], v[109:110]
	v_fma_f64 v[111:112], v[73:74], v[107:108], -v[111:112]
	v_fma_f64 v[118:119], v[69:70], v[105:106], v[113:114]
	v_fma_f64 v[120:121], v[69:70], v[107:108], -v[115:116]
	;; [unrolled: 2-line block ×4, first 2 shown]
	ds_store_b128 v187, v[109:112]
	ds_load_b128 v[113:116], v186 offset:528
	ds_store_b128 v187, v[118:121] offset:1072
	ds_load_b128 v[109:112], v186 offset:544
	ds_store_b128 v187, v[122:125] offset:2144
	;; [unrolled: 2-line block ×3, first 2 shown]
	s_waitcnt lgkmcnt(0)
	s_barrier
	buffer_gl0_inv
	ds_load_b128 v[165:168], v182
	ds_load_b128 v[161:164], v182 offset:16
	ds_load_b128 v[153:156], v182 offset:32
	;; [unrolled: 1-line block ×3, first 2 shown]
	v_add_co_u32 v145, s1, v220, v200
	s_delay_alu instid0(VALU_DEP_1)
	v_add_co_ci_u32_e64 v146, s1, v221, v201, s1
	s_waitcnt lgkmcnt(0)
	s_barrier
	buffer_gl0_inv
	s_cbranch_vccnz .LBB18_176
; %bb.169:                              ;   in Loop: Header=BB18_132 Depth=1
	v_mov_b32_e32 v117, 0
	v_mov_b32_e32 v118, 0
	s_mov_b32 s1, exec_lo
	s_delay_alu instid0(VALU_DEP_1)
	v_dual_mov_b32 v122, v118 :: v_dual_mov_b32 v121, v117
	v_dual_mov_b32 v124, v118 :: v_dual_mov_b32 v123, v117
	v_cmpx_gt_i32_e64 s12, v196
	s_cbranch_execz .LBB18_171
; %bb.170:                              ;   in Loop: Header=BB18_132 Depth=1
	global_load_b128 v[121:124], v[145:146], off
.LBB18_171:                             ;   in Loop: Header=BB18_132 Depth=1
	s_or_b32 exec_lo, exec_lo, s1
	v_dual_mov_b32 v120, v118 :: v_dual_mov_b32 v119, v117
	s_mov_b32 s1, exec_lo
	v_cmpx_gt_i32_e64 s12, v197
	s_cbranch_execz .LBB18_173
; %bb.172:                              ;   in Loop: Header=BB18_132 Depth=1
	v_add_co_u32 v117, vcc_lo, v216, v200
	v_add_co_ci_u32_e32 v118, vcc_lo, v217, v201, vcc_lo
	global_load_b128 v[117:120], v[117:118], off
.LBB18_173:                             ;   in Loop: Header=BB18_132 Depth=1
	s_or_b32 exec_lo, exec_lo, s1
	v_mov_b32_e32 v125, 0
	v_mov_b32_e32 v126, 0
	s_mov_b64 s[10:11], 0
	s_mov_b32 s1, exec_lo
	s_delay_alu instid0(VALU_DEP_1)
	v_dual_mov_b32 v128, v126 :: v_dual_mov_b32 v127, v125
	v_cmpx_gt_i32_e64 s12, v198
	s_cbranch_execz .LBB18_175
; %bb.174:                              ;   in Loop: Header=BB18_132 Depth=1
	v_add_co_u32 v125, vcc_lo, v212, v200
	v_add_co_ci_u32_e32 v126, vcc_lo, v213, v201, vcc_lo
	global_load_b128 v[125:128], v[125:126], off
.LBB18_175:                             ;   in Loop: Header=BB18_132 Depth=1
	s_or_b32 exec_lo, exec_lo, s1
	v_cmp_gt_i32_e64 s1, s12, v199
	s_branch .LBB18_178
.LBB18_176:                             ;   in Loop: Header=BB18_132 Depth=1
	s_mov_b32 s1, 0
                                        ; implicit-def: $sgpr10_sgpr11
                                        ; implicit-def: $vgpr127_vgpr128
                                        ; implicit-def: $vgpr119_vgpr120
                                        ; implicit-def: $vgpr123_vgpr124
	s_cbranch_execz .LBB18_178
; %bb.177:                              ;   in Loop: Header=BB18_132 Depth=1
	s_waitcnt vmcnt(0)
	v_add_co_u32 v117, vcc_lo, v216, v200
	v_add_co_ci_u32_e32 v118, vcc_lo, v217, v201, vcc_lo
	v_add_co_u32 v125, vcc_lo, v208, v200
	v_add_co_ci_u32_e32 v126, vcc_lo, v209, v201, vcc_lo
	global_load_b128 v[121:124], v[145:146], off
	global_load_b128 v[117:120], v[117:118], off
	global_load_b128 v[125:128], v[125:126], off offset:-8
	s_or_b32 s1, s1, exec_lo
                                        ; implicit-def: $sgpr10_sgpr11
.LBB18_178:                             ;   in Loop: Header=BB18_132 Depth=1
	v_dual_mov_b32 v146, s11 :: v_dual_mov_b32 v145, s10
	v_dual_mov_b32 v148, s11 :: v_dual_mov_b32 v147, s10
	s_delay_alu instid0(VALU_DEP_3)
	s_and_saveexec_b32 s10, s1
	s_cbranch_execz .LBB18_180
; %bb.179:                              ;   in Loop: Header=BB18_132 Depth=1
	v_add_co_u32 v145, vcc_lo, v204, v200
	v_add_co_ci_u32_e32 v146, vcc_lo, v205, v201, vcc_lo
	global_load_b128 v[145:148], v[145:146], off
.LBB18_180:                             ;   in Loop: Header=BB18_132 Depth=1
	s_or_b32 exec_lo, exec_lo, s10
	v_add_f64 v[93:94], v[93:94], 0
	v_add_f64 v[95:96], v[95:96], 0
	ds_load_b128 v[243:246], v179
	ds_load_b128 v[157:160], v186 offset:768
	v_add_f64 v[165:166], v[165:166], 0
	v_add_f64 v[167:168], v[167:168], 0
	v_cmp_gt_i32_e32 vcc_lo, s12, v170
	s_or_b32 s1, s5, vcc_lo
	s_delay_alu instid0(SALU_CYCLE_1)
	s_and_b32 s5, s0, s1
	s_waitcnt vmcnt(0) lgkmcnt(1)
	v_mul_f64 v[188:189], v[123:124], v[245:246]
	v_mul_f64 v[190:191], v[123:124], v[243:244]
	;; [unrolled: 1-line block ×4, first 2 shown]
	v_add_f64 v[89:90], v[93:94], v[89:90]
	v_add_f64 v[91:92], v[95:96], v[91:92]
	;; [unrolled: 1-line block ×4, first 2 shown]
	v_fma_f64 v[247:248], v[121:122], v[243:244], v[188:189]
	v_fma_f64 v[249:250], v[121:122], v[245:246], -v[190:191]
	v_mul_f64 v[188:189], v[119:120], v[245:246]
	v_mul_f64 v[190:191], v[119:120], v[243:244]
	v_add_f64 v[85:86], v[89:90], v[85:86]
	v_add_f64 v[87:88], v[91:92], v[87:88]
	;; [unrolled: 1-line block ×4, first 2 shown]
	ds_store_b128 v187, v[247:250]
	v_fma_f64 v[251:252], v[117:118], v[243:244], v[188:189]
	v_fma_f64 v[253:254], v[117:118], v[245:246], -v[190:191]
	v_mul_f64 v[188:189], v[127:128], v[245:246]
	v_mul_f64 v[190:191], v[127:128], v[243:244]
	ds_load_b128 v[89:92], v186 offset:784
	v_add_f64 v[93:94], v[85:86], v[81:82]
	v_add_f64 v[95:96], v[87:88], v[83:84]
	;; [unrolled: 1-line block ×6, first 2 shown]
	ds_store_b128 v187, v[251:254] offset:1072
	v_fma_f64 v[188:189], v[125:126], v[243:244], v[188:189]
	v_fma_f64 v[190:191], v[125:126], v[245:246], -v[190:191]
	v_fma_f64 v[243:244], v[145:146], v[243:244], v[183:184]
	v_fma_f64 v[245:246], v[145:146], v[245:246], -v[172:173]
	ds_load_b128 v[85:88], v186 offset:800
	v_add_f64 v[81:82], v[81:82], v[137:138]
	v_add_f64 v[83:84], v[83:84], v[139:140]
	ds_store_b128 v187, v[188:191] offset:2144
	v_add_f64 v[81:82], v[81:82], v[133:134]
	v_add_f64 v[83:84], v[83:84], v[135:136]
	s_delay_alu instid0(VALU_DEP_2) | instskip(NEXT) | instid1(VALU_DEP_2)
	v_add_f64 v[129:130], v[81:82], v[129:130]
	v_add_f64 v[131:132], v[83:84], v[131:132]
	ds_load_b128 v[81:84], v186 offset:816
	ds_store_b128 v187, v[243:246] offset:3216
	s_waitcnt lgkmcnt(0)
	s_barrier
	buffer_gl0_inv
	ds_load_b128 v[133:136], v182
	ds_load_b128 v[137:140], v182 offset:16
	s_waitcnt lgkmcnt(1)
	v_add_f64 v[133:134], v[133:134], 0
	v_add_f64 v[135:136], v[135:136], 0
	s_waitcnt lgkmcnt(0)
	s_delay_alu instid0(VALU_DEP_2) | instskip(NEXT) | instid1(VALU_DEP_2)
	v_add_f64 v[141:142], v[133:134], v[137:138]
	v_add_f64 v[143:144], v[135:136], v[139:140]
	ds_load_b128 v[133:136], v182 offset:32
	ds_load_b128 v[137:140], v182 offset:48
	s_waitcnt lgkmcnt(0)
	s_barrier
	buffer_gl0_inv
	ds_store_b128 v242, v[93:96]
	ds_store_b128 v242, v[129:132] offset:256
	ds_store_b128 v242, v[149:152] offset:512
	v_add_f64 v[133:134], v[141:142], v[133:134]
	v_add_f64 v[135:136], v[143:144], v[135:136]
	s_delay_alu instid0(VALU_DEP_2) | instskip(NEXT) | instid1(VALU_DEP_2)
	v_add_f64 v[133:134], v[133:134], v[137:138]
	v_add_f64 v[135:136], v[135:136], v[139:140]
	ds_store_b128 v242, v[133:136] offset:768
	s_waitcnt lgkmcnt(0)
	s_barrier
	buffer_gl0_inv
	s_and_saveexec_b32 s1, s5
	s_cbranch_execz .LBB18_182
; %bb.181:                              ;   in Loop: Header=BB18_132 Depth=1
	ds_load_b128 v[93:96], v180
	ds_load_b128 v[129:132], v180 offset:16
	v_ashrrev_i32_e32 v172, 31, v171
	s_waitcnt lgkmcnt(0)
	v_add_f64 v[133:134], v[129:130], v[93:94]
	v_add_f64 v[135:136], v[131:132], v[95:96]
	ds_load_b128 v[93:96], v180 offset:32
	ds_load_b128 v[129:132], v180 offset:48
	s_waitcnt lgkmcnt(1)
	v_add_f64 v[93:94], v[133:134], v[93:94]
	v_add_f64 v[95:96], v[135:136], v[95:96]
	s_waitcnt lgkmcnt(0)
	s_delay_alu instid0(VALU_DEP_2) | instskip(NEXT) | instid1(VALU_DEP_2)
	v_add_f64 v[133:134], v[93:94], v[129:130]
	v_add_f64 v[135:136], v[95:96], v[131:132]
	ds_load_b128 v[93:96], v180 offset:64
	ds_load_b128 v[129:132], v180 offset:80
	s_waitcnt lgkmcnt(1)
	v_add_f64 v[93:94], v[133:134], v[93:94]
	v_add_f64 v[95:96], v[135:136], v[95:96]
	s_waitcnt lgkmcnt(0)
	s_delay_alu instid0(VALU_DEP_2) | instskip(NEXT) | instid1(VALU_DEP_2)
	;; [unrolled: 9-line block ×5, first 2 shown]
	v_add_f64 v[133:134], v[93:94], v[129:130]
	v_add_f64 v[135:136], v[95:96], v[131:132]
	ds_load_b128 v[93:96], v180 offset:192
	ds_load_b128 v[129:132], v180 offset:208
	s_waitcnt lgkmcnt(1)
	v_add_f64 v[93:94], v[133:134], v[93:94]
	v_add_f64 v[95:96], v[135:136], v[95:96]
	s_waitcnt lgkmcnt(0)
	s_delay_alu instid0(VALU_DEP_2)
	v_add_f64 v[133:134], v[93:94], v[129:130]
	scratch_load_b32 v129, off, off offset:4 ; 4-byte Folded Reload
	v_add_f64 v[135:136], v[95:96], v[131:132]
	ds_load_b128 v[93:96], v180 offset:224
	s_waitcnt vmcnt(0)
	ds_load_b128 v[129:132], v129
	s_waitcnt lgkmcnt(1)
	v_add_f64 v[93:94], v[133:134], v[93:94]
	v_add_f64 v[95:96], v[135:136], v[95:96]
	s_waitcnt lgkmcnt(0)
	s_delay_alu instid0(VALU_DEP_2) | instskip(NEXT) | instid1(VALU_DEP_2)
	v_add_f64 v[93:94], v[93:94], v[129:130]
	v_add_f64 v[95:96], v[95:96], v[131:132]
	v_lshlrev_b64 v[129:130], 4, v[171:172]
	s_delay_alu instid0(VALU_DEP_1) | instskip(NEXT) | instid1(VALU_DEP_2)
	v_add_co_u32 v129, vcc_lo, s3, v129
	v_add_co_ci_u32_e32 v130, vcc_lo, s9, v130, vcc_lo
	global_store_b128 v[129:130], v[93:96], off
.LBB18_182:                             ;   in Loop: Header=BB18_132 Depth=1
	s_or_b32 exec_lo, exec_lo, s1
	v_mul_f64 v[93:94], v[11:12], v[23:24]
	v_mul_f64 v[23:24], v[9:10], v[23:24]
	;; [unrolled: 1-line block ×4, first 2 shown]
	v_add_co_u32 v202, vcc_lo, v202, s6
	v_add_co_ci_u32_e32 v203, vcc_lo, s7, v203, vcc_lo
	v_add_co_u32 v204, vcc_lo, v204, s6
	v_add_co_ci_u32_e32 v205, vcc_lo, s7, v205, vcc_lo
	v_add_co_u32 v206, vcc_lo, v206, s6
	v_add_co_ci_u32_e32 v207, vcc_lo, s7, v207, vcc_lo
	v_add_co_u32 v208, vcc_lo, v208, s6
	v_add_co_ci_u32_e32 v209, vcc_lo, s7, v209, vcc_lo
	v_add_co_u32 v210, vcc_lo, v210, s6
	v_add_co_ci_u32_e32 v211, vcc_lo, s7, v211, vcc_lo
	v_add_co_u32 v212, vcc_lo, v212, s6
	v_add_co_ci_u32_e32 v213, vcc_lo, s7, v213, vcc_lo
	v_add_co_u32 v214, vcc_lo, v214, s6
	v_add_co_ci_u32_e32 v215, vcc_lo, s7, v215, vcc_lo
	v_add_co_u32 v216, vcc_lo, v216, s6
	v_add_co_ci_u32_e32 v217, vcc_lo, s7, v217, vcc_lo
	v_add_co_u32 v218, vcc_lo, v218, s6
	v_fma_f64 v[9:10], v[9:10], v[21:22], -v[93:94]
	v_fma_f64 v[11:12], v[11:12], v[21:22], v[23:24]
	v_mul_f64 v[21:22], v[15:16], v[31:32]
	v_mul_f64 v[23:24], v[13:14], v[31:32]
	v_fma_f64 v[5:6], v[5:6], v[33:34], -v[95:96]
	v_fma_f64 v[7:8], v[7:8], v[33:34], v[35:36]
	v_add_co_ci_u32_e32 v219, vcc_lo, s7, v219, vcc_lo
	v_add_co_u32 v220, vcc_lo, v220, s6
	v_add_co_ci_u32_e32 v221, vcc_lo, s7, v221, vcc_lo
	v_add_co_u32 v222, vcc_lo, v222, s6
	v_add_co_ci_u32_e32 v223, vcc_lo, s7, v223, vcc_lo
	v_add_co_u32 v224, vcc_lo, v224, s6
	v_add_co_ci_u32_e32 v225, vcc_lo, s7, v225, vcc_lo
	v_add_co_u32 v226, vcc_lo, v226, s6
	v_add_co_ci_u32_e32 v227, vcc_lo, s7, v227, vcc_lo
	v_add_co_u32 v228, vcc_lo, v228, s6
	v_add_co_ci_u32_e32 v229, vcc_lo, s7, v229, vcc_lo
	v_add_co_u32 v230, vcc_lo, v230, s6
	v_add_co_ci_u32_e32 v231, vcc_lo, s7, v231, vcc_lo
	v_add_co_u32 v232, vcc_lo, v232, s6
	v_add_co_ci_u32_e32 v233, vcc_lo, s7, v233, vcc_lo
	v_add_co_u32 v234, vcc_lo, v234, s6
	v_add_f64 v[0:1], v[0:1], v[9:10]
	v_add_f64 v[2:3], v[2:3], v[11:12]
	v_mul_f64 v[9:10], v[19:20], v[27:28]
	v_mul_f64 v[11:12], v[17:18], v[27:28]
	v_fma_f64 v[13:14], v[13:14], v[29:30], -v[21:22]
	v_fma_f64 v[15:16], v[15:16], v[29:30], v[23:24]
	v_add_co_ci_u32_e32 v235, vcc_lo, s7, v235, vcc_lo
	v_add_co_u32 v236, vcc_lo, v236, s6
	v_add_co_ci_u32_e32 v237, vcc_lo, s7, v237, vcc_lo
	v_add_co_u32 v238, vcc_lo, v238, s6
	;; [unrolled: 2-line block ×3, first 2 shown]
	v_add_nc_u32_e32 v171, 64, v171
	v_add_co_ci_u32_e32 v241, vcc_lo, s7, v241, vcc_lo
	s_add_i32 s5, s14, 2
	s_add_i32 s1, s14, 1
	;; [unrolled: 1-line block ×3, first 2 shown]
	s_cmp_ge_u32 s5, s26
	s_waitcnt_vscnt null, 0x0
	s_barrier
	buffer_gl0_inv
	v_add_f64 v[0:1], v[0:1], v[5:6]
	v_add_f64 v[2:3], v[2:3], v[7:8]
	v_mul_f64 v[5:6], v[43:44], v[55:56]
	v_mul_f64 v[7:8], v[41:42], v[55:56]
	v_fma_f64 v[9:10], v[17:18], v[25:26], -v[9:10]
	v_fma_f64 v[11:12], v[19:20], v[25:26], v[11:12]
	v_add_f64 v[0:1], v[0:1], v[13:14]
	v_add_f64 v[2:3], v[2:3], v[15:16]
	v_mul_f64 v[13:14], v[39:40], v[67:68]
	v_mul_f64 v[15:16], v[37:38], v[67:68]
	v_fma_f64 v[5:6], v[41:42], v[53:54], -v[5:6]
	v_fma_f64 v[7:8], v[43:44], v[53:54], v[7:8]
	;; [unrolled: 6-line block ×12, first 2 shown]
	v_add_f64 v[0:1], v[0:1], v[5:6]
	v_add_f64 v[2:3], v[2:3], v[7:8]
	v_fma_f64 v[5:6], v[145:146], v[81:82], -v[9:10]
	v_fma_f64 v[7:8], v[147:148], v[81:82], v[11:12]
	s_delay_alu instid0(VALU_DEP_4) | instskip(NEXT) | instid1(VALU_DEP_4)
	v_add_f64 v[0:1], v[0:1], v[13:14]
	v_add_f64 v[2:3], v[2:3], v[15:16]
	s_delay_alu instid0(VALU_DEP_2) | instskip(NEXT) | instid1(VALU_DEP_2)
	v_add_f64 v[0:1], v[0:1], v[5:6]
	v_add_f64 v[2:3], v[2:3], v[7:8]
	s_cbranch_scc1 .LBB18_184
; %bb.183:                              ;   in Loop: Header=BB18_132 Depth=1
	s_mov_b32 s14, s1
	s_delay_alu instid0(SALU_CYCLE_1)
	s_cmp_eq_u32 s15, s14
	s_cselect_b32 s12, s27, 0
	s_and_saveexec_b32 s1, s2
	s_cbranch_execnz .LBB18_128
	s_branch .LBB18_132
.LBB18_184:
	scratch_load_b32 v4, off, off offset:8  ; 4-byte Folded Reload
	v_lshlrev_b32_e32 v12, 4, v170
	v_cmp_gt_i32_e32 vcc_lo, s8, v170
	s_or_b32 s0, s28, vcc_lo
	s_delay_alu instid0(SALU_CYCLE_1)
	s_and_b32 s0, s2, s0
	s_waitcnt vmcnt(0)
	v_mad_u32_u24 v4, 0x430, v4, v12
	ds_store_b128 v4, v[0:3]
	s_waitcnt lgkmcnt(0)
	s_barrier
	buffer_gl0_inv
	s_and_saveexec_b32 s1, s0
	s_cbranch_execz .LBB18_186
; %bb.185:
	ds_load_b128 v[0:3], v12 offset:1072
	ds_load_b128 v[4:7], v12
	s_waitcnt lgkmcnt(0)
	v_add_f64 v[8:9], v[0:1], v[4:5]
	v_add_f64 v[10:11], v[2:3], v[6:7]
	ds_load_b128 v[0:3], v12 offset:2144
	ds_load_b128 v[4:7], v12 offset:3216
	s_waitcnt lgkmcnt(1)
	v_add_f64 v[0:1], v[8:9], v[0:1]
	v_add_f64 v[2:3], v[10:11], v[2:3]
	s_waitcnt lgkmcnt(0)
	s_delay_alu instid0(VALU_DEP_2) | instskip(SKIP_4) | instid1(VALU_DEP_1)
	v_add_f64 v[0:1], v[0:1], v[4:5]
	scratch_load_b64 v[4:5], off, off offset:12 ; 8-byte Folded Reload
	v_add_f64 v[2:3], v[2:3], v[6:7]
	s_waitcnt vmcnt(0)
	v_ashrrev_i32_e32 v5, 31, v4
	v_lshlrev_b64 v[4:5], 4, v[4:5]
	s_delay_alu instid0(VALU_DEP_1) | instskip(NEXT) | instid1(VALU_DEP_2)
	v_add_co_u32 v4, vcc_lo, s3, v4
	v_add_co_ci_u32_e32 v5, vcc_lo, s9, v5, vcc_lo
	global_store_b128 v[4:5], v[0:3], off
.LBB18_186:
	s_nop 0
	s_sendmsg sendmsg(MSG_DEALLOC_VGPRS)
	s_endpgm
	.section	.rodata,"a",@progbits
	.p2align	6, 0x0
	.amdhsa_kernel _ZL26rocblas_hemvn_kernel_upperILb1ELi64ELi4ELi33ELi32ELi16EiPK19rocblas_complex_numIdES3_PS1_EviT6_lT7_lT5_lS6_lS7_lS5_lT8_i
		.amdhsa_group_segment_fixed_size 19200
		.amdhsa_private_segment_fixed_size 24
		.amdhsa_kernarg_size 376
		.amdhsa_user_sgpr_count 14
		.amdhsa_user_sgpr_dispatch_ptr 0
		.amdhsa_user_sgpr_queue_ptr 0
		.amdhsa_user_sgpr_kernarg_segment_ptr 1
		.amdhsa_user_sgpr_dispatch_id 0
		.amdhsa_user_sgpr_private_segment_size 0
		.amdhsa_wavefront_size32 1
		.amdhsa_uses_dynamic_stack 0
		.amdhsa_enable_private_segment 1
		.amdhsa_system_sgpr_workgroup_id_x 1
		.amdhsa_system_sgpr_workgroup_id_y 0
		.amdhsa_system_sgpr_workgroup_id_z 1
		.amdhsa_system_sgpr_workgroup_info 0
		.amdhsa_system_vgpr_workitem_id 1
		.amdhsa_next_free_vgpr 256
		.amdhsa_next_free_sgpr 35
		.amdhsa_reserve_vcc 1
		.amdhsa_float_round_mode_32 0
		.amdhsa_float_round_mode_16_64 0
		.amdhsa_float_denorm_mode_32 3
		.amdhsa_float_denorm_mode_16_64 3
		.amdhsa_dx10_clamp 1
		.amdhsa_ieee_mode 1
		.amdhsa_fp16_overflow 0
		.amdhsa_workgroup_processor_mode 1
		.amdhsa_memory_ordered 1
		.amdhsa_forward_progress 0
		.amdhsa_shared_vgpr_count 0
		.amdhsa_exception_fp_ieee_invalid_op 0
		.amdhsa_exception_fp_denorm_src 0
		.amdhsa_exception_fp_ieee_div_zero 0
		.amdhsa_exception_fp_ieee_overflow 0
		.amdhsa_exception_fp_ieee_underflow 0
		.amdhsa_exception_fp_ieee_inexact 0
		.amdhsa_exception_int_div_zero 0
	.end_amdhsa_kernel
	.section	.text._ZL26rocblas_hemvn_kernel_upperILb1ELi64ELi4ELi33ELi32ELi16EiPK19rocblas_complex_numIdES3_PS1_EviT6_lT7_lT5_lS6_lS7_lS5_lT8_i,"axG",@progbits,_ZL26rocblas_hemvn_kernel_upperILb1ELi64ELi4ELi33ELi32ELi16EiPK19rocblas_complex_numIdES3_PS1_EviT6_lT7_lT5_lS6_lS7_lS5_lT8_i,comdat
.Lfunc_end18:
	.size	_ZL26rocblas_hemvn_kernel_upperILb1ELi64ELi4ELi33ELi32ELi16EiPK19rocblas_complex_numIdES3_PS1_EviT6_lT7_lT5_lS6_lS7_lS5_lT8_i, .Lfunc_end18-_ZL26rocblas_hemvn_kernel_upperILb1ELi64ELi4ELi33ELi32ELi16EiPK19rocblas_complex_numIdES3_PS1_EviT6_lT7_lT5_lS6_lS7_lS5_lT8_i
                                        ; -- End function
	.section	.AMDGPU.csdata,"",@progbits
; Kernel info:
; codeLenInByte = 13064
; NumSgprs: 37
; NumVgprs: 256
; ScratchSize: 24
; MemoryBound: 1
; FloatMode: 240
; IeeeMode: 1
; LDSByteSize: 19200 bytes/workgroup (compile time only)
; SGPRBlocks: 4
; VGPRBlocks: 31
; NumSGPRsForWavesPerEU: 37
; NumVGPRsForWavesPerEU: 256
; Occupancy: 5
; WaveLimiterHint : 1
; COMPUTE_PGM_RSRC2:SCRATCH_EN: 1
; COMPUTE_PGM_RSRC2:USER_SGPR: 14
; COMPUTE_PGM_RSRC2:TRAP_HANDLER: 0
; COMPUTE_PGM_RSRC2:TGID_X_EN: 1
; COMPUTE_PGM_RSRC2:TGID_Y_EN: 0
; COMPUTE_PGM_RSRC2:TGID_Z_EN: 1
; COMPUTE_PGM_RSRC2:TIDIG_COMP_CNT: 1
	.section	.text._ZL36rocblas_hemvn_kernel_upper_block_sumILi64EiPK19rocblas_complex_numIdEPS1_S1_EviT1_lS5_lT2_lT0_lPT3_i,"axG",@progbits,_ZL36rocblas_hemvn_kernel_upper_block_sumILi64EiPK19rocblas_complex_numIdEPS1_S1_EviT1_lS5_lT2_lT0_lPT3_i,comdat
	.globl	_ZL36rocblas_hemvn_kernel_upper_block_sumILi64EiPK19rocblas_complex_numIdEPS1_S1_EviT1_lS5_lT2_lT0_lPT3_i ; -- Begin function _ZL36rocblas_hemvn_kernel_upper_block_sumILi64EiPK19rocblas_complex_numIdEPS1_S1_EviT1_lS5_lT2_lT0_lPT3_i
	.p2align	8
	.type	_ZL36rocblas_hemvn_kernel_upper_block_sumILi64EiPK19rocblas_complex_numIdEPS1_S1_EviT1_lS5_lT2_lT0_lPT3_i,@function
_ZL36rocblas_hemvn_kernel_upper_block_sumILi64EiPK19rocblas_complex_numIdEPS1_S1_EviT1_lS5_lT2_lT0_lPT3_i: ; @_ZL36rocblas_hemvn_kernel_upper_block_sumILi64EiPK19rocblas_complex_numIdEPS1_S1_EviT1_lS5_lT2_lT0_lPT3_i
; %bb.0:
	s_load_b256 s[4:11], s[0:1], 0x8
	s_waitcnt lgkmcnt(0)
	s_mul_i32 s3, s15, s7
	s_mul_hi_u32 s7, s15, s6
	s_mul_i32 s2, s15, s6
	s_add_i32 s3, s7, s3
	s_delay_alu instid0(SALU_CYCLE_1) | instskip(NEXT) | instid1(SALU_CYCLE_1)
	s_lshl_b64 s[2:3], s[2:3], 4
	s_add_u32 s2, s4, s2
	s_addc_u32 s3, s5, s3
	s_load_b128 s[16:19], s[2:3], 0x0
	s_mul_i32 s2, s15, s11
	s_mul_hi_u32 s3, s15, s10
	s_delay_alu instid0(SALU_CYCLE_1) | instskip(SKIP_1) | instid1(SALU_CYCLE_1)
	s_add_i32 s3, s3, s2
	s_mul_i32 s2, s15, s10
	s_lshl_b64 s[2:3], s[2:3], 4
	s_delay_alu instid0(SALU_CYCLE_1)
	s_add_u32 s2, s8, s2
	s_addc_u32 s3, s9, s3
	s_load_b128 s[4:7], s[2:3], 0x0
	s_mov_b32 s3, -1
	s_waitcnt lgkmcnt(0)
	v_cmp_neq_f64_e64 s12, s[16:17], 0
	v_cmp_neq_f64_e64 s13, s[18:19], 0
	s_delay_alu instid0(VALU_DEP_1) | instskip(NEXT) | instid1(SALU_CYCLE_1)
	s_or_b32 s2, s12, s13
	s_and_b32 vcc_lo, exec_lo, s2
	s_cbranch_vccnz .LBB19_2
; %bb.1:
	v_cmp_neq_f64_e64 s3, s[4:5], 1.0
	v_cmp_neq_f64_e64 s8, s[6:7], 0
	s_delay_alu instid0(VALU_DEP_1)
	s_or_b32 s3, s3, s8
.LBB19_2:
	s_delay_alu instid0(SALU_CYCLE_1)
	s_and_not1_b32 vcc_lo, exec_lo, s3
	s_cbranch_vccnz .LBB19_22
; %bb.3:
	s_clause 0x3
	s_load_b128 s[8:11], s[0:1], 0x40
	s_load_b128 s[24:27], s[0:1], 0x28
	s_load_b32 s20, s[0:1], 0x38
	s_load_b32 s12, s[0:1], 0x0
	s_xor_b32 s13, s2, -1
	v_lshl_or_b32 v4, s14, 6, v0
	s_waitcnt lgkmcnt(0)
	s_mul_i32 s3, s15, s9
	s_mul_hi_u32 s9, s15, s8
	s_mul_i32 s2, s15, s8
	s_add_i32 s3, s9, s3
	s_delay_alu instid0(SALU_CYCLE_1) | instskip(NEXT) | instid1(SALU_CYCLE_1)
	s_lshl_b64 s[2:3], s[2:3], 4
	s_add_u32 s21, s24, s2
	s_addc_u32 s22, s25, s3
	s_lshl_b64 s[8:9], s[26:27], 4
	v_cmp_gt_i32_e64 s2, s12, v4
	s_add_u32 s3, s21, s8
	s_addc_u32 s8, s22, s9
	s_and_not1_b32 vcc_lo, exec_lo, s13
	s_mov_b32 s9, 0
	s_cbranch_vccnz .LBB19_8
; %bb.4:
	s_mov_b32 s13, 0
                                        ; implicit-def: $vgpr2_vgpr3
                                        ; implicit-def: $vgpr5_vgpr6
	s_and_saveexec_b32 s21, s2
	s_cbranch_execz .LBB19_9
; %bb.5:
	v_cmp_neq_f64_e64 s2, s[4:5], 0
	v_cmp_neq_f64_e64 s9, s[6:7], 0
	v_mul_lo_u32 v5, v4, s20
	v_mov_b32_e32 v2, 0
	v_mov_b32_e32 v3, 0
	s_delay_alu instid0(VALU_DEP_1) | instskip(NEXT) | instid1(VALU_DEP_4)
	v_dual_mov_b32 v0, v2 :: v_dual_mov_b32 v1, v3
	v_ashrrev_i32_e32 v6, 31, v5
	s_or_b32 s2, s2, s9
	s_delay_alu instid0(SALU_CYCLE_1)
	s_and_not1_b32 vcc_lo, exec_lo, s2
	s_cbranch_vccnz .LBB19_7
; %bb.6:
	s_delay_alu instid0(VALU_DEP_1) | instskip(NEXT) | instid1(VALU_DEP_1)
	v_lshlrev_b64 v[0:1], 4, v[5:6]
	v_add_co_u32 v0, vcc_lo, s3, v0
	s_delay_alu instid0(VALU_DEP_2) | instskip(SKIP_4) | instid1(VALU_DEP_2)
	v_add_co_ci_u32_e32 v1, vcc_lo, s8, v1, vcc_lo
	global_load_b128 v[7:10], v[0:1], off
	s_waitcnt vmcnt(0)
	v_mul_f64 v[0:1], s[6:7], v[9:10]
	v_mul_f64 v[2:3], s[4:5], v[9:10]
	v_fma_f64 v[0:1], s[4:5], v[7:8], -v[0:1]
	s_delay_alu instid0(VALU_DEP_2)
	v_fma_f64 v[2:3], s[6:7], v[7:8], v[2:3]
.LBB19_7:
	s_mov_b32 s9, exec_lo
	s_or_b32 exec_lo, exec_lo, s21
	s_delay_alu instid0(SALU_CYCLE_1)
	s_and_b32 vcc_lo, exec_lo, s13
	s_cbranch_vccnz .LBB19_10
	s_branch .LBB19_20
.LBB19_8:
                                        ; implicit-def: $vgpr2_vgpr3
                                        ; implicit-def: $vgpr5_vgpr6
	s_cbranch_execnz .LBB19_10
	s_branch .LBB19_20
.LBB19_9:
	s_or_b32 exec_lo, exec_lo, s21
	s_delay_alu instid0(SALU_CYCLE_1)
	s_and_b32 vcc_lo, exec_lo, s13
	s_cbranch_vccz .LBB19_20
.LBB19_10:
	s_mov_b32 s2, exec_lo
                                        ; implicit-def: $vgpr2_vgpr3
                                        ; implicit-def: $vgpr5_vgpr6
	v_cmpx_gt_i32_e64 s12, v4
	s_cbranch_execz .LBB19_19
; %bb.11:
	v_mov_b32_e32 v0, 0
	v_mov_b32_e32 v1, 0
	s_cmp_lt_i32 s14, 0
	s_delay_alu instid0(VALU_DEP_1)
	v_dual_mov_b32 v3, v1 :: v_dual_mov_b32 v2, v0
	s_cbranch_scc1 .LBB19_14
; %bb.12:
	s_load_b32 s0, s[0:1], 0x58
	s_ashr_i32 s13, s12, 31
	s_mul_hi_u32 s1, s12, s15
	s_mul_i32 s21, s13, s15
	v_dual_mov_b32 v5, 0 :: v_dual_mov_b32 v0, 0
	s_add_i32 s1, s1, s21
	s_mul_i32 s15, s12, s15
	s_add_i32 s14, s14, 1
	s_delay_alu instid0(VALU_DEP_1)
	v_lshlrev_b64 v[2:3], 4, v[4:5]
	v_mov_b32_e32 v1, 0
	s_waitcnt lgkmcnt(0)
	s_mul_i32 s1, s1, s0
	s_mul_hi_u32 s21, s15, s0
	s_mul_i32 s0, s15, s0
	s_add_i32 s1, s21, s1
	s_delay_alu instid0(SALU_CYCLE_1) | instskip(NEXT) | instid1(SALU_CYCLE_1)
	s_lshl_b64 s[0:1], s[0:1], 4
	s_add_u32 s0, s10, s0
	s_addc_u32 s1, s11, s1
	v_add_co_u32 v2, vcc_lo, s0, v2
	v_add_co_ci_u32_e32 v3, vcc_lo, s1, v3, vcc_lo
	s_lshl_b64 s[0:1], s[12:13], 4
	s_delay_alu instid0(VALU_DEP_2) | instskip(NEXT) | instid1(VALU_DEP_2)
	v_add_co_u32 v5, vcc_lo, v2, 8
	v_add_co_ci_u32_e32 v6, vcc_lo, 0, v3, vcc_lo
	v_dual_mov_b32 v3, v1 :: v_dual_mov_b32 v2, v0
.LBB19_13:                              ; =>This Inner Loop Header: Depth=1
	global_load_b128 v[7:10], v[5:6], off offset:-8
	v_add_co_u32 v5, vcc_lo, v5, s0
	v_add_co_ci_u32_e32 v6, vcc_lo, s1, v6, vcc_lo
	s_add_i32 s14, s14, -1
	s_delay_alu instid0(SALU_CYCLE_1)
	s_cmp_eq_u32 s14, 0
	s_waitcnt vmcnt(0)
	v_add_f64 v[2:3], v[2:3], v[7:8]
	v_add_f64 v[0:1], v[0:1], v[9:10]
	s_cbranch_scc0 .LBB19_13
.LBB19_14:
	s_delay_alu instid0(VALU_DEP_1) | instskip(SKIP_3) | instid1(VALU_DEP_4)
	v_mul_f64 v[5:6], s[18:19], v[0:1]
	v_mul_f64 v[7:8], s[16:17], v[0:1]
	v_cmp_neq_f64_e64 s0, s[4:5], 0
	v_cmp_neq_f64_e64 s1, s[6:7], 0
	v_fma_f64 v[0:1], s[16:17], v[2:3], -v[5:6]
	s_delay_alu instid0(VALU_DEP_4) | instskip(SKIP_1) | instid1(VALU_DEP_4)
	v_fma_f64 v[2:3], s[18:19], v[2:3], v[7:8]
	v_mul_lo_u32 v5, v4, s20
	s_or_b32 s0, s0, s1
	s_delay_alu instid0(SALU_CYCLE_1) | instskip(NEXT) | instid1(VALU_DEP_1)
	s_and_not1_b32 vcc_lo, exec_lo, s0
	v_ashrrev_i32_e32 v6, 31, v5
	s_cbranch_vccz .LBB19_16
; %bb.15:
	s_cbranch_execz .LBB19_17
	s_branch .LBB19_18
.LBB19_16:
.LBB19_17:
	s_delay_alu instid0(VALU_DEP_1) | instskip(NEXT) | instid1(VALU_DEP_1)
	v_lshlrev_b64 v[7:8], 4, v[5:6]
	v_add_co_u32 v7, vcc_lo, s3, v7
	s_delay_alu instid0(VALU_DEP_2) | instskip(SKIP_4) | instid1(VALU_DEP_2)
	v_add_co_ci_u32_e32 v8, vcc_lo, s8, v8, vcc_lo
	global_load_b128 v[7:10], v[7:8], off
	s_waitcnt vmcnt(0)
	v_mul_f64 v[11:12], s[6:7], v[9:10]
	v_mul_f64 v[9:10], s[4:5], v[9:10]
	v_fma_f64 v[11:12], s[4:5], v[7:8], -v[11:12]
	s_delay_alu instid0(VALU_DEP_2) | instskip(NEXT) | instid1(VALU_DEP_2)
	v_fma_f64 v[7:8], s[6:7], v[7:8], v[9:10]
	v_add_f64 v[0:1], v[0:1], v[11:12]
	s_delay_alu instid0(VALU_DEP_2)
	v_add_f64 v[2:3], v[2:3], v[7:8]
.LBB19_18:
	s_or_b32 s9, s9, exec_lo
.LBB19_19:
	s_or_b32 exec_lo, exec_lo, s2
.LBB19_20:
	s_and_saveexec_b32 s0, s9
	s_cbranch_execz .LBB19_22
; %bb.21:
	v_lshlrev_b64 v[4:5], 4, v[5:6]
	s_delay_alu instid0(VALU_DEP_1) | instskip(NEXT) | instid1(VALU_DEP_2)
	v_add_co_u32 v4, vcc_lo, s3, v4
	v_add_co_ci_u32_e32 v5, vcc_lo, s8, v5, vcc_lo
	global_store_b128 v[4:5], v[0:3], off
.LBB19_22:
	s_nop 0
	s_sendmsg sendmsg(MSG_DEALLOC_VGPRS)
	s_endpgm
	.section	.rodata,"a",@progbits
	.p2align	6, 0x0
	.amdhsa_kernel _ZL36rocblas_hemvn_kernel_upper_block_sumILi64EiPK19rocblas_complex_numIdEPS1_S1_EviT1_lS5_lT2_lT0_lPT3_i
		.amdhsa_group_segment_fixed_size 0
		.amdhsa_private_segment_fixed_size 0
		.amdhsa_kernarg_size 344
		.amdhsa_user_sgpr_count 14
		.amdhsa_user_sgpr_dispatch_ptr 0
		.amdhsa_user_sgpr_queue_ptr 0
		.amdhsa_user_sgpr_kernarg_segment_ptr 1
		.amdhsa_user_sgpr_dispatch_id 0
		.amdhsa_user_sgpr_private_segment_size 0
		.amdhsa_wavefront_size32 1
		.amdhsa_uses_dynamic_stack 0
		.amdhsa_enable_private_segment 0
		.amdhsa_system_sgpr_workgroup_id_x 1
		.amdhsa_system_sgpr_workgroup_id_y 0
		.amdhsa_system_sgpr_workgroup_id_z 1
		.amdhsa_system_sgpr_workgroup_info 0
		.amdhsa_system_vgpr_workitem_id 0
		.amdhsa_next_free_vgpr 13
		.amdhsa_next_free_sgpr 28
		.amdhsa_reserve_vcc 1
		.amdhsa_float_round_mode_32 0
		.amdhsa_float_round_mode_16_64 0
		.amdhsa_float_denorm_mode_32 3
		.amdhsa_float_denorm_mode_16_64 3
		.amdhsa_dx10_clamp 1
		.amdhsa_ieee_mode 1
		.amdhsa_fp16_overflow 0
		.amdhsa_workgroup_processor_mode 1
		.amdhsa_memory_ordered 1
		.amdhsa_forward_progress 0
		.amdhsa_shared_vgpr_count 0
		.amdhsa_exception_fp_ieee_invalid_op 0
		.amdhsa_exception_fp_denorm_src 0
		.amdhsa_exception_fp_ieee_div_zero 0
		.amdhsa_exception_fp_ieee_overflow 0
		.amdhsa_exception_fp_ieee_underflow 0
		.amdhsa_exception_fp_ieee_inexact 0
		.amdhsa_exception_int_div_zero 0
	.end_amdhsa_kernel
	.section	.text._ZL36rocblas_hemvn_kernel_upper_block_sumILi64EiPK19rocblas_complex_numIdEPS1_S1_EviT1_lS5_lT2_lT0_lPT3_i,"axG",@progbits,_ZL36rocblas_hemvn_kernel_upper_block_sumILi64EiPK19rocblas_complex_numIdEPS1_S1_EviT1_lS5_lT2_lT0_lPT3_i,comdat
.Lfunc_end19:
	.size	_ZL36rocblas_hemvn_kernel_upper_block_sumILi64EiPK19rocblas_complex_numIdEPS1_S1_EviT1_lS5_lT2_lT0_lPT3_i, .Lfunc_end19-_ZL36rocblas_hemvn_kernel_upper_block_sumILi64EiPK19rocblas_complex_numIdEPS1_S1_EviT1_lS5_lT2_lT0_lPT3_i
                                        ; -- End function
	.section	.AMDGPU.csdata,"",@progbits
; Kernel info:
; codeLenInByte = 968
; NumSgprs: 30
; NumVgprs: 13
; ScratchSize: 0
; MemoryBound: 0
; FloatMode: 240
; IeeeMode: 1
; LDSByteSize: 0 bytes/workgroup (compile time only)
; SGPRBlocks: 3
; VGPRBlocks: 1
; NumSGPRsForWavesPerEU: 30
; NumVGPRsForWavesPerEU: 13
; Occupancy: 16
; WaveLimiterHint : 0
; COMPUTE_PGM_RSRC2:SCRATCH_EN: 0
; COMPUTE_PGM_RSRC2:USER_SGPR: 14
; COMPUTE_PGM_RSRC2:TRAP_HANDLER: 0
; COMPUTE_PGM_RSRC2:TGID_X_EN: 1
; COMPUTE_PGM_RSRC2:TGID_Y_EN: 0
; COMPUTE_PGM_RSRC2:TGID_Z_EN: 1
; COMPUTE_PGM_RSRC2:TIDIG_COMP_CNT: 0
	.section	.text._ZL26rocblas_hemvn_kernel_upperILb1ELi64ELi4ELi33ELi32ELi16El19rocblas_complex_numIdEPKS1_PS1_EviT6_lT7_lT5_lS6_lS7_lS5_lT8_i,"axG",@progbits,_ZL26rocblas_hemvn_kernel_upperILb1ELi64ELi4ELi33ELi32ELi16El19rocblas_complex_numIdEPKS1_PS1_EviT6_lT7_lT5_lS6_lS7_lS5_lT8_i,comdat
	.globl	_ZL26rocblas_hemvn_kernel_upperILb1ELi64ELi4ELi33ELi32ELi16El19rocblas_complex_numIdEPKS1_PS1_EviT6_lT7_lT5_lS6_lS7_lS5_lT8_i ; -- Begin function _ZL26rocblas_hemvn_kernel_upperILb1ELi64ELi4ELi33ELi32ELi16El19rocblas_complex_numIdEPKS1_PS1_EviT6_lT7_lT5_lS6_lS7_lS5_lT8_i
	.p2align	8
	.type	_ZL26rocblas_hemvn_kernel_upperILb1ELi64ELi4ELi33ELi32ELi16El19rocblas_complex_numIdEPKS1_PS1_EviT6_lT7_lT5_lS6_lS7_lS5_lT8_i,@function
_ZL26rocblas_hemvn_kernel_upperILb1ELi64ELi4ELi33ELi32ELi16El19rocblas_complex_numIdEPKS1_PS1_EviT6_lT7_lT5_lS6_lS7_lS5_lT8_i: ; @_ZL26rocblas_hemvn_kernel_upperILb1ELi64ELi4ELi33ELi32ELi16El19rocblas_complex_numIdEPKS1_PS1_EviT6_lT7_lT5_lS6_lS7_lS5_lT8_i
; %bb.0:
	s_load_b64 s[4:5], s[0:1], 0x94
	s_add_u32 s2, s0, 0x88
	s_addc_u32 s3, s1, 0
	s_waitcnt lgkmcnt(0)
	s_lshr_b32 s6, s4, 16
	s_and_b32 s4, s4, 0xffff
	s_and_b32 s5, s5, 0xffff
	s_mul_i32 s4, s6, s4
	s_delay_alu instid0(SALU_CYCLE_1) | instskip(NEXT) | instid1(SALU_CYCLE_1)
	s_mul_i32 s4, s4, s5
	s_cmpk_lg_i32 s4, 0x100
	s_cbranch_scc1 .LBB20_186
; %bb.1:
	s_load_b128 s[4:7], s[0:1], 0x8
	s_waitcnt lgkmcnt(0)
	v_cmp_neq_f64_e64 s4, s[4:5], 0
	v_cmp_neq_f64_e64 s5, s[6:7], 0
	s_delay_alu instid0(VALU_DEP_1)
	s_or_b32 s4, s4, s5
	s_mov_b32 s5, -1
	s_and_b32 vcc_lo, exec_lo, s4
	s_cbranch_vccnz .LBB20_3
; %bb.2:
	s_load_b128 s[8:11], s[0:1], 0x60
	s_waitcnt lgkmcnt(0)
	v_cmp_neq_f64_e64 s5, s[8:9], 1.0
	v_cmp_neq_f64_e64 s6, s[10:11], 0
	s_delay_alu instid0(VALU_DEP_1)
	s_or_b32 s5, s5, s6
.LBB20_3:
	s_delay_alu instid0(SALU_CYCLE_1)
	s_and_not1_b32 vcc_lo, exec_lo, s5
	s_cbranch_vccnz .LBB20_186
; %bb.4:
	s_and_not1_b32 vcc_lo, exec_lo, s4
	s_cbranch_vccnz .LBB20_186
; %bb.5:
	s_load_b512 s[16:31], s[0:1], 0x20
	v_and_b32_e32 v183, 0x3ff, v0
	s_load_b32 s9, s[2:3], 0x0
	v_bfe_u32 v0, v0, 10, 10
	scratch_store_b32 off, v0, off offset:4 ; 4-byte Folded Spill
	s_waitcnt lgkmcnt(0)
	s_mul_i32 s5, s15, s31
	s_mul_hi_u32 s6, s15, s30
	s_mul_i32 s4, s15, s30
	s_add_i32 s5, s6, s5
	s_load_b32 s30, s[0:1], 0x0
	s_lshl_b64 s[4:5], s[4:5], 4
	s_delay_alu instid0(SALU_CYCLE_1) | instskip(SKIP_2) | instid1(SALU_CYCLE_1)
	s_add_u32 s6, s24, s4
	s_addc_u32 s7, s25, s5
	s_lshl_b64 s[4:5], s[26:27], 4
	s_add_u32 s4, s6, s4
	s_addc_u32 s5, s7, s5
	s_lshl_b32 s12, s14, 6
	s_add_i32 s3, s9, -1
	v_add_nc_u32_e32 v4, s12, v183
	s_delay_alu instid0(VALU_DEP_1)
	v_ashrrev_i32_e32 v5, 31, v4
	v_mul_lo_u32 v3, v4, s29
	v_mad_u64_u32 v[1:2], null, v4, s28, 0
	s_waitcnt lgkmcnt(0)
	s_ashr_i32 s25, s30, 31
	scratch_store_b64 off, v[4:5], off offset:8 ; 8-byte Folded Spill
	v_mul_lo_u32 v4, v5, s28
	s_lshr_b32 s2, s25, 26
	s_delay_alu instid0(SALU_CYCLE_1) | instskip(NEXT) | instid1(SALU_CYCLE_1)
	s_add_i32 s2, s30, s2
	s_and_not1_b32 s2, s2, 63
	s_delay_alu instid0(SALU_CYCLE_1) | instskip(NEXT) | instid1(VALU_DEP_1)
	s_sub_i32 s24, s30, s2
	v_add3_u32 v2, v2, v3, v4
	v_cmp_eq_u32_e64 s2, 0, v0
	s_cmp_eq_u32 s14, s3
	s_cselect_b32 s10, s24, 0
	s_delay_alu instid0(VALU_DEP_2) | instskip(NEXT) | instid1(VALU_DEP_1)
	v_lshlrev_b64 v[1:2], 4, v[1:2]
	v_add_co_u32 v38, vcc_lo, s4, v1
	s_delay_alu instid0(VALU_DEP_2)
	v_add_co_ci_u32_e32 v39, vcc_lo, s5, v2, vcc_lo
	s_mov_b32 s4, -1
	s_and_saveexec_b32 s3, s2
	s_cbranch_execz .LBB20_10
; %bb.6:
	v_cmp_le_i32_e32 vcc_lo, s10, v183
	s_cmp_lg_u32 s10, 0
	v_lshl_add_u32 v0, v183, 4, 0x4700
	s_cselect_b32 s5, -1, 0
	s_delay_alu instid0(SALU_CYCLE_1) | instskip(NEXT) | instid1(SALU_CYCLE_1)
	s_and_b32 s5, s5, vcc_lo
	s_and_saveexec_b32 s6, s5
	s_delay_alu instid0(SALU_CYCLE_1)
	s_xor_b32 s5, exec_lo, s6
	s_cbranch_execz .LBB20_8
; %bb.7:
	v_mov_b32_e32 v1, 0
	s_delay_alu instid0(VALU_DEP_1)
	v_mov_b32_e32 v2, v1
	v_mov_b32_e32 v3, v1
	;; [unrolled: 1-line block ×3, first 2 shown]
	ds_store_b128 v0, v[1:4]
                                        ; implicit-def: $vgpr0
.LBB20_8:
	s_and_not1_saveexec_b32 s5, s5
	s_cbranch_execz .LBB20_10
; %bb.9:
	global_load_b128 v[1:4], v[38:39], off
	s_waitcnt vmcnt(0)
	ds_store_2addr_b64 v0, v[1:2], v[3:4] offset1:1
.LBB20_10:
	s_or_b32 exec_lo, exec_lo, s3
	scratch_load_b32 v0, off, off offset:4  ; 4-byte Folded Reload
	v_dual_mov_b32 v5, 0 :: v_dual_and_b32 v4, 31, v183
	s_mul_i32 s3, s15, s23
	s_mul_hi_u32 s5, s15, s22
	s_mul_i32 s6, s15, s22
	s_add_i32 s7, s5, s3
	v_lshlrev_b32_e32 v13, 4, v4
	s_lshl_b64 s[6:7], s[6:7], 4
	s_delay_alu instid0(SALU_CYCLE_1) | instskip(SKIP_2) | instid1(SALU_CYCLE_1)
	s_add_u32 s3, s16, s6
	s_addc_u32 s5, s17, s7
	s_lshl_b64 s[6:7], s[18:19], 4
	s_add_u32 s3, s3, s6
	s_addc_u32 s5, s5, s7
	s_ashr_i32 s13, s12, 31
	s_delay_alu instid0(SALU_CYCLE_1) | instskip(NEXT) | instid1(SALU_CYCLE_1)
	s_lshl_b64 s[6:7], s[12:13], 4
	s_add_u32 s3, s3, s6
	s_addc_u32 s5, s5, s7
	s_mul_i32 s6, s12, s21
	s_mul_hi_u32 s7, s12, s20
	s_delay_alu instid0(SALU_CYCLE_1) | instskip(SKIP_1) | instid1(SALU_CYCLE_1)
	s_add_i32 s6, s7, s6
	s_mul_i32 s7, s13, s20
	s_add_i32 s7, s6, s7
	s_mul_i32 s6, s12, s20
	s_delay_alu instid0(SALU_CYCLE_1) | instskip(NEXT) | instid1(SALU_CYCLE_1)
	s_lshl_b64 s[6:7], s[6:7], 4
	s_add_u32 s3, s6, s3
	s_addc_u32 s5, s7, s5
	s_cmp_eq_u32 s10, 0
	s_cselect_b32 s18, -1, 0
	s_cmp_lg_u32 s10, 0
	s_cselect_b32 s19, -1, 0
	s_delay_alu instid0(SALU_CYCLE_1) | instskip(SKIP_2) | instid1(VALU_DEP_1)
	s_and_b32 vcc_lo, exec_lo, s19
	s_waitcnt vmcnt(0)
	v_lshl_add_u32 v42, v0, 6, v183
	v_lshrrev_b32_e32 v11, 5, v42
	s_delay_alu instid0(VALU_DEP_1) | instskip(SKIP_1) | instid1(VALU_DEP_2)
	v_mad_u64_u32 v[0:1], null, v11, s20, v[4:5]
	v_mul_u32_u24_e32 v12, 33, v11
	v_mad_u64_u32 v[2:3], null, v11, s21, v[1:2]
	s_delay_alu instid0(VALU_DEP_1) | instskip(NEXT) | instid1(VALU_DEP_1)
	v_mov_b32_e32 v1, v2
	v_lshlrev_b64 v[36:37], 4, v[0:1]
	s_delay_alu instid0(VALU_DEP_1) | instskip(NEXT) | instid1(VALU_DEP_1)
	v_add_co_u32 v0, s3, s3, v36
	v_add_co_ci_u32_e64 v1, s3, s5, v37, s3
	v_cmp_gt_i32_e64 s3, s10, v4
	s_cbranch_vccz .LBB20_28
; %bb.11:
	s_delay_alu instid0(VALU_DEP_3)
	v_sub_co_u32 v2, vcc_lo, v0, v13
	s_ashr_i32 s11, s10, 31
	v_subrev_co_ci_u32_e32 v3, vcc_lo, 0, v1, vcc_lo
	s_lshl_b64 s[4:5], s[10:11], 4
	v_add_lshl_u32 v5, v12, v4, 4
	v_add_co_u32 v2, vcc_lo, v2, s4
	s_delay_alu instid0(VALU_DEP_3) | instskip(SKIP_1) | instid1(VALU_DEP_2)
	v_add_co_ci_u32_e32 v3, vcc_lo, s5, v3, vcc_lo
	s_mov_b32 s6, exec_lo
	v_add_co_u32 v2, vcc_lo, v2, -16
	s_delay_alu instid0(VALU_DEP_2) | instskip(NEXT) | instid1(VALU_DEP_2)
	v_add_co_ci_u32_e32 v3, vcc_lo, -1, v3, vcc_lo
	v_cndmask_b32_e64 v2, v2, v0, s3
	s_delay_alu instid0(VALU_DEP_2)
	v_cndmask_b32_e64 v3, v3, v1, s3
	v_cmpx_le_i32_e64 s10, v11
	s_xor_b32 s6, exec_lo, s6
	s_cbranch_execz .LBB20_13
; %bb.12:
	v_mov_b32_e32 v6, 0
	s_delay_alu instid0(VALU_DEP_1)
	v_mov_b32_e32 v7, v6
	v_mov_b32_e32 v8, v6
	;; [unrolled: 1-line block ×3, first 2 shown]
	ds_store_b128 v5, v[6:9]
.LBB20_13:
	s_and_not1_saveexec_b32 s6, s6
	s_cbranch_execz .LBB20_15
; %bb.14:
	global_load_b128 v[6:9], v[2:3], off
	s_waitcnt vmcnt(0)
	ds_store_2addr_b64 v5, v[6:7], v[8:9] offset1:1
.LBB20_15:
	s_or_b32 exec_lo, exec_lo, s6
	v_add_nc_u32_e32 v6, 8, v11
	s_mov_b32 s6, exec_lo
	s_delay_alu instid0(VALU_DEP_1)
	v_cmpx_le_i32_e64 s10, v6
	s_xor_b32 s6, exec_lo, s6
	s_cbranch_execz .LBB20_17
; %bb.16:
	v_mul_u32_u24_e32 v7, 33, v6
	v_mov_b32_e32 v6, 0
	s_delay_alu instid0(VALU_DEP_2) | instskip(NEXT) | instid1(VALU_DEP_2)
	v_add_lshl_u32 v10, v7, v4, 4
	v_mov_b32_e32 v7, v6
	v_mov_b32_e32 v8, v6
	;; [unrolled: 1-line block ×3, first 2 shown]
	ds_store_b128 v10, v[6:9]
.LBB20_17:
	s_and_not1_saveexec_b32 s6, s6
	s_cbranch_execz .LBB20_19
; %bb.18:
	s_lshl_b64 s[16:17], s[20:21], 7
	v_add_nc_u32_e32 v10, 0x1080, v5
	v_add_co_u32 v6, vcc_lo, v2, s16
	v_add_co_ci_u32_e32 v7, vcc_lo, s17, v3, vcc_lo
	global_load_b128 v[6:9], v[6:7], off
	s_waitcnt vmcnt(0)
	ds_store_2addr_b64 v10, v[6:7], v[8:9] offset1:1
.LBB20_19:
	s_or_b32 exec_lo, exec_lo, s6
	v_add_nc_u32_e32 v6, 16, v11
	s_mov_b32 s6, exec_lo
	s_delay_alu instid0(VALU_DEP_1)
	v_cmpx_le_i32_e64 s10, v6
	s_xor_b32 s6, exec_lo, s6
	s_cbranch_execz .LBB20_21
; %bb.20:
	v_mov_b32_e32 v6, 0
	s_delay_alu instid0(VALU_DEP_1)
	v_mov_b32_e32 v7, v6
	v_mov_b32_e32 v8, v6
	;; [unrolled: 1-line block ×3, first 2 shown]
	ds_store_b128 v5, v[6:9] offset:8448
.LBB20_21:
	s_and_not1_saveexec_b32 s6, s6
	s_cbranch_execz .LBB20_23
; %bb.22:
	s_lshl_b64 s[16:17], s[20:21], 8
	v_add_nc_u32_e32 v10, 0x2100, v5
	v_add_co_u32 v6, vcc_lo, v2, s16
	v_add_co_ci_u32_e32 v7, vcc_lo, s17, v3, vcc_lo
	global_load_b128 v[6:9], v[6:7], off
	s_waitcnt vmcnt(0)
	ds_store_2addr_b64 v10, v[6:7], v[8:9] offset1:1
.LBB20_23:
	s_or_b32 exec_lo, exec_lo, s6
	v_add_nc_u32_e32 v6, 24, v11
	s_mov_b32 s6, exec_lo
	s_delay_alu instid0(VALU_DEP_1)
	v_cmpx_le_i32_e64 s10, v6
	s_xor_b32 s6, exec_lo, s6
	s_cbranch_execz .LBB20_25
; %bb.24:
	v_mov_b32_e32 v6, 0
	s_delay_alu instid0(VALU_DEP_1)
	v_mov_b32_e32 v7, v6
	v_mov_b32_e32 v8, v6
	;; [unrolled: 1-line block ×3, first 2 shown]
	ds_store_b128 v5, v[6:9] offset:12672
                                        ; implicit-def: $vgpr5
.LBB20_25:
	s_and_not1_saveexec_b32 s6, s6
	s_cbranch_execz .LBB20_27
; %bb.26:
	v_mad_u64_u32 v[6:7], null, 0x180, s20, v[2:3]
	v_add_nc_u32_e32 v5, 0x3180, v5
	s_delay_alu instid0(VALU_DEP_2) | instskip(NEXT) | instid1(VALU_DEP_1)
	v_mad_u64_u32 v[8:9], null, 0x180, s21, v[7:8]
	v_mov_b32_e32 v7, v8
	global_load_b128 v[6:9], v[6:7], off
	s_waitcnt vmcnt(0)
	ds_store_2addr_b64 v5, v[6:7], v[8:9] offset1:1
.LBB20_27:
	s_or_b32 exec_lo, exec_lo, s6
	v_add_co_u32 v2, vcc_lo, v2, v13
	v_add_co_ci_u32_e32 v3, vcc_lo, 0, v3, vcc_lo
	s_delay_alu instid0(VALU_DEP_2) | instskip(NEXT) | instid1(VALU_DEP_2)
	v_sub_co_u32 v2, vcc_lo, v2, s4
	v_subrev_co_ci_u32_e32 v3, vcc_lo, s5, v3, vcc_lo
	s_delay_alu instid0(VALU_DEP_2) | instskip(NEXT) | instid1(VALU_DEP_2)
	v_add_co_u32 v2, vcc_lo, v2, 16
	v_add_co_ci_u32_e32 v3, vcc_lo, 0, v3, vcc_lo
	s_delay_alu instid0(VALU_DEP_2) | instskip(NEXT) | instid1(VALU_DEP_2)
	v_cndmask_b32_e64 v5, v2, v0, s3
	v_cndmask_b32_e64 v6, v3, v1, s3
	s_branch .LBB20_30
.LBB20_28:
                                        ; implicit-def: $vgpr5_vgpr6
	s_and_b32 vcc_lo, exec_lo, s4
	s_cbranch_vccz .LBB20_30
; %bb.29:
	v_mad_u64_u32 v[2:3], null, 0x180, s20, v[0:1]
	s_lshl_b64 s[4:5], s[20:21], 7
	s_delay_alu instid0(SALU_CYCLE_1) | instskip(SKIP_1) | instid1(VALU_DEP_3)
	v_add_co_u32 v14, vcc_lo, v0, s4
	v_add_co_ci_u32_e32 v15, vcc_lo, s5, v1, vcc_lo
	v_mad_u64_u32 v[5:6], null, 0x180, s21, v[3:4]
	s_delay_alu instid0(VALU_DEP_3) | instskip(NEXT) | instid1(VALU_DEP_3)
	v_add_co_u32 v18, vcc_lo, v14, s4
	v_add_co_ci_u32_e32 v19, vcc_lo, s5, v15, vcc_lo
	s_delay_alu instid0(VALU_DEP_3)
	v_mov_b32_e32 v3, v5
	s_clause 0x1
	global_load_b128 v[7:10], v[0:1], off
	global_load_b128 v[14:17], v[14:15], off
	;; [unrolled: 1-line block ×4, first 2 shown]
	v_add_lshl_u32 v2, v12, v4, 4
	v_dual_mov_b32 v6, v1 :: v_dual_mov_b32 v5, v0
	s_delay_alu instid0(VALU_DEP_2)
	v_add_nc_u32_e32 v26, 0x2100, v2
	v_add_nc_u32_e32 v3, 0x1080, v2
	;; [unrolled: 1-line block ×3, first 2 shown]
	s_waitcnt vmcnt(3)
	ds_store_2addr_b64 v2, v[7:8], v[9:10] offset1:1
	s_waitcnt vmcnt(2)
	ds_store_2addr_b64 v3, v[14:15], v[16:17] offset1:1
	;; [unrolled: 2-line block ×4, first 2 shown]
.LBB20_30:
	v_lshlrev_b32_e32 v18, 2, v11
	s_waitcnt lgkmcnt(0)
	s_waitcnt_vscnt null, 0x0
	s_barrier
	buffer_gl0_inv
	v_cmp_le_u32_e64 s4, v18, v4
	s_delay_alu instid0(VALU_DEP_1) | instskip(NEXT) | instid1(SALU_CYCLE_1)
	s_and_saveexec_b32 s3, s4
	s_xor_b32 s3, exec_lo, s3
	s_cbranch_execz .LBB20_34
; %bb.31:
	s_mov_b32 s5, exec_lo
	v_cmpx_eq_u32_e64 v18, v4
	s_cbranch_execz .LBB20_33
; %bb.32:
	v_mul_u32_u24_e32 v1, 34, v4
	v_mov_b32_e32 v0, 0
	s_delay_alu instid0(VALU_DEP_1)
	v_dual_mov_b32 v1, v0 :: v_dual_lshlrev_b32 v2, 4, v1
	ds_store_b64 v2, v[0:1] offset:8
.LBB20_33:
	s_or_b32 exec_lo, exec_lo, s5
.LBB20_34:
	s_or_saveexec_b32 s3, s3
	v_mul_u32_u24_e32 v14, 33, v4
	v_mul_u32_u24_e32 v1, 0x84, v11
	s_delay_alu instid0(VALU_DEP_2)
	v_add_lshl_u32 v16, v18, v14, 4
	s_xor_b32 exec_lo, exec_lo, s3
	s_cbranch_execz .LBB20_36
; %bb.35:
	s_delay_alu instid0(VALU_DEP_2)
	v_add_lshl_u32 v0, v1, v4, 4
	ds_load_b128 v[7:10], v0
	s_waitcnt lgkmcnt(0)
	v_xor_b32_e32 v10, 0x80000000, v10
	ds_store_b128 v16, v[7:10]
.LBB20_36:
	s_or_b32 exec_lo, exec_lo, s3
	v_or_b32_e32 v17, 1, v18
	v_cmp_ge_u32_e64 s5, v18, v4
	s_delay_alu instid0(VALU_DEP_2) | instskip(NEXT) | instid1(VALU_DEP_2)
	v_mul_u32_u24_e32 v0, 33, v17
	s_and_saveexec_b32 s3, s5
	s_delay_alu instid0(SALU_CYCLE_1)
	s_xor_b32 s3, exec_lo, s3
	s_cbranch_execz .LBB20_38
; %bb.37:
	s_delay_alu instid0(VALU_DEP_1)
	v_add_lshl_u32 v2, v0, v4, 4
	ds_load_b128 v[7:10], v2
	s_waitcnt lgkmcnt(0)
	v_xor_b32_e32 v10, 0x80000000, v10
	ds_store_b128 v16, v[7:10] offset:16
.LBB20_38:
	s_and_not1_saveexec_b32 s3, s3
	s_cbranch_execz .LBB20_42
; %bb.39:
	s_mov_b32 s6, exec_lo
	v_cmpx_eq_u32_e64 v17, v4
	s_cbranch_execz .LBB20_41
; %bb.40:
	v_mul_u32_u24_e32 v3, 34, v4
	s_delay_alu instid0(VALU_DEP_1) | instskip(NEXT) | instid1(VALU_DEP_1)
	v_dual_mov_b32 v2, 0 :: v_dual_lshlrev_b32 v7, 4, v3
	v_mov_b32_e32 v3, v2
	ds_store_b64 v7, v[2:3] offset:8
.LBB20_41:
	s_or_b32 exec_lo, exec_lo, s6
.LBB20_42:
	s_delay_alu instid0(SALU_CYCLE_1) | instskip(SKIP_1) | instid1(VALU_DEP_1)
	s_or_b32 exec_lo, exec_lo, s3
	v_or_b32_e32 v19, 2, v18
	v_cmp_le_u32_e64 s6, v19, v4
	s_delay_alu instid0(VALU_DEP_1) | instskip(NEXT) | instid1(SALU_CYCLE_1)
	s_and_saveexec_b32 s3, s6
	s_xor_b32 s3, exec_lo, s3
	s_cbranch_execz .LBB20_46
; %bb.43:
	s_mov_b32 s7, exec_lo
	v_cmpx_eq_u32_e64 v19, v4
	s_cbranch_execz .LBB20_45
; %bb.44:
	v_mul_u32_u24_e32 v3, 34, v4
	s_delay_alu instid0(VALU_DEP_1) | instskip(NEXT) | instid1(VALU_DEP_1)
	v_dual_mov_b32 v2, 0 :: v_dual_lshlrev_b32 v7, 4, v3
	v_mov_b32_e32 v3, v2
	ds_store_b64 v7, v[2:3] offset:8
.LBB20_45:
	s_or_b32 exec_lo, exec_lo, s7
.LBB20_46:
	s_and_not1_saveexec_b32 s3, s3
	s_cbranch_execz .LBB20_48
; %bb.47:
	v_mul_u32_u24_e32 v2, 33, v19
	s_delay_alu instid0(VALU_DEP_1)
	v_add_lshl_u32 v2, v2, v4, 4
	ds_load_b128 v[7:10], v2
	s_waitcnt lgkmcnt(0)
	v_xor_b32_e32 v10, 0x80000000, v10
	ds_store_b128 v16, v[7:10] offset:32
.LBB20_48:
	s_or_b32 exec_lo, exec_lo, s3
	v_or_b32_e32 v20, 3, v18
	s_delay_alu instid0(VALU_DEP_1) | instskip(NEXT) | instid1(VALU_DEP_1)
	v_cmp_le_u32_e64 s7, v20, v4
	s_and_saveexec_b32 s3, s7
	s_delay_alu instid0(SALU_CYCLE_1)
	s_xor_b32 s3, exec_lo, s3
	s_cbranch_execz .LBB20_52
; %bb.49:
	s_mov_b32 s8, exec_lo
	v_cmpx_eq_u32_e64 v20, v4
	s_cbranch_execz .LBB20_51
; %bb.50:
	v_mul_u32_u24_e32 v3, 34, v4
	s_delay_alu instid0(VALU_DEP_1) | instskip(NEXT) | instid1(VALU_DEP_1)
	v_dual_mov_b32 v2, 0 :: v_dual_lshlrev_b32 v7, 4, v3
	v_mov_b32_e32 v3, v2
	ds_store_b64 v7, v[2:3] offset:8
.LBB20_51:
	s_or_b32 exec_lo, exec_lo, s8
.LBB20_52:
	s_and_not1_saveexec_b32 s3, s3
	s_cbranch_execz .LBB20_54
; %bb.53:
	v_mul_u32_u24_e32 v2, 33, v20
	s_delay_alu instid0(VALU_DEP_1)
	v_add_lshl_u32 v2, v2, v4, 4
	ds_load_b128 v[7:10], v2
	s_waitcnt lgkmcnt(0)
	v_xor_b32_e32 v10, 0x80000000, v10
	ds_store_b128 v16, v[7:10] offset:48
.LBB20_54:
	s_or_b32 exec_lo, exec_lo, s3
	v_add_lshl_u32 v15, v1, v4, 4
	v_lshlrev_b32_e32 v21, 4, v18
	s_waitcnt lgkmcnt(0)
	s_barrier
	buffer_gl0_inv
	ds_load_b128 v[7:10], v15
	ds_load_b128 v[22:25], v21 offset:18176
	v_add_lshl_u32 v45, v0, v4, 4
	ds_load_b128 v[0:3], v21 offset:18192
	ds_load_b128 v[26:29], v45
	v_cmp_gt_u32_e64 s3, 32, v42
	s_waitcnt lgkmcnt(2)
	v_mul_f64 v[30:31], v[24:25], v[9:10]
	v_mul_f64 v[9:10], v[22:23], v[9:10]
	s_waitcnt lgkmcnt(0)
	v_mul_f64 v[40:41], v[2:3], v[28:29]
	v_mul_f64 v[43:44], v[0:1], v[28:29]
	s_delay_alu instid0(VALU_DEP_4) | instskip(NEXT) | instid1(VALU_DEP_4)
	v_fma_f64 v[46:47], v[22:23], v[7:8], -v[30:31]
	v_fma_f64 v[48:49], v[24:25], v[7:8], v[9:10]
	ds_load_b128 v[7:10], v45 offset:528
	ds_load_b128 v[22:25], v21 offset:18208
	;; [unrolled: 1-line block ×4, first 2 shown]
	s_waitcnt lgkmcnt(0)
	s_barrier
	v_fma_f64 v[0:1], v[0:1], v[26:27], -v[40:41]
	v_fma_f64 v[2:3], v[2:3], v[26:27], v[43:44]
	buffer_gl0_inv
	v_mul_f64 v[50:51], v[24:25], v[9:10]
	v_mul_f64 v[9:10], v[22:23], v[9:10]
	;; [unrolled: 1-line block ×4, first 2 shown]
	v_add_f64 v[26:27], v[46:47], 0
	v_add_f64 v[40:41], v[48:49], 0
	v_fma_f64 v[22:23], v[22:23], v[7:8], -v[50:51]
	v_fma_f64 v[7:8], v[24:25], v[7:8], v[9:10]
	v_fma_f64 v[9:10], v[28:29], v[32:33], -v[43:44]
	v_fma_f64 v[24:25], v[30:31], v[32:33], v[34:35]
	v_add_lshl_u32 v44, v11, v14, 4
	v_add_f64 v[0:1], v[26:27], v[0:1]
	v_add_f64 v[2:3], v[40:41], v[2:3]
	s_delay_alu instid0(VALU_DEP_2) | instskip(NEXT) | instid1(VALU_DEP_2)
	v_add_f64 v[0:1], v[0:1], v[22:23]
	v_add_f64 v[2:3], v[2:3], v[7:8]
	s_delay_alu instid0(VALU_DEP_2) | instskip(SKIP_1) | instid1(VALU_DEP_3)
	v_add_f64 v[7:8], v[0:1], v[9:10]
	v_mov_b32_e32 v0, 0
	v_add_f64 v[9:10], v[2:3], v[24:25]
	v_mov_b32_e32 v1, 0
	v_lshlrev_b32_e32 v43, 4, v14
	s_delay_alu instid0(VALU_DEP_2)
	v_dual_mov_b32 v3, v1 :: v_dual_mov_b32 v2, v0
	ds_store_b128 v44, v[7:10]
	s_waitcnt lgkmcnt(0)
	s_barrier
	buffer_gl0_inv
	s_and_saveexec_b32 s8, s3
	s_cbranch_execz .LBB20_56
; %bb.55:
	ds_load_b128 v[0:3], v43
	ds_load_b128 v[7:10], v43 offset:16
	s_waitcnt lgkmcnt(0)
	v_add_f64 v[22:23], v[7:8], v[0:1]
	v_add_f64 v[24:25], v[9:10], v[2:3]
	ds_load_b128 v[0:3], v43 offset:32
	ds_load_b128 v[7:10], v43 offset:48
	s_waitcnt lgkmcnt(1)
	v_add_f64 v[0:1], v[22:23], v[0:1]
	v_add_f64 v[2:3], v[24:25], v[2:3]
	s_waitcnt lgkmcnt(0)
	s_delay_alu instid0(VALU_DEP_2) | instskip(NEXT) | instid1(VALU_DEP_2)
	v_add_f64 v[22:23], v[0:1], v[7:8]
	v_add_f64 v[24:25], v[2:3], v[9:10]
	ds_load_b128 v[0:3], v43 offset:64
	ds_load_b128 v[7:10], v43 offset:80
	s_waitcnt lgkmcnt(1)
	v_add_f64 v[0:1], v[22:23], v[0:1]
	v_add_f64 v[2:3], v[24:25], v[2:3]
	s_waitcnt lgkmcnt(0)
	s_delay_alu instid0(VALU_DEP_2) | instskip(NEXT) | instid1(VALU_DEP_2)
	v_add_f64 v[22:23], v[0:1], v[7:8]
	v_add_f64 v[24:25], v[2:3], v[9:10]
	ds_load_b128 v[0:3], v43 offset:96
	ds_load_b128 v[7:10], v43 offset:112
	s_waitcnt lgkmcnt(1)
	v_add_f64 v[0:1], v[22:23], v[0:1]
	v_add_f64 v[2:3], v[24:25], v[2:3]
	s_waitcnt lgkmcnt(0)
	s_delay_alu instid0(VALU_DEP_2) | instskip(NEXT) | instid1(VALU_DEP_2)
	v_add_f64 v[0:1], v[0:1], v[7:8]
	v_add_f64 v[2:3], v[2:3], v[9:10]
.LBB20_56:
	s_or_b32 exec_lo, exec_lo, s8
	s_lshl_b64 s[16:17], s[20:21], 9
	s_delay_alu instid0(SALU_CYCLE_1) | instskip(SKIP_2) | instid1(VALU_DEP_2)
	v_add_co_u32 v9, vcc_lo, v5, s16
	v_add_co_ci_u32_e32 v10, vcc_lo, s17, v6, vcc_lo
	s_barrier
	v_add_co_u32 v7, vcc_lo, 0x200, v9
	s_delay_alu instid0(VALU_DEP_2)
	v_add_co_ci_u32_e32 v8, vcc_lo, 0, v10, vcc_lo
	s_and_b32 vcc_lo, exec_lo, s19
	buffer_gl0_inv
	s_cbranch_vccz .LBB20_74
; %bb.57:
	v_sub_co_u32 v5, vcc_lo, v7, v13
	s_ashr_i32 s11, s10, 31
	v_subrev_co_ci_u32_e32 v6, vcc_lo, 0, v8, vcc_lo
	s_lshl_b64 s[16:17], s[10:11], 4
	v_or_b32_e32 v22, 32, v4
	v_add_co_u32 v5, vcc_lo, v5, s16
	s_delay_alu instid0(VALU_DEP_3) | instskip(SKIP_1) | instid1(VALU_DEP_2)
	v_add_co_ci_u32_e32 v6, vcc_lo, s17, v6, vcc_lo
	s_sub_i32 s11, s10, 32
	v_add_co_u32 v5, vcc_lo, 0xfffffdf0, v5
	s_delay_alu instid0(VALU_DEP_2) | instskip(SKIP_3) | instid1(VALU_DEP_4)
	v_add_co_ci_u32_e32 v6, vcc_lo, -1, v6, vcc_lo
	v_cmp_gt_i32_e32 vcc_lo, s10, v22
	v_cmp_le_i32_e64 s8, s11, v11
	v_add_lshl_u32 v22, v12, v4, 4
	v_dual_cndmask_b32 v6, v6, v8 :: v_dual_cndmask_b32 v5, v5, v7
	s_delay_alu instid0(VALU_DEP_3) | instskip(NEXT) | instid1(SALU_CYCLE_1)
	s_and_saveexec_b32 s22, s8
	s_xor_b32 s8, exec_lo, s22
	s_cbranch_execz .LBB20_59
; %bb.58:
	v_mov_b32_e32 v23, 0
	s_delay_alu instid0(VALU_DEP_1)
	v_mov_b32_e32 v24, v23
	v_mov_b32_e32 v25, v23
	;; [unrolled: 1-line block ×3, first 2 shown]
	ds_store_b128 v22, v[23:26]
.LBB20_59:
	s_and_not1_saveexec_b32 s8, s8
	s_cbranch_execz .LBB20_61
; %bb.60:
	global_load_b128 v[23:26], v[5:6], off
	s_waitcnt vmcnt(0)
	ds_store_2addr_b64 v22, v[23:24], v[25:26] offset1:1
.LBB20_61:
	s_or_b32 exec_lo, exec_lo, s8
	v_add_nc_u32_e32 v23, 8, v11
	s_delay_alu instid0(VALU_DEP_1) | instskip(NEXT) | instid1(VALU_DEP_1)
	v_cmp_le_i32_e64 s8, s11, v23
	s_and_saveexec_b32 s22, s8
	s_delay_alu instid0(SALU_CYCLE_1)
	s_xor_b32 s8, exec_lo, s22
	s_cbranch_execz .LBB20_63
; %bb.62:
	v_mul_u32_u24_e32 v24, 33, v23
	v_mov_b32_e32 v23, 0
	s_delay_alu instid0(VALU_DEP_2) | instskip(NEXT) | instid1(VALU_DEP_2)
	v_add_lshl_u32 v27, v24, v4, 4
	v_mov_b32_e32 v24, v23
	v_mov_b32_e32 v25, v23
	;; [unrolled: 1-line block ×3, first 2 shown]
	ds_store_b128 v27, v[23:26]
.LBB20_63:
	s_and_not1_saveexec_b32 s22, s8
	s_cbranch_execz .LBB20_65
; %bb.64:
	s_lshl_b64 s[26:27], s[20:21], 7
	v_add_nc_u32_e32 v27, 0x1080, v22
	v_add_co_u32 v23, s8, v5, s26
	s_delay_alu instid0(VALU_DEP_1)
	v_add_co_ci_u32_e64 v24, s8, s27, v6, s8
	global_load_b128 v[23:26], v[23:24], off
	s_waitcnt vmcnt(0)
	ds_store_2addr_b64 v27, v[23:24], v[25:26] offset1:1
.LBB20_65:
	s_or_b32 exec_lo, exec_lo, s22
	v_add_nc_u32_e32 v23, 16, v11
	s_delay_alu instid0(VALU_DEP_1) | instskip(NEXT) | instid1(VALU_DEP_1)
	v_cmp_le_i32_e64 s8, s11, v23
	s_and_saveexec_b32 s22, s8
	s_delay_alu instid0(SALU_CYCLE_1)
	s_xor_b32 s8, exec_lo, s22
	s_cbranch_execz .LBB20_67
; %bb.66:
	v_mov_b32_e32 v23, 0
	s_delay_alu instid0(VALU_DEP_1)
	v_mov_b32_e32 v24, v23
	v_mov_b32_e32 v25, v23
	v_mov_b32_e32 v26, v23
	ds_store_b128 v22, v[23:26] offset:8448
.LBB20_67:
	s_and_not1_saveexec_b32 s22, s8
	s_cbranch_execz .LBB20_69
; %bb.68:
	s_lshl_b64 s[26:27], s[20:21], 8
	v_add_nc_u32_e32 v27, 0x2100, v22
	v_add_co_u32 v23, s8, v5, s26
	s_delay_alu instid0(VALU_DEP_1)
	v_add_co_ci_u32_e64 v24, s8, s27, v6, s8
	global_load_b128 v[23:26], v[23:24], off
	s_waitcnt vmcnt(0)
	ds_store_2addr_b64 v27, v[23:24], v[25:26] offset1:1
.LBB20_69:
	s_or_b32 exec_lo, exec_lo, s22
	v_add_nc_u32_e32 v23, 24, v11
	s_delay_alu instid0(VALU_DEP_1) | instskip(NEXT) | instid1(VALU_DEP_1)
	v_cmp_le_i32_e64 s8, s11, v23
	s_and_saveexec_b32 s11, s8
	s_delay_alu instid0(SALU_CYCLE_1)
	s_xor_b32 s8, exec_lo, s11
	s_cbranch_execz .LBB20_71
; %bb.70:
	v_mov_b32_e32 v23, 0
	s_delay_alu instid0(VALU_DEP_1)
	v_mov_b32_e32 v24, v23
	v_mov_b32_e32 v25, v23
	;; [unrolled: 1-line block ×3, first 2 shown]
	ds_store_b128 v22, v[23:26] offset:12672
                                        ; implicit-def: $vgpr22
.LBB20_71:
	s_and_not1_saveexec_b32 s8, s8
	s_cbranch_execz .LBB20_73
; %bb.72:
	v_mad_u64_u32 v[23:24], null, 0x180, s20, v[5:6]
	v_add_nc_u32_e32 v22, 0x3180, v22
	s_delay_alu instid0(VALU_DEP_2) | instskip(NEXT) | instid1(VALU_DEP_1)
	v_mad_u64_u32 v[25:26], null, 0x180, s21, v[24:25]
	v_mov_b32_e32 v24, v25
	global_load_b128 v[23:26], v[23:24], off
	s_waitcnt vmcnt(0)
	ds_store_2addr_b64 v22, v[23:24], v[25:26] offset1:1
.LBB20_73:
	s_or_b32 exec_lo, exec_lo, s8
	v_add_co_u32 v5, s8, v5, v13
	s_delay_alu instid0(VALU_DEP_1) | instskip(NEXT) | instid1(VALU_DEP_2)
	v_add_co_ci_u32_e64 v6, s8, 0, v6, s8
	v_sub_co_u32 v5, s8, v5, s16
	s_delay_alu instid0(VALU_DEP_1) | instskip(NEXT) | instid1(VALU_DEP_2)
	v_subrev_co_ci_u32_e64 v6, s8, s17, v6, s8
	v_add_co_u32 v5, s8, 0x210, v5
	s_delay_alu instid0(VALU_DEP_1) | instskip(NEXT) | instid1(VALU_DEP_1)
	v_add_co_ci_u32_e64 v6, s8, 0, v6, s8
	v_dual_cndmask_b32 v5, v5, v7 :: v_dual_cndmask_b32 v6, v6, v8
	s_branch .LBB20_76
.LBB20_74:
                                        ; implicit-def: $vgpr5_vgpr6
	s_cbranch_execz .LBB20_76
; %bb.75:
	v_mad_u64_u32 v[5:6], null, 0x180, s20, v[9:10]
	s_lshl_b64 s[16:17], s[20:21], 7
	s_delay_alu instid0(SALU_CYCLE_1) | instskip(SKIP_1) | instid1(VALU_DEP_3)
	v_add_co_u32 v9, vcc_lo, v9, s16
	v_add_co_ci_u32_e32 v10, vcc_lo, s17, v10, vcc_lo
	v_mad_u64_u32 v[22:23], null, 0x180, s21, v[6:7]
	s_delay_alu instid0(VALU_DEP_3) | instskip(NEXT) | instid1(VALU_DEP_3)
	v_add_co_u32 v30, vcc_lo, v9, s16
	v_add_co_ci_u32_e32 v31, vcc_lo, s17, v10, vcc_lo
	s_delay_alu instid0(VALU_DEP_3)
	v_mov_b32_e32 v6, v22
	s_clause 0x3
	global_load_b128 v[22:25], v[7:8], off
	global_load_b128 v[26:29], v[9:10], off offset:512
	global_load_b128 v[30:33], v[30:31], off offset:512
	;; [unrolled: 1-line block ×3, first 2 shown]
	v_add_lshl_u32 v9, v12, v4, 4
	v_dual_mov_b32 v5, v7 :: v_dual_mov_b32 v6, v8
	s_delay_alu instid0(VALU_DEP_2)
	v_add_nc_u32_e32 v35, 0x3180, v9
	v_add_nc_u32_e32 v10, 0x1080, v9
	;; [unrolled: 1-line block ×3, first 2 shown]
	s_waitcnt vmcnt(3)
	ds_store_2addr_b64 v9, v[22:23], v[24:25] offset1:1
	s_waitcnt vmcnt(2)
	ds_store_2addr_b64 v10, v[26:27], v[28:29] offset1:1
	;; [unrolled: 2-line block ×4, first 2 shown]
.LBB20_76:
	s_waitcnt lgkmcnt(0)
	s_barrier
	buffer_gl0_inv
	s_and_saveexec_b32 s8, s4
	s_delay_alu instid0(SALU_CYCLE_1)
	s_xor_b32 s4, exec_lo, s8
	s_cbranch_execnz .LBB20_105
; %bb.77:
	s_and_not1_saveexec_b32 s4, s4
	s_cbranch_execnz .LBB20_108
.LBB20_78:
	s_or_b32 exec_lo, exec_lo, s4
	s_and_saveexec_b32 s4, s5
	s_delay_alu instid0(SALU_CYCLE_1)
	s_xor_b32 s4, exec_lo, s4
	s_cbranch_execnz .LBB20_109
.LBB20_79:
	s_and_not1_saveexec_b32 s4, s4
	s_cbranch_execnz .LBB20_110
.LBB20_80:
	s_or_b32 exec_lo, exec_lo, s4
	s_and_saveexec_b32 s4, s6
	s_delay_alu instid0(SALU_CYCLE_1)
	s_xor_b32 s4, exec_lo, s4
	s_cbranch_execnz .LBB20_113
.LBB20_81:
	s_and_not1_saveexec_b32 s4, s4
	s_cbranch_execnz .LBB20_116
.LBB20_82:
	s_or_b32 exec_lo, exec_lo, s4
	s_and_saveexec_b32 s4, s7
	s_delay_alu instid0(SALU_CYCLE_1)
	s_xor_b32 s4, exec_lo, s4
	s_cbranch_execnz .LBB20_117
.LBB20_83:
	s_or_saveexec_b32 s4, s4
	v_add_nc_u32_e32 v17, 0x4700, v21
	s_xor_b32 exec_lo, exec_lo, s4
	s_cbranch_execz .LBB20_85
.LBB20_84:
	ds_load_b128 v[7:10], v45 offset:1056
	s_waitcnt lgkmcnt(0)
	v_xor_b32_e32 v10, 0x80000000, v10
	ds_store_b128 v16, v[7:10] offset:48
.LBB20_85:
	s_or_b32 exec_lo, exec_lo, s4
	s_waitcnt lgkmcnt(0)
	s_barrier
	buffer_gl0_inv
	ds_load_b128 v[7:10], v17 offset:512
	ds_load_b128 v[18:21], v15
	v_cmp_eq_u32_e64 s4, 1, v11
	s_waitcnt lgkmcnt(0)
	v_mul_f64 v[32:33], v[9:10], v[20:21]
	v_mul_f64 v[34:35], v[7:8], v[20:21]
	ds_load_b128 v[20:23], v45
	ds_load_b128 v[24:27], v17 offset:528
	ds_load_b128 v[28:31], v17 offset:544
	s_waitcnt lgkmcnt(1)
	v_mul_f64 v[40:41], v[26:27], v[22:23]
	v_mul_f64 v[22:23], v[24:25], v[22:23]
	v_fma_f64 v[46:47], v[7:8], v[18:19], -v[32:33]
	v_fma_f64 v[18:19], v[9:10], v[18:19], v[34:35]
	ds_load_b128 v[7:10], v45 offset:528
	ds_load_b128 v[32:35], v45 offset:1056
	s_waitcnt lgkmcnt(1)
	v_mul_f64 v[48:49], v[30:31], v[9:10]
	v_mul_f64 v[9:10], v[28:29], v[9:10]
	v_fma_f64 v[24:25], v[24:25], v[20:21], -v[40:41]
	v_fma_f64 v[22:23], v[26:27], v[20:21], v[22:23]
	v_add_f64 v[26:27], v[46:47], 0
	v_add_f64 v[40:41], v[18:19], 0
	ds_load_b128 v[18:21], v17 offset:560
	s_waitcnt lgkmcnt(0)
	s_barrier
	buffer_gl0_inv
	v_fma_f64 v[28:29], v[28:29], v[7:8], -v[48:49]
	v_mul_f64 v[46:47], v[20:21], v[34:35]
	v_mul_f64 v[34:35], v[18:19], v[34:35]
	v_fma_f64 v[7:8], v[30:31], v[7:8], v[9:10]
	v_add_f64 v[9:10], v[26:27], v[24:25]
	v_add_f64 v[22:23], v[40:41], v[22:23]
	v_fma_f64 v[18:19], v[18:19], v[32:33], -v[46:47]
	v_fma_f64 v[20:21], v[20:21], v[32:33], v[34:35]
	s_delay_alu instid0(VALU_DEP_4) | instskip(NEXT) | instid1(VALU_DEP_4)
	v_add_f64 v[9:10], v[9:10], v[28:29]
	v_add_f64 v[22:23], v[22:23], v[7:8]
	s_delay_alu instid0(VALU_DEP_2) | instskip(NEXT) | instid1(VALU_DEP_2)
	v_add_f64 v[7:8], v[9:10], v[18:19]
	v_add_f64 v[9:10], v[22:23], v[20:21]
	ds_store_b128 v44, v[7:10]
	s_waitcnt lgkmcnt(0)
	s_barrier
	buffer_gl0_inv
	s_and_saveexec_b32 s5, s4
	s_cbranch_execz .LBB20_87
; %bb.86:
	ds_load_b128 v[0:3], v43
	ds_load_b128 v[7:10], v43 offset:16
	s_waitcnt lgkmcnt(0)
	v_add_f64 v[18:19], v[7:8], v[0:1]
	v_add_f64 v[20:21], v[9:10], v[2:3]
	ds_load_b128 v[0:3], v43 offset:32
	ds_load_b128 v[7:10], v43 offset:48
	s_waitcnt lgkmcnt(1)
	v_add_f64 v[0:1], v[18:19], v[0:1]
	v_add_f64 v[2:3], v[20:21], v[2:3]
	s_waitcnt lgkmcnt(0)
	s_delay_alu instid0(VALU_DEP_2) | instskip(NEXT) | instid1(VALU_DEP_2)
	v_add_f64 v[18:19], v[0:1], v[7:8]
	v_add_f64 v[20:21], v[2:3], v[9:10]
	ds_load_b128 v[0:3], v43 offset:64
	ds_load_b128 v[7:10], v43 offset:80
	s_waitcnt lgkmcnt(1)
	v_add_f64 v[0:1], v[18:19], v[0:1]
	v_add_f64 v[2:3], v[20:21], v[2:3]
	s_waitcnt lgkmcnt(0)
	s_delay_alu instid0(VALU_DEP_2) | instskip(NEXT) | instid1(VALU_DEP_2)
	;; [unrolled: 9-line block ×3, first 2 shown]
	v_add_f64 v[0:1], v[0:1], v[7:8]
	v_add_f64 v[2:3], v[2:3], v[9:10]
.LBB20_87:
	s_or_b32 exec_lo, exec_lo, s5
	v_add_co_u32 v7, vcc_lo, 0xfffffe00, v5
	v_add_co_ci_u32_e32 v8, vcc_lo, -1, v6, vcc_lo
	s_and_b32 vcc_lo, exec_lo, s19
	s_barrier
	buffer_gl0_inv
	s_cbranch_vccz .LBB20_120
; %bb.88:
	v_sub_co_u32 v9, vcc_lo, v5, v13
	s_ashr_i32 s11, s10, 31
	v_subrev_co_ci_u32_e32 v10, vcc_lo, 0, v6, vcc_lo
	s_lshl_b64 s[6:7], s[10:11], 4
	s_sub_i32 s8, s10, 32
	v_add_co_u32 v9, vcc_lo, v9, s6
	s_delay_alu instid0(VALU_DEP_2) | instskip(SKIP_1) | instid1(VALU_DEP_3)
	v_add_co_ci_u32_e32 v10, vcc_lo, s7, v10, vcc_lo
	v_cmp_le_i32_e64 s5, s8, v11
	v_add_co_u32 v9, vcc_lo, 0xfffffdf0, v9
	s_delay_alu instid0(VALU_DEP_3) | instskip(SKIP_2) | instid1(VALU_DEP_3)
	v_add_co_ci_u32_e32 v10, vcc_lo, -1, v10, vcc_lo
	v_cmp_gt_i32_e32 vcc_lo, s10, v4
	v_add_lshl_u32 v20, v12, v4, 4
	v_dual_cndmask_b32 v10, v10, v8 :: v_dual_cndmask_b32 v9, v9, v7
	s_and_saveexec_b32 s11, s5
	s_delay_alu instid0(SALU_CYCLE_1)
	s_xor_b32 s5, exec_lo, s11
	s_cbranch_execz .LBB20_90
; %bb.89:
	v_mov_b32_e32 v21, 0
	s_delay_alu instid0(VALU_DEP_1)
	v_mov_b32_e32 v22, v21
	v_mov_b32_e32 v23, v21
	;; [unrolled: 1-line block ×3, first 2 shown]
	ds_store_b128 v20, v[21:24]
.LBB20_90:
	s_and_not1_saveexec_b32 s5, s5
	s_cbranch_execz .LBB20_92
; %bb.91:
	global_load_b128 v[21:24], v[9:10], off
	s_waitcnt vmcnt(0)
	ds_store_2addr_b64 v20, v[21:22], v[23:24] offset1:1
.LBB20_92:
	s_or_b32 exec_lo, exec_lo, s5
	v_add_nc_u32_e32 v19, 8, v11
	s_delay_alu instid0(VALU_DEP_1) | instskip(NEXT) | instid1(VALU_DEP_1)
	v_cmp_le_i32_e64 s5, s8, v19
	s_and_saveexec_b32 s11, s5
	s_delay_alu instid0(SALU_CYCLE_1)
	s_xor_b32 s5, exec_lo, s11
	s_cbranch_execz .LBB20_94
; %bb.93:
	v_mul_u32_u24_e32 v16, 33, v19
	v_mov_b32_e32 v21, 0
	s_delay_alu instid0(VALU_DEP_2) | instskip(NEXT) | instid1(VALU_DEP_2)
	v_add_lshl_u32 v16, v16, v4, 4
	v_mov_b32_e32 v22, v21
	v_mov_b32_e32 v23, v21
	;; [unrolled: 1-line block ×3, first 2 shown]
	ds_store_b128 v16, v[21:24]
.LBB20_94:
	s_and_not1_saveexec_b32 s11, s5
	s_cbranch_execz .LBB20_96
; %bb.95:
	s_lshl_b64 s[16:17], s[20:21], 7
	v_add_nc_u32_e32 v16, 0x1080, v20
	v_add_co_u32 v21, s5, v9, s16
	s_delay_alu instid0(VALU_DEP_1)
	v_add_co_ci_u32_e64 v22, s5, s17, v10, s5
	global_load_b128 v[21:24], v[21:22], off
	s_waitcnt vmcnt(0)
	ds_store_2addr_b64 v16, v[21:22], v[23:24] offset1:1
.LBB20_96:
	s_or_b32 exec_lo, exec_lo, s11
	v_add_nc_u32_e32 v16, 16, v11
	s_delay_alu instid0(VALU_DEP_1) | instskip(NEXT) | instid1(VALU_DEP_1)
	v_cmp_le_i32_e64 s5, s8, v16
	s_and_saveexec_b32 s11, s5
	s_delay_alu instid0(SALU_CYCLE_1)
	s_xor_b32 s5, exec_lo, s11
	s_cbranch_execz .LBB20_98
; %bb.97:
	v_mov_b32_e32 v21, 0
	s_delay_alu instid0(VALU_DEP_1)
	v_mov_b32_e32 v22, v21
	v_mov_b32_e32 v23, v21
	;; [unrolled: 1-line block ×3, first 2 shown]
	ds_store_b128 v20, v[21:24] offset:8448
.LBB20_98:
	s_and_not1_saveexec_b32 s11, s5
	s_cbranch_execz .LBB20_100
; %bb.99:
	s_lshl_b64 s[16:17], s[20:21], 8
	v_add_nc_u32_e32 v18, 0x2100, v20
	v_add_co_u32 v21, s5, v9, s16
	s_delay_alu instid0(VALU_DEP_1)
	v_add_co_ci_u32_e64 v22, s5, s17, v10, s5
	global_load_b128 v[21:24], v[21:22], off
	s_waitcnt vmcnt(0)
	ds_store_2addr_b64 v18, v[21:22], v[23:24] offset1:1
.LBB20_100:
	s_or_b32 exec_lo, exec_lo, s11
	v_add_nc_u32_e32 v18, 24, v11
	s_delay_alu instid0(VALU_DEP_1) | instskip(NEXT) | instid1(VALU_DEP_1)
	v_cmp_le_i32_e64 s5, s8, v18
	s_and_saveexec_b32 s8, s5
	s_delay_alu instid0(SALU_CYCLE_1)
	s_xor_b32 s5, exec_lo, s8
	s_cbranch_execz .LBB20_102
; %bb.101:
	v_mov_b32_e32 v21, 0
	s_delay_alu instid0(VALU_DEP_1)
	v_mov_b32_e32 v22, v21
	v_mov_b32_e32 v23, v21
	;; [unrolled: 1-line block ×3, first 2 shown]
	ds_store_b128 v20, v[21:24] offset:12672
                                        ; implicit-def: $vgpr20
.LBB20_102:
	s_and_not1_saveexec_b32 s5, s5
	s_cbranch_execz .LBB20_104
; %bb.103:
	v_mad_u64_u32 v[21:22], null, 0x180, s20, v[9:10]
	v_add_nc_u32_e32 v20, 0x3180, v20
	s_delay_alu instid0(VALU_DEP_2) | instskip(NEXT) | instid1(VALU_DEP_1)
	v_mad_u64_u32 v[23:24], null, 0x180, s21, v[22:23]
	v_mov_b32_e32 v22, v23
	global_load_b128 v[21:24], v[21:22], off
	s_waitcnt vmcnt(0)
	ds_store_2addr_b64 v20, v[21:22], v[23:24] offset1:1
.LBB20_104:
	s_or_b32 exec_lo, exec_lo, s5
	v_add_co_u32 v9, s5, v9, v13
	s_delay_alu instid0(VALU_DEP_1) | instskip(NEXT) | instid1(VALU_DEP_2)
	v_add_co_ci_u32_e64 v10, s5, 0, v10, s5
	v_sub_co_u32 v9, s5, v9, s6
	s_delay_alu instid0(VALU_DEP_1) | instskip(NEXT) | instid1(VALU_DEP_2)
	v_subrev_co_ci_u32_e64 v10, s5, s7, v10, s5
	v_add_co_u32 v9, s5, v9, 16
	s_delay_alu instid0(VALU_DEP_1) | instskip(NEXT) | instid1(VALU_DEP_1)
	v_add_co_ci_u32_e64 v10, s5, 0, v10, s5
	v_dual_cndmask_b32 v40, v9, v7 :: v_dual_cndmask_b32 v41, v10, v8
	s_branch .LBB20_122
.LBB20_105:
	s_mov_b32 s8, exec_lo
	v_cmpx_eq_u32_e64 v18, v4
	s_cbranch_execz .LBB20_107
; %bb.106:
	v_mul_u32_u24_e32 v8, 34, v4
	v_mov_b32_e32 v7, 0
	s_delay_alu instid0(VALU_DEP_1)
	v_dual_mov_b32 v8, v7 :: v_dual_lshlrev_b32 v9, 4, v8
	ds_store_b64 v9, v[7:8] offset:8
.LBB20_107:
	s_or_b32 exec_lo, exec_lo, s8
	s_and_not1_saveexec_b32 s4, s4
	s_cbranch_execz .LBB20_78
.LBB20_108:
	ds_load_b128 v[7:10], v15
	s_waitcnt lgkmcnt(0)
	v_xor_b32_e32 v10, 0x80000000, v10
	ds_store_b128 v16, v[7:10]
	s_or_b32 exec_lo, exec_lo, s4
	s_and_saveexec_b32 s4, s5
	s_delay_alu instid0(SALU_CYCLE_1)
	s_xor_b32 s4, exec_lo, s4
	s_cbranch_execz .LBB20_79
.LBB20_109:
	ds_load_b128 v[7:10], v45
                                        ; implicit-def: $vgpr17
	s_waitcnt lgkmcnt(0)
	v_xor_b32_e32 v10, 0x80000000, v10
	ds_store_b128 v16, v[7:10] offset:16
	s_and_not1_saveexec_b32 s4, s4
	s_cbranch_execz .LBB20_80
.LBB20_110:
	s_mov_b32 s5, exec_lo
	v_cmpx_eq_u32_e64 v17, v4
	s_cbranch_execz .LBB20_112
; %bb.111:
	v_mul_u32_u24_e32 v8, 34, v4
	v_mov_b32_e32 v7, 0
	s_delay_alu instid0(VALU_DEP_1)
	v_dual_mov_b32 v8, v7 :: v_dual_lshlrev_b32 v9, 4, v8
	ds_store_b64 v9, v[7:8] offset:8
.LBB20_112:
	s_or_b32 exec_lo, exec_lo, s5
	s_delay_alu instid0(SALU_CYCLE_1) | instskip(SKIP_1) | instid1(SALU_CYCLE_1)
	s_or_b32 exec_lo, exec_lo, s4
	s_and_saveexec_b32 s4, s6
	s_xor_b32 s4, exec_lo, s4
	s_cbranch_execz .LBB20_81
.LBB20_113:
	s_mov_b32 s5, exec_lo
	v_cmpx_eq_u32_e64 v19, v4
	s_cbranch_execz .LBB20_115
; %bb.114:
	v_mul_u32_u24_e32 v8, 34, v4
	v_mov_b32_e32 v7, 0
	s_delay_alu instid0(VALU_DEP_1)
	v_dual_mov_b32 v8, v7 :: v_dual_lshlrev_b32 v9, 4, v8
	ds_store_b64 v9, v[7:8] offset:8
.LBB20_115:
	s_or_b32 exec_lo, exec_lo, s5
	s_and_not1_saveexec_b32 s4, s4
	s_cbranch_execz .LBB20_82
.LBB20_116:
	ds_load_b128 v[7:10], v45 offset:528
	s_waitcnt lgkmcnt(0)
	v_xor_b32_e32 v10, 0x80000000, v10
	ds_store_b128 v16, v[7:10] offset:32
	s_or_b32 exec_lo, exec_lo, s4
	s_and_saveexec_b32 s4, s7
	s_delay_alu instid0(SALU_CYCLE_1)
	s_xor_b32 s4, exec_lo, s4
	s_cbranch_execz .LBB20_83
.LBB20_117:
	s_mov_b32 s5, exec_lo
	v_cmpx_eq_u32_e64 v20, v4
	s_cbranch_execz .LBB20_119
; %bb.118:
	v_mul_u32_u24_e32 v8, 34, v4
	v_mov_b32_e32 v7, 0
	s_delay_alu instid0(VALU_DEP_1)
	v_dual_mov_b32 v8, v7 :: v_dual_lshlrev_b32 v9, 4, v8
	ds_store_b64 v9, v[7:8] offset:8
.LBB20_119:
	s_or_b32 exec_lo, exec_lo, s5
                                        ; implicit-def: $vgpr16
	s_or_saveexec_b32 s4, s4
	v_add_nc_u32_e32 v17, 0x4700, v21
	s_xor_b32 exec_lo, exec_lo, s4
	s_cbranch_execnz .LBB20_84
	s_branch .LBB20_85
.LBB20_120:
                                        ; implicit-def: $vgpr40_vgpr41
                                        ; implicit-def: $vgpr19
                                        ; implicit-def: $vgpr16
                                        ; implicit-def: $vgpr18
	s_cbranch_execz .LBB20_122
; %bb.121:
	v_mad_u64_u32 v[9:10], null, 0x180, s20, v[5:6]
	s_lshl_b64 s[6:7], s[20:21], 7
	v_add_lshl_u32 v4, v12, v4, 4
	v_add_co_u32 v5, vcc_lo, v5, s6
	v_add_co_ci_u32_e32 v6, vcc_lo, s7, v6, vcc_lo
	s_delay_alu instid0(VALU_DEP_4) | instskip(NEXT) | instid1(VALU_DEP_3)
	v_mad_u64_u32 v[18:19], null, 0x180, s21, v[10:11]
	v_add_co_u32 v28, vcc_lo, v5, s6
	s_delay_alu instid0(VALU_DEP_3) | instskip(SKIP_1) | instid1(VALU_DEP_4)
	v_add_co_ci_u32_e32 v29, vcc_lo, s7, v6, vcc_lo
	v_dual_mov_b32 v41, v8 :: v_dual_add_nc_u32 v16, 16, v11
	v_dual_mov_b32 v10, v18 :: v_dual_add_nc_u32 v19, 8, v11
	s_clause 0x3
	global_load_b128 v[20:23], v[7:8], off
	global_load_b128 v[24:27], v[5:6], off offset:-512
	global_load_b128 v[28:31], v[28:29], off offset:-512
	;; [unrolled: 1-line block ×3, first 2 shown]
	v_dual_mov_b32 v40, v7 :: v_dual_add_nc_u32 v5, 0x1080, v4
	v_add_nc_u32_e32 v18, 24, v11
	v_add_nc_u32_e32 v6, 0x2100, v4
	;; [unrolled: 1-line block ×3, first 2 shown]
	s_waitcnt vmcnt(3)
	ds_store_2addr_b64 v4, v[20:21], v[22:23] offset1:1
	s_waitcnt vmcnt(2)
	ds_store_2addr_b64 v5, v[24:25], v[26:27] offset1:1
	;; [unrolled: 2-line block ×4, first 2 shown]
.LBB20_122:
	v_lshlrev_b32_e32 v8, 4, v11
	s_waitcnt lgkmcnt(0)
	s_barrier
	buffer_gl0_inv
	ds_load_b128 v[4:7], v44
	ds_load_b128 v[8:11], v8 offset:18176
	v_add_lshl_u32 v20, v19, v14, 4
	v_lshlrev_b32_e32 v23, 4, v19
	ds_load_b128 v[19:22], v20
	ds_load_b128 v[23:26], v23 offset:18176
	s_waitcnt lgkmcnt(2)
	v_mul_f64 v[12:13], v[6:7], v[10:11]
	v_mul_f64 v[6:7], v[6:7], v[8:9]
	s_waitcnt lgkmcnt(0)
	v_mul_f64 v[27:28], v[21:22], v[25:26]
	v_mul_f64 v[21:22], v[21:22], v[23:24]
	s_delay_alu instid0(VALU_DEP_4) | instskip(NEXT) | instid1(VALU_DEP_4)
	v_fma_f64 v[12:13], v[4:5], v[8:9], v[12:13]
	v_fma_f64 v[29:30], v[4:5], v[10:11], -v[6:7]
	v_add_lshl_u32 v4, v16, v14, 4
	v_lshlrev_b32_e32 v8, 4, v16
	v_add_lshl_u32 v14, v18, v14, 4
	ds_load_b128 v[4:7], v4
	ds_load_b128 v[8:11], v8 offset:18176
	v_fma_f64 v[27:28], v[19:20], v[23:24], v[27:28]
	v_fma_f64 v[33:34], v[19:20], v[25:26], -v[21:22]
	v_lshlrev_b32_e32 v16, 4, v18
	ds_load_b128 v[18:21], v14
	ds_load_b128 v[22:25], v16 offset:18176
	s_waitcnt lgkmcnt(2)
	v_mul_f64 v[31:32], v[6:7], v[10:11]
	v_mul_f64 v[6:7], v[6:7], v[8:9]
	s_waitcnt lgkmcnt(0)
	v_mul_f64 v[46:47], v[20:21], v[24:25]
	v_mul_f64 v[20:21], v[20:21], v[22:23]
	v_add_f64 v[12:13], v[12:13], 0
	v_add_f64 v[29:30], v[29:30], 0
	v_fma_f64 v[8:9], v[4:5], v[8:9], v[31:32]
	v_fma_f64 v[4:5], v[4:5], v[10:11], -v[6:7]
	s_delay_alu instid0(VALU_DEP_4) | instskip(NEXT) | instid1(VALU_DEP_4)
	v_add_f64 v[6:7], v[12:13], v[27:28]
	v_add_f64 v[10:11], v[29:30], v[33:34]
	v_fma_f64 v[12:13], v[18:19], v[22:23], v[46:47]
	v_fma_f64 v[18:19], v[18:19], v[24:25], -v[20:21]
	s_delay_alu instid0(VALU_DEP_4) | instskip(NEXT) | instid1(VALU_DEP_4)
	v_add_f64 v[6:7], v[6:7], v[8:9]
	v_add_f64 v[4:5], v[10:11], v[4:5]
	s_delay_alu instid0(VALU_DEP_2) | instskip(NEXT) | instid1(VALU_DEP_2)
	v_add_f64 v[46:47], v[6:7], v[12:13]
	v_add_f64 v[48:49], v[4:5], v[18:19]
	ds_load_b128 v[20:23], v17 offset:528
	ds_load_b128 v[8:11], v17 offset:544
	;; [unrolled: 1-line block ×3, first 2 shown]
	ds_load_b128 v[32:35], v15
	ds_load_b128 v[4:7], v17 offset:560
	ds_load_b128 v[24:27], v45
	ds_load_b128 v[16:19], v45 offset:528
	ds_load_b128 v[12:15], v45 offset:1056
	s_waitcnt lgkmcnt(0)
	s_barrier
	buffer_gl0_inv
	ds_store_b128 v44, v[46:49]
	s_waitcnt lgkmcnt(0)
	s_barrier
	buffer_gl0_inv
	s_and_saveexec_b32 s5, s4
	s_cbranch_execz .LBB20_124
; %bb.123:
	ds_load_b128 v[45:48], v43
	ds_load_b128 v[49:52], v43 offset:16
	s_waitcnt lgkmcnt(1)
	v_add_f64 v[0:1], v[0:1], v[45:46]
	v_add_f64 v[2:3], v[2:3], v[47:48]
	s_waitcnt lgkmcnt(0)
	s_delay_alu instid0(VALU_DEP_2) | instskip(NEXT) | instid1(VALU_DEP_2)
	v_add_f64 v[49:50], v[0:1], v[49:50]
	v_add_f64 v[51:52], v[2:3], v[51:52]
	ds_load_b128 v[0:3], v43 offset:32
	ds_load_b128 v[45:48], v43 offset:48
	s_waitcnt lgkmcnt(1)
	v_add_f64 v[0:1], v[49:50], v[0:1]
	v_add_f64 v[2:3], v[51:52], v[2:3]
	s_waitcnt lgkmcnt(0)
	s_delay_alu instid0(VALU_DEP_2) | instskip(NEXT) | instid1(VALU_DEP_2)
	v_add_f64 v[49:50], v[0:1], v[45:46]
	v_add_f64 v[51:52], v[2:3], v[47:48]
	ds_load_b128 v[0:3], v43 offset:64
	;; [unrolled: 9-line block ×3, first 2 shown]
	ds_load_b128 v[45:48], v43 offset:112
	s_waitcnt lgkmcnt(1)
	v_add_f64 v[0:1], v[49:50], v[0:1]
	v_add_f64 v[2:3], v[51:52], v[2:3]
	s_waitcnt lgkmcnt(0)
	s_delay_alu instid0(VALU_DEP_2) | instskip(NEXT) | instid1(VALU_DEP_2)
	v_add_f64 v[0:1], v[0:1], v[45:46]
	v_add_f64 v[2:3], v[2:3], v[47:48]
.LBB20_124:
	s_or_b32 exec_lo, exec_lo, s5
	v_mul_f64 v[45:46], v[30:31], v[34:35]
	v_mul_f64 v[34:35], v[28:29], v[34:35]
	;; [unrolled: 1-line block ×4, first 2 shown]
	s_barrier
	buffer_gl0_inv
	v_fma_f64 v[28:29], v[28:29], v[32:33], -v[45:46]
	v_fma_f64 v[30:31], v[30:31], v[32:33], v[34:35]
	v_mul_f64 v[32:33], v[10:11], v[18:19]
	v_mul_f64 v[18:19], v[8:9], v[18:19]
	v_fma_f64 v[20:21], v[20:21], v[24:25], -v[47:48]
	v_fma_f64 v[22:23], v[22:23], v[24:25], v[26:27]
	v_add_f64 v[24:25], v[28:29], 0
	v_add_f64 v[26:27], v[30:31], 0
	v_mul_f64 v[28:29], v[6:7], v[14:15]
	v_mul_f64 v[14:15], v[4:5], v[14:15]
	v_fma_f64 v[8:9], v[8:9], v[16:17], -v[32:33]
	v_fma_f64 v[10:11], v[10:11], v[16:17], v[18:19]
	v_add_f64 v[16:17], v[24:25], v[20:21]
	v_add_f64 v[18:19], v[26:27], v[22:23]
	v_fma_f64 v[4:5], v[4:5], v[12:13], -v[28:29]
	v_fma_f64 v[6:7], v[6:7], v[12:13], v[14:15]
	s_delay_alu instid0(VALU_DEP_4) | instskip(NEXT) | instid1(VALU_DEP_4)
	v_add_f64 v[8:9], v[16:17], v[8:9]
	v_add_f64 v[10:11], v[18:19], v[10:11]
	s_delay_alu instid0(VALU_DEP_2) | instskip(NEXT) | instid1(VALU_DEP_2)
	v_add_f64 v[4:5], v[8:9], v[4:5]
	v_add_f64 v[6:7], v[10:11], v[6:7]
	ds_store_b128 v44, v[4:7]
	s_waitcnt lgkmcnt(0)
	s_barrier
	buffer_gl0_inv
	s_and_saveexec_b32 s4, s3
	s_cbranch_execz .LBB20_126
; %bb.125:
	ds_load_b128 v[4:7], v43
	ds_load_b128 v[8:11], v43 offset:16
	s_waitcnt lgkmcnt(1)
	v_add_f64 v[0:1], v[0:1], v[4:5]
	v_add_f64 v[2:3], v[2:3], v[6:7]
	s_waitcnt lgkmcnt(0)
	s_delay_alu instid0(VALU_DEP_2) | instskip(NEXT) | instid1(VALU_DEP_2)
	v_add_f64 v[8:9], v[0:1], v[8:9]
	v_add_f64 v[10:11], v[2:3], v[10:11]
	ds_load_b128 v[0:3], v43 offset:32
	ds_load_b128 v[4:7], v43 offset:48
	s_waitcnt lgkmcnt(1)
	v_add_f64 v[0:1], v[8:9], v[0:1]
	v_add_f64 v[2:3], v[10:11], v[2:3]
	s_waitcnt lgkmcnt(0)
	s_delay_alu instid0(VALU_DEP_2) | instskip(NEXT) | instid1(VALU_DEP_2)
	v_add_f64 v[8:9], v[0:1], v[4:5]
	v_add_f64 v[10:11], v[2:3], v[6:7]
	ds_load_b128 v[0:3], v43 offset:64
	;; [unrolled: 9-line block ×3, first 2 shown]
	ds_load_b128 v[4:7], v43 offset:112
	s_waitcnt lgkmcnt(1)
	v_add_f64 v[0:1], v[8:9], v[0:1]
	v_add_f64 v[2:3], v[10:11], v[2:3]
	s_waitcnt lgkmcnt(0)
	s_delay_alu instid0(VALU_DEP_2) | instskip(NEXT) | instid1(VALU_DEP_2)
	v_add_f64 v[0:1], v[0:1], v[4:5]
	v_add_f64 v[2:3], v[2:3], v[6:7]
.LBB20_126:
	s_or_b32 exec_lo, exec_lo, s4
	s_load_b64 s[0:1], s[0:1], 0x78
	s_mul_hi_u32 s3, s30, s15
	s_mul_i32 s25, s25, s15
	s_mul_i32 s4, s30, s15
	s_add_i32 s3, s3, s25
	s_mul_hi_u32 s5, s4, s9
	s_mul_i32 s3, s3, s9
	s_mul_i32 s4, s4, s9
	s_add_i32 s5, s5, s3
	s_mul_hi_i32 s7, s30, s14
	s_lshl_b64 s[4:5], s[4:5], 4
	s_mul_i32 s6, s30, s14
	v_lshlrev_b32_e32 v185, 4, v183
	s_waitcnt lgkmcnt(0)
	s_barrier
	buffer_gl0_inv
	s_add_u32 s3, s0, s4
	s_addc_u32 s4, s1, s5
	s_lshl_b64 s[0:1], s[6:7], 4
	s_delay_alu instid0(SALU_CYCLE_1) | instskip(SKIP_2) | instid1(SALU_CYCLE_1)
	s_add_u32 s3, s3, s0
	s_addc_u32 s8, s4, s1
	s_add_i32 s0, s14, 1
	s_cmp_ge_u32 s0, s9
	s_cbranch_scc1 .LBB20_184
; %bb.127:
	scratch_load_b32 v7, off, off offset:4  ; 4-byte Folded Reload
	v_and_b32_e32 v9, 48, v183
	v_lshrrev_b32_e32 v11, 4, v42
	v_and_b32_e32 v10, 15, v183
	v_or_b32_e32 v5, 0xf0, v185
	s_mul_i32 s0, s12, s29
	v_lshlrev_b32_e32 v4, 4, v9
	v_lshlrev_b32_e32 v6, 6, v11
	s_mul_hi_u32 s1, s12, s28
	s_mul_i32 s4, s13, s28
	s_add_i32 s0, s1, s0
	v_mad_u32_u24 v191, 0x430, v10, v4
	v_mad_u32_u24 v4, 0x430, v10, v5
	;; [unrolled: 1-line block ×3, first 2 shown]
	s_add_i32 s1, s0, s4
	s_mul_i32 s0, s12, s28
	v_mul_i32_i24_e32 v16, 0xffffffd0, v11
	scratch_store_b32 off, v4, off          ; 4-byte Folded Spill
	s_lshl_b64 s[0:1], s[0:1], 4
	s_add_i32 s11, s9, -2
	v_sub_co_u32 v187, vcc_lo, v38, s0
	v_subrev_co_ci_u32_e32 v188, vcc_lo, s1, v39, vcc_lo
	v_cmp_gt_u32_e64 s0, 64, v42
	v_add_nc_u32_e32 v244, v193, v16
	s_add_i32 s12, s12, 64
	s_lshl_b64 s[4:5], s[20:21], 10
	s_waitcnt vmcnt(0)
	v_lshlrev_b32_e32 v15, 6, v7
	v_lshlrev_b32_e32 v186, 2, v7
	v_mad_u32_u24 v198, 0x10c0, v7, v185
	s_delay_alu instid0(VALU_DEP_3) | instskip(NEXT) | instid1(VALU_DEP_1)
	v_add_nc_u32_e32 v8, 0x200, v15
	v_mad_u64_u32 v[5:6], null, s20, v8, 0
	s_delay_alu instid0(VALU_DEP_1) | instskip(SKIP_1) | instid1(VALU_DEP_3)
	v_mov_b32_e32 v4, v6
	v_or_b32_e32 v211, v9, v10
	v_sub_co_u32 v10, vcc_lo, v5, v36
	s_delay_alu instid0(VALU_DEP_3)
	v_mad_u64_u32 v[6:7], null, s21, v8, v[4:5]
	v_mov_b32_e32 v4, 0
	v_add_nc_u32_e32 v12, 0x530, v15
	v_add_nc_u32_e32 v13, 0x220, v15
	;; [unrolled: 1-line block ×5, first 2 shown]
	v_mad_u64_u32 v[7:8], null, s20, v12, 0
	v_mov_b32_e32 v9, v6
	v_add_nc_u32_e32 v197, 0x4300, v15
	v_add_nc_u32_e32 v20, 0x330, v15
	v_or_b32_e32 v189, 1, v186
	v_or_b32_e32 v192, 2, v186
	v_sub_co_ci_u32_e32 v11, vcc_lo, v9, v37, vcc_lo
	v_mov_b32_e32 v6, v8
	v_or_b32_e32 v196, 3, v186
	s_delay_alu instid0(VALU_DEP_2) | instskip(SKIP_3) | instid1(VALU_DEP_3)
	v_mad_u64_u32 v[8:9], null, s21, v12, v[6:7]
	v_add_co_u32 v9, vcc_lo, v40, v10
	v_add_co_ci_u32_e32 v10, vcc_lo, v41, v11, vcc_lo
	v_mad_u64_u32 v[5:6], null, s20, v13, 0
	v_add_co_u32 v212, vcc_lo, v9, 8
	s_delay_alu instid0(VALU_DEP_3) | instskip(SKIP_3) | instid1(VALU_DEP_3)
	v_add_co_ci_u32_e32 v213, vcc_lo, 0, v10, vcc_lo
	v_dual_mov_b32 v10, v8 :: v_dual_add_nc_u32 v253, 16, v186
	v_mad_u64_u32 v[8:9], null, s20, v17, 0
	v_sub_co_u32 v7, vcc_lo, v7, v36
	v_sub_co_ci_u32_e32 v14, vcc_lo, v10, v37, vcc_lo
	v_add_nc_u32_e32 v255, 18, v186
	s_delay_alu instid0(VALU_DEP_3) | instskip(SKIP_4) | instid1(VALU_DEP_4)
	v_mad_u64_u32 v[10:11], null, s21, v13, v[6:7]
	v_mov_b32_e32 v6, v9
	v_mad_u64_u32 v[11:12], null, s20, v18, 0
	v_add_co_u32 v214, vcc_lo, v40, v7
	v_add_co_ci_u32_e32 v215, vcc_lo, v41, v14, vcc_lo
	v_mad_u64_u32 v[13:14], null, s21, v17, v[6:7]
	v_mov_b32_e32 v7, v10
	v_dual_mov_b32 v6, v12 :: v_dual_add_nc_u32 v203, 32, v186
	v_sub_co_u32 v12, vcc_lo, v5, v36
	s_delay_alu instid0(VALU_DEP_3) | instskip(SKIP_1) | instid1(VALU_DEP_3)
	v_sub_co_ci_u32_e32 v7, vcc_lo, v7, v37, vcc_lo
	v_add_nc_u32_e32 v14, 0x510, v15
	v_add_co_u32 v216, vcc_lo, v40, v12
	s_delay_alu instid0(VALU_DEP_3) | instskip(NEXT) | instid1(VALU_DEP_3)
	v_mad_u64_u32 v[9:10], null, s21, v18, v[6:7]
	v_mad_u64_u32 v[5:6], null, s20, v14, 0
	v_add_co_ci_u32_e32 v217, vcc_lo, v41, v7, vcc_lo
	v_sub_co_u32 v10, vcc_lo, v8, v36
	s_delay_alu instid0(VALU_DEP_4) | instskip(SKIP_3) | instid1(VALU_DEP_4)
	v_mov_b32_e32 v7, v9
	v_sub_co_ci_u32_e32 v12, vcc_lo, v13, v37, vcc_lo
	v_add_nc_u32_e32 v13, 0x230, v15
	v_sub_co_u32 v11, vcc_lo, v11, v36
	v_sub_co_ci_u32_e32 v17, vcc_lo, v7, v37, vcc_lo
	v_mad_u64_u32 v[7:8], null, s21, v14, v[6:7]
	s_delay_alu instid0(VALU_DEP_4)
	v_mad_u64_u32 v[8:9], null, s20, v13, 0
	v_add_co_u32 v218, vcc_lo, v40, v10
	v_add_co_ci_u32_e32 v219, vcc_lo, v41, v12, vcc_lo
	v_add_co_u32 v12, vcc_lo, v40, v11
	v_add_co_ci_u32_e32 v14, vcc_lo, v41, v17, vcc_lo
	v_sub_co_u32 v17, vcc_lo, v5, v36
	v_dual_mov_b32 v6, v9 :: v_dual_add_nc_u32 v205, 34, v186
	v_sub_co_ci_u32_e32 v7, vcc_lo, v7, v37, vcc_lo
	v_add_nc_u32_e32 v18, 0x500, v15
	v_add_co_u32 v220, vcc_lo, v12, 8
	s_delay_alu instid0(VALU_DEP_3) | instskip(SKIP_1) | instid1(VALU_DEP_4)
	v_mad_u64_u32 v[9:10], null, s21, v13, v[6:7]
	v_mad_u64_u32 v[10:11], null, s20, v19, 0
	;; [unrolled: 1-line block ×3, first 2 shown]
	v_add_co_ci_u32_e32 v221, vcc_lo, 0, v14, vcc_lo
	v_add_co_u32 v222, vcc_lo, v40, v17
	v_add_nc_u32_e32 v190, 0x4700, v185
	v_add_co_ci_u32_e32 v223, vcc_lo, v41, v7, vcc_lo
	v_mov_b32_e32 v7, v11
	v_sub_co_u32 v13, vcc_lo, v8, v36
	v_sub_co_ci_u32_e32 v14, vcc_lo, v9, v37, vcc_lo
	s_delay_alu instid0(VALU_DEP_3) | instskip(NEXT) | instid1(VALU_DEP_3)
	v_mad_u64_u32 v[8:9], null, s21, v18, v[6:7]
	v_add_co_u32 v6, vcc_lo, v40, v13
	v_add_nc_u32_e32 v9, 0x430, v15
	v_add_nc_u32_e32 v17, 0x320, v15
	s_delay_alu instid0(VALU_DEP_4) | instskip(SKIP_2) | instid1(VALU_DEP_2)
	v_mad_u64_u32 v[11:12], null, s21, v19, v[7:8]
	v_add_co_ci_u32_e32 v7, vcc_lo, v41, v14, vcc_lo
	v_add_co_u32 v224, vcc_lo, v6, 8
	v_add_co_ci_u32_e32 v225, vcc_lo, 0, v7, vcc_lo
	v_mad_u64_u32 v[6:7], null, s20, v9, 0
	v_sub_co_u32 v12, vcc_lo, v5, v36
	v_sub_co_ci_u32_e32 v13, vcc_lo, v8, v37, vcc_lo
	v_sub_co_u32 v8, vcc_lo, v10, v36
	v_sub_co_ci_u32_e32 v10, vcc_lo, v11, v37, vcc_lo
	v_mov_b32_e32 v5, v7
	s_delay_alu instid0(VALU_DEP_3) | instskip(SKIP_1) | instid1(VALU_DEP_4)
	v_add_co_u32 v14, vcc_lo, v40, v8
	v_add_nc_u32_e32 v11, 0x310, v15
	v_add_co_ci_u32_e32 v10, vcc_lo, v41, v10, vcc_lo
	s_delay_alu instid0(VALU_DEP_4)
	v_mad_u64_u32 v[7:8], null, s21, v9, v[5:6]
	v_add_co_u32 v226, vcc_lo, v40, v12
	v_add_co_ci_u32_e32 v227, vcc_lo, v41, v13, vcc_lo
	v_mad_u64_u32 v[8:9], null, s20, v11, 0
	v_add_co_u32 v228, vcc_lo, v14, 8
	v_add_nc_u32_e32 v14, 0x420, v15
	v_add_co_ci_u32_e32 v229, vcc_lo, 0, v10, vcc_lo
	v_sub_co_u32 v12, vcc_lo, v6, v36
	v_sub_co_ci_u32_e32 v13, vcc_lo, v7, v37, vcc_lo
	s_delay_alu instid0(VALU_DEP_4) | instskip(SKIP_1) | instid1(VALU_DEP_4)
	v_mad_u64_u32 v[6:7], null, s20, v14, 0
	v_dual_mov_b32 v5, v9 :: v_dual_add_nc_u32 v254, 17, v186
	v_add_co_u32 v230, vcc_lo, v40, v12
	s_delay_alu instid0(VALU_DEP_4) | instskip(NEXT) | instid1(VALU_DEP_3)
	v_add_co_ci_u32_e32 v231, vcc_lo, v41, v13, vcc_lo
	v_mad_u64_u32 v[9:10], null, s21, v11, v[5:6]
	v_mov_b32_e32 v5, v7
	v_mad_u64_u32 v[10:11], null, s20, v17, 0
	v_add_nc_u32_e32 v184, 19, v186
	v_sub_co_u32 v8, vcc_lo, v8, v36
	v_dual_mov_b32 v7, v9 :: v_dual_add_nc_u32 v204, 33, v186
	v_mad_u64_u32 v[12:13], null, s21, v14, v[5:6]
	v_mov_b32_e32 v5, v11
	s_delay_alu instid0(VALU_DEP_3) | instskip(SKIP_2) | instid1(VALU_DEP_3)
	v_sub_co_ci_u32_e32 v7, vcc_lo, v7, v37, vcc_lo
	v_add_nc_u32_e32 v14, 0x410, v15
	v_add_co_u32 v11, vcc_lo, v40, v8
	v_add_co_ci_u32_e32 v13, vcc_lo, v41, v7, vcc_lo
	v_mad_u64_u32 v[7:8], null, s21, v17, v[5:6]
	s_delay_alu instid0(VALU_DEP_4) | instskip(NEXT) | instid1(VALU_DEP_4)
	v_mad_u64_u32 v[8:9], null, s20, v14, 0
	v_add_co_u32 v232, vcc_lo, v11, 8
	s_delay_alu instid0(VALU_DEP_4)
	v_add_co_ci_u32_e32 v233, vcc_lo, 0, v13, vcc_lo
	v_add_nc_u32_e32 v206, 35, v186
	v_add_nc_u32_e32 v207, 48, v186
	v_sub_co_u32 v13, vcc_lo, v6, v36
	v_dual_mov_b32 v6, v7 :: v_dual_mov_b32 v5, v9
	v_add_nc_u32_e32 v15, 0x400, v15
	v_sub_co_ci_u32_e32 v17, vcc_lo, v12, v37, vcc_lo
	v_sub_co_u32 v18, vcc_lo, v10, v36
	s_delay_alu instid0(VALU_DEP_4)
	v_sub_co_ci_u32_e32 v19, vcc_lo, v6, v37, vcc_lo
	v_mad_u64_u32 v[6:7], null, s21, v14, v[5:6]
	v_mad_u64_u32 v[9:10], null, s20, v20, 0
	;; [unrolled: 1-line block ×3, first 2 shown]
	v_add_co_u32 v234, vcc_lo, v40, v13
	v_add_co_ci_u32_e32 v235, vcc_lo, v41, v17, vcc_lo
	s_delay_alu instid0(VALU_DEP_4)
	v_dual_mov_b32 v5, v10 :: v_dual_add_nc_u32 v208, 49, v186
	v_add_nc_u32_e32 v209, 50, v186
	v_add_co_u32 v14, vcc_lo, v40, v18
	v_dual_mov_b32 v7, v6 :: v_dual_mov_b32 v6, v12
	v_add_co_ci_u32_e32 v17, vcc_lo, v41, v19, vcc_lo
	v_sub_co_u32 v10, vcc_lo, v8, v36
	s_delay_alu instid0(VALU_DEP_3) | instskip(NEXT) | instid1(VALU_DEP_4)
	v_sub_co_ci_u32_e32 v18, vcc_lo, v7, v37, vcc_lo
	v_mad_u64_u32 v[7:8], null, s21, v20, v[5:6]
	v_add_co_u32 v236, vcc_lo, v14, 8
	v_add_co_ci_u32_e32 v237, vcc_lo, 0, v17, vcc_lo
	v_add_nc_u32_e32 v210, 51, v186
	v_add_co_u32 v238, vcc_lo, v40, v10
	v_mov_b32_e32 v5, v7
	v_mad_u64_u32 v[12:13], null, s21, v15, v[6:7]
	v_add_co_ci_u32_e32 v239, vcc_lo, v41, v18, vcc_lo
	v_sub_co_u32 v7, vcc_lo, v9, v36
	s_delay_alu instid0(VALU_DEP_4) | instskip(NEXT) | instid1(VALU_DEP_4)
	v_sub_co_ci_u32_e32 v5, vcc_lo, v5, v37, vcc_lo
	v_mov_b32_e32 v6, v12
	v_sub_co_u32 v8, vcc_lo, v11, v36
	s_delay_alu instid0(VALU_DEP_2) | instskip(SKIP_2) | instid1(VALU_DEP_4)
	v_sub_co_ci_u32_e32 v6, vcc_lo, v6, v37, vcc_lo
	v_add_co_u32 v7, vcc_lo, v40, v7
	v_add_co_ci_u32_e32 v5, vcc_lo, v41, v5, vcc_lo
	v_add_co_u32 v8, vcc_lo, v40, v8
	s_delay_alu instid0(VALU_DEP_4) | instskip(NEXT) | instid1(VALU_DEP_4)
	v_add_co_ci_u32_e32 v6, vcc_lo, v41, v6, vcc_lo
	v_add_co_u32 v240, vcc_lo, v7, 8
	s_delay_alu instid0(VALU_DEP_4) | instskip(NEXT) | instid1(VALU_DEP_4)
	v_add_co_ci_u32_e32 v241, vcc_lo, 0, v5, vcc_lo
	v_add_co_u32 v242, vcc_lo, v8, 8
	s_delay_alu instid0(VALU_DEP_4)
	v_add_co_ci_u32_e32 v243, vcc_lo, 0, v6, vcc_lo
	s_cmp_eq_u32 s11, s14
	s_cselect_b32 s13, s24, 0
	s_and_saveexec_b32 s1, s2
	s_cbranch_execz .LBB20_132
.LBB20_128:
	v_cmp_le_i32_e32 vcc_lo, s13, v183
	s_cmp_lg_u32 s13, 0
	s_cselect_b32 s6, -1, 0
	s_delay_alu instid0(SALU_CYCLE_1) | instskip(NEXT) | instid1(SALU_CYCLE_1)
	s_and_b32 s6, s6, vcc_lo
	s_and_saveexec_b32 s7, s6
	s_delay_alu instid0(SALU_CYCLE_1)
	s_xor_b32 s6, exec_lo, s7
	s_cbranch_execz .LBB20_130
; %bb.129:
	v_dual_mov_b32 v5, v4 :: v_dual_add_nc_u32 v8, 0x4300, v185
	v_mov_b32_e32 v6, v4
	v_mov_b32_e32 v7, v4
	ds_store_b128 v8, v[4:7]
.LBB20_130:
	s_and_not1_saveexec_b32 s6, s6
	s_cbranch_execz .LBB20_132
; %bb.131:
	s_mul_i32 s6, s12, s29
	s_mul_hi_u32 s7, s12, s28
	s_ashr_i32 s15, s12, 31
	s_add_i32 s6, s7, s6
	s_mul_i32 s15, s15, s28
	v_add_nc_u32_e32 v9, 0x4300, v185
	s_add_i32 s7, s6, s15
	s_mul_i32 s6, s12, s28
	s_delay_alu instid0(SALU_CYCLE_1) | instskip(NEXT) | instid1(SALU_CYCLE_1)
	s_lshl_b64 s[6:7], s[6:7], 4
	v_add_co_u32 v5, vcc_lo, v187, s6
	v_add_co_ci_u32_e32 v6, vcc_lo, s7, v188, vcc_lo
	global_load_b128 v[5:8], v[5:6], off
	s_waitcnt vmcnt(0)
	ds_store_2addr_b64 v9, v[5:6], v[7:8] offset1:1
.LBB20_132:                             ; =>This Inner Loop Header: Depth=1
	s_or_b32 exec_lo, exec_lo, s1
	s_cmp_eq_u32 s13, 0
	v_add_co_u32 v17, vcc_lo, v212, v185
	s_cselect_b32 s15, -1, 0
	s_cmp_lg_u32 s13, 0
	v_add_co_ci_u32_e32 v18, vcc_lo, 0, v213, vcc_lo
	s_cselect_b32 s1, -1, 0
	s_waitcnt lgkmcnt(0)
	s_waitcnt_vscnt null, 0x0
	s_and_b32 vcc_lo, exec_lo, s1
	s_barrier
	buffer_gl0_inv
	s_cbranch_vccz .LBB20_140
; %bb.133:                              ;   in Loop: Header=BB20_132 Depth=1
	v_mov_b32_e32 v5, 0
	v_mov_b32_e32 v6, 0
	s_mov_b32 s6, exec_lo
	s_delay_alu instid0(VALU_DEP_1)
	v_dual_mov_b32 v10, v6 :: v_dual_mov_b32 v9, v5
	v_dual_mov_b32 v12, v6 :: v_dual_mov_b32 v11, v5
	v_cmpx_gt_i32_e64 s13, v186
	s_cbranch_execz .LBB20_135
; %bb.134:                              ;   in Loop: Header=BB20_132 Depth=1
	global_load_b128 v[9:12], v[17:18], off offset:-8
.LBB20_135:                             ;   in Loop: Header=BB20_132 Depth=1
	s_or_b32 exec_lo, exec_lo, s6
	v_dual_mov_b32 v8, v6 :: v_dual_mov_b32 v7, v5
	s_mov_b32 s6, exec_lo
	v_cmpx_gt_i32_e64 s13, v189
	s_cbranch_execz .LBB20_137
; %bb.136:                              ;   in Loop: Header=BB20_132 Depth=1
	v_add_co_u32 v5, vcc_lo, v220, v185
	v_add_co_ci_u32_e32 v6, vcc_lo, 0, v221, vcc_lo
	global_load_b128 v[5:8], v[5:6], off offset:-8
.LBB20_137:                             ;   in Loop: Header=BB20_132 Depth=1
	s_or_b32 exec_lo, exec_lo, s6
	v_mov_b32_e32 v13, 0
	v_mov_b32_e32 v14, 0
	s_mov_b64 s[6:7], 0
	s_mov_b32 s16, exec_lo
	s_delay_alu instid0(VALU_DEP_1)
	v_dual_mov_b32 v16, v14 :: v_dual_mov_b32 v15, v13
	v_cmpx_gt_i32_e64 s13, v192
	s_cbranch_execz .LBB20_139
; %bb.138:                              ;   in Loop: Header=BB20_132 Depth=1
	v_add_co_u32 v13, vcc_lo, v216, v185
	v_add_co_ci_u32_e32 v14, vcc_lo, 0, v217, vcc_lo
	global_load_b128 v[13:16], v[13:14], off
.LBB20_139:                             ;   in Loop: Header=BB20_132 Depth=1
	s_or_b32 exec_lo, exec_lo, s16
	v_cmp_gt_i32_e64 s16, s13, v196
	s_branch .LBB20_142
.LBB20_140:                             ;   in Loop: Header=BB20_132 Depth=1
	s_mov_b32 s16, 0
                                        ; implicit-def: $sgpr6_sgpr7
                                        ; implicit-def: $vgpr15_vgpr16
                                        ; implicit-def: $vgpr7_vgpr8
                                        ; implicit-def: $vgpr11_vgpr12
	s_cbranch_execz .LBB20_142
; %bb.141:                              ;   in Loop: Header=BB20_132 Depth=1
	s_waitcnt vmcnt(0)
	v_add_co_u32 v5, vcc_lo, v220, v185
	v_add_co_ci_u32_e32 v6, vcc_lo, 0, v221, vcc_lo
	v_add_co_u32 v13, vcc_lo, v216, v185
	v_add_co_ci_u32_e32 v14, vcc_lo, 0, v217, vcc_lo
	global_load_b128 v[9:12], v[17:18], off offset:-8
	global_load_b128 v[5:8], v[5:6], off offset:-8
	global_load_b128 v[13:16], v[13:14], off
	s_or_b32 s16, s16, exec_lo
                                        ; implicit-def: $sgpr6_sgpr7
.LBB20_142:                             ;   in Loop: Header=BB20_132 Depth=1
	v_dual_mov_b32 v18, s7 :: v_dual_mov_b32 v17, s6
	v_dual_mov_b32 v20, s7 :: v_dual_mov_b32 v19, s6
	s_delay_alu instid0(VALU_DEP_3)
	s_and_saveexec_b32 s6, s16
	s_cbranch_execz .LBB20_144
; %bb.143:                              ;   in Loop: Header=BB20_132 Depth=1
	v_add_co_u32 v17, vcc_lo, v224, v185
	v_add_co_ci_u32_e32 v18, vcc_lo, 0, v225, vcc_lo
	global_load_b128 v[17:20], v[17:18], off offset:-8
.LBB20_144:                             ;   in Loop: Header=BB20_132 Depth=1
	s_or_b32 exec_lo, exec_lo, s6
	ds_load_b128 v[25:28], v190
	ds_load_b128 v[21:24], v197
	v_add_co_u32 v49, vcc_lo, v228, v185
	v_cndmask_b32_e64 v117, 0, 1, s1
	v_add_co_ci_u32_e32 v50, vcc_lo, 0, v229, vcc_lo
	s_and_not1_b32 vcc_lo, exec_lo, s1
	s_waitcnt vmcnt(0) lgkmcnt(1)
	v_mul_f64 v[29:30], v[11:12], v[27:28]
	v_mul_f64 v[31:32], v[11:12], v[25:26]
	;; [unrolled: 1-line block ×8, first 2 shown]
	v_fma_f64 v[29:30], v[9:10], v[25:26], v[29:30]
	v_fma_f64 v[31:32], v[9:10], v[27:28], -v[31:32]
	v_fma_f64 v[37:38], v[5:6], v[25:26], v[33:34]
	v_fma_f64 v[39:40], v[5:6], v[27:28], -v[35:36]
	;; [unrolled: 2-line block ×4, first 2 shown]
	ds_store_b128 v198, v[29:32]
	ds_load_b128 v[33:36], v197 offset:16
	ds_store_b128 v198, v[37:40] offset:1072
	ds_load_b128 v[29:32], v197 offset:32
	ds_store_b128 v198, v[41:44] offset:2144
	;; [unrolled: 2-line block ×3, first 2 shown]
	s_waitcnt lgkmcnt(0)
	s_barrier
	buffer_gl0_inv
	ds_load_b128 v[93:96], v193
	ds_load_b128 v[89:92], v193 offset:16
	ds_load_b128 v[81:84], v193 offset:32
	;; [unrolled: 1-line block ×3, first 2 shown]
	s_waitcnt lgkmcnt(0)
	s_barrier
	buffer_gl0_inv
	s_cbranch_vccnz .LBB20_152
; %bb.145:                              ;   in Loop: Header=BB20_132 Depth=1
	v_mov_b32_e32 v37, 0
	v_mov_b32_e32 v38, 0
	s_mov_b32 s1, exec_lo
	s_delay_alu instid0(VALU_DEP_1)
	v_dual_mov_b32 v42, v38 :: v_dual_mov_b32 v41, v37
	v_dual_mov_b32 v44, v38 :: v_dual_mov_b32 v43, v37
	v_cmpx_gt_i32_e64 s13, v253
	s_cbranch_execz .LBB20_147
; %bb.146:                              ;   in Loop: Header=BB20_132 Depth=1
	global_load_b128 v[41:44], v[49:50], off offset:-8
.LBB20_147:                             ;   in Loop: Header=BB20_132 Depth=1
	s_or_b32 exec_lo, exec_lo, s1
	v_dual_mov_b32 v40, v38 :: v_dual_mov_b32 v39, v37
	s_mov_b32 s1, exec_lo
	v_cmpx_gt_i32_e64 s13, v254
	s_cbranch_execz .LBB20_149
; %bb.148:                              ;   in Loop: Header=BB20_132 Depth=1
	v_add_co_u32 v37, vcc_lo, v232, v185
	v_add_co_ci_u32_e32 v38, vcc_lo, 0, v233, vcc_lo
	global_load_b128 v[37:40], v[37:38], off offset:-8
.LBB20_149:                             ;   in Loop: Header=BB20_132 Depth=1
	s_or_b32 exec_lo, exec_lo, s1
	v_mov_b32_e32 v45, 0
	v_mov_b32_e32 v46, 0
	s_mov_b64 s[6:7], 0
	s_mov_b32 s1, exec_lo
	s_delay_alu instid0(VALU_DEP_1)
	v_dual_mov_b32 v48, v46 :: v_dual_mov_b32 v47, v45
	v_cmpx_gt_i32_e64 s13, v255
	s_cbranch_execz .LBB20_151
; %bb.150:                              ;   in Loop: Header=BB20_132 Depth=1
	v_add_co_u32 v45, vcc_lo, v236, v185
	v_add_co_ci_u32_e32 v46, vcc_lo, 0, v237, vcc_lo
	global_load_b128 v[45:48], v[45:46], off offset:-8
.LBB20_151:                             ;   in Loop: Header=BB20_132 Depth=1
	s_or_b32 exec_lo, exec_lo, s1
	v_cmp_gt_i32_e64 s1, s13, v184
	s_branch .LBB20_154
.LBB20_152:                             ;   in Loop: Header=BB20_132 Depth=1
	s_mov_b32 s1, 0
                                        ; implicit-def: $sgpr6_sgpr7
                                        ; implicit-def: $vgpr47_vgpr48
                                        ; implicit-def: $vgpr39_vgpr40
                                        ; implicit-def: $vgpr43_vgpr44
	s_cbranch_execz .LBB20_154
; %bb.153:                              ;   in Loop: Header=BB20_132 Depth=1
	s_waitcnt vmcnt(0)
	v_add_co_u32 v37, vcc_lo, v232, v185
	v_add_co_ci_u32_e32 v38, vcc_lo, 0, v233, vcc_lo
	v_add_co_u32 v45, vcc_lo, v236, v185
	v_add_co_ci_u32_e32 v46, vcc_lo, 0, v237, vcc_lo
	global_load_b128 v[41:44], v[49:50], off offset:-8
	global_load_b128 v[37:40], v[37:38], off offset:-8
	;; [unrolled: 1-line block ×3, first 2 shown]
	s_or_b32 s1, s1, exec_lo
                                        ; implicit-def: $sgpr6_sgpr7
.LBB20_154:                             ;   in Loop: Header=BB20_132 Depth=1
	v_dual_mov_b32 v50, s7 :: v_dual_mov_b32 v49, s6
	v_dual_mov_b32 v52, s7 :: v_dual_mov_b32 v51, s6
	s_delay_alu instid0(VALU_DEP_3)
	s_and_saveexec_b32 s6, s1
	s_cbranch_execz .LBB20_156
; %bb.155:                              ;   in Loop: Header=BB20_132 Depth=1
	v_add_co_u32 v49, vcc_lo, v240, v185
	v_add_co_ci_u32_e32 v50, vcc_lo, 0, v241, vcc_lo
	global_load_b128 v[49:52], v[49:50], off offset:-8
.LBB20_156:                             ;   in Loop: Header=BB20_132 Depth=1
	s_or_b32 exec_lo, exec_lo, s6
	ds_load_b128 v[57:60], v190
	ds_load_b128 v[53:56], v197 offset:256
	v_cmp_ne_u32_e32 vcc_lo, 1, v117
	v_add_co_u32 v97, s1, v242, v185
	s_delay_alu instid0(VALU_DEP_1)
	v_add_co_ci_u32_e64 v98, s1, 0, v243, s1
	s_and_b32 vcc_lo, exec_lo, vcc_lo
	s_waitcnt vmcnt(0) lgkmcnt(1)
	v_mul_f64 v[61:62], v[43:44], v[59:60]
	v_mul_f64 v[63:64], v[43:44], v[57:58]
	;; [unrolled: 1-line block ×8, first 2 shown]
	v_fma_f64 v[61:62], v[41:42], v[57:58], v[61:62]
	v_fma_f64 v[63:64], v[41:42], v[59:60], -v[63:64]
	v_fma_f64 v[69:70], v[37:38], v[57:58], v[65:66]
	v_fma_f64 v[71:72], v[37:38], v[59:60], -v[67:68]
	;; [unrolled: 2-line block ×4, first 2 shown]
	ds_store_b128 v198, v[61:64]
	ds_load_b128 v[65:68], v197 offset:272
	ds_store_b128 v198, v[69:72] offset:1072
	ds_load_b128 v[61:64], v197 offset:288
	ds_store_b128 v198, v[73:76] offset:2144
	;; [unrolled: 2-line block ×3, first 2 shown]
	s_waitcnt lgkmcnt(0)
	s_barrier
	buffer_gl0_inv
	ds_load_b128 v[141:144], v193
	ds_load_b128 v[137:140], v193 offset:16
	ds_load_b128 v[133:136], v193 offset:32
	;; [unrolled: 1-line block ×3, first 2 shown]
	s_waitcnt lgkmcnt(0)
	s_barrier
	buffer_gl0_inv
	s_cbranch_vccnz .LBB20_164
; %bb.157:                              ;   in Loop: Header=BB20_132 Depth=1
	v_mov_b32_e32 v69, 0
	v_mov_b32_e32 v70, 0
	s_mov_b32 s1, exec_lo
	s_delay_alu instid0(VALU_DEP_1)
	v_dual_mov_b32 v74, v70 :: v_dual_mov_b32 v73, v69
	v_dual_mov_b32 v76, v70 :: v_dual_mov_b32 v75, v69
	v_cmpx_gt_i32_e64 s13, v203
	s_cbranch_execz .LBB20_159
; %bb.158:                              ;   in Loop: Header=BB20_132 Depth=1
	global_load_b128 v[73:76], v[97:98], off offset:-8
.LBB20_159:                             ;   in Loop: Header=BB20_132 Depth=1
	s_or_b32 exec_lo, exec_lo, s1
	v_dual_mov_b32 v72, v70 :: v_dual_mov_b32 v71, v69
	s_mov_b32 s1, exec_lo
	v_cmpx_gt_i32_e64 s13, v204
	s_cbranch_execz .LBB20_161
; %bb.160:                              ;   in Loop: Header=BB20_132 Depth=1
	v_add_co_u32 v69, vcc_lo, v238, v185
	v_add_co_ci_u32_e32 v70, vcc_lo, 0, v239, vcc_lo
	global_load_b128 v[69:72], v[69:70], off
.LBB20_161:                             ;   in Loop: Header=BB20_132 Depth=1
	s_or_b32 exec_lo, exec_lo, s1
	v_mov_b32_e32 v85, 0
	v_mov_b32_e32 v86, 0
	s_mov_b64 s[6:7], 0
	s_mov_b32 s1, exec_lo
	s_delay_alu instid0(VALU_DEP_1)
	v_dual_mov_b32 v88, v86 :: v_dual_mov_b32 v87, v85
	v_cmpx_gt_i32_e64 s13, v205
	s_cbranch_execz .LBB20_163
; %bb.162:                              ;   in Loop: Header=BB20_132 Depth=1
	v_add_co_u32 v85, vcc_lo, v234, v185
	v_add_co_ci_u32_e32 v86, vcc_lo, 0, v235, vcc_lo
	global_load_b128 v[85:88], v[85:86], off
.LBB20_163:                             ;   in Loop: Header=BB20_132 Depth=1
	s_or_b32 exec_lo, exec_lo, s1
	v_cmp_gt_i32_e64 s1, s13, v206
	s_branch .LBB20_166
.LBB20_164:                             ;   in Loop: Header=BB20_132 Depth=1
	s_mov_b32 s1, 0
                                        ; implicit-def: $sgpr6_sgpr7
                                        ; implicit-def: $vgpr87_vgpr88
                                        ; implicit-def: $vgpr71_vgpr72
                                        ; implicit-def: $vgpr75_vgpr76
	s_cbranch_execz .LBB20_166
; %bb.165:                              ;   in Loop: Header=BB20_132 Depth=1
	s_waitcnt vmcnt(0)
	v_add_co_u32 v69, vcc_lo, v238, v185
	v_add_co_ci_u32_e32 v70, vcc_lo, 0, v239, vcc_lo
	v_add_co_u32 v85, vcc_lo, v234, v185
	v_add_co_ci_u32_e32 v86, vcc_lo, 0, v235, vcc_lo
	global_load_b128 v[73:76], v[97:98], off offset:-8
	global_load_b128 v[69:72], v[69:70], off
	global_load_b128 v[85:88], v[85:86], off
	s_or_b32 s1, s1, exec_lo
                                        ; implicit-def: $sgpr6_sgpr7
.LBB20_166:                             ;   in Loop: Header=BB20_132 Depth=1
	v_dual_mov_b32 v98, s7 :: v_dual_mov_b32 v97, s6
	v_dual_mov_b32 v100, s7 :: v_dual_mov_b32 v99, s6
	s_delay_alu instid0(VALU_DEP_3)
	s_and_saveexec_b32 s6, s1
	s_cbranch_execz .LBB20_168
; %bb.167:                              ;   in Loop: Header=BB20_132 Depth=1
	v_add_co_u32 v97, vcc_lo, v230, v185
	v_add_co_ci_u32_e32 v98, vcc_lo, 0, v231, vcc_lo
	global_load_b128 v[97:100], v[97:98], off
.LBB20_168:                             ;   in Loop: Header=BB20_132 Depth=1
	s_or_b32 exec_lo, exec_lo, s6
	ds_load_b128 v[105:108], v190
	ds_load_b128 v[101:104], v197 offset:512
	v_cmp_ne_u32_e32 vcc_lo, 1, v117
	s_and_b32 vcc_lo, exec_lo, vcc_lo
	s_waitcnt vmcnt(0) lgkmcnt(1)
	v_mul_f64 v[109:110], v[75:76], v[107:108]
	v_mul_f64 v[111:112], v[75:76], v[105:106]
	;; [unrolled: 1-line block ×8, first 2 shown]
	v_fma_f64 v[109:110], v[73:74], v[105:106], v[109:110]
	v_fma_f64 v[111:112], v[73:74], v[107:108], -v[111:112]
	v_fma_f64 v[118:119], v[69:70], v[105:106], v[113:114]
	v_fma_f64 v[120:121], v[69:70], v[107:108], -v[115:116]
	;; [unrolled: 2-line block ×4, first 2 shown]
	ds_store_b128 v198, v[109:112]
	ds_load_b128 v[113:116], v197 offset:528
	ds_store_b128 v198, v[118:121] offset:1072
	ds_load_b128 v[109:112], v197 offset:544
	ds_store_b128 v198, v[122:125] offset:2144
	;; [unrolled: 2-line block ×3, first 2 shown]
	s_waitcnt lgkmcnt(0)
	s_barrier
	buffer_gl0_inv
	ds_load_b128 v[177:180], v193
	ds_load_b128 v[173:176], v193 offset:16
	ds_load_b128 v[169:172], v193 offset:32
	ds_load_b128 v[165:168], v193 offset:48
	v_add_co_u32 v145, s1, v226, v185
	s_delay_alu instid0(VALU_DEP_1)
	v_add_co_ci_u32_e64 v146, s1, 0, v227, s1
	s_waitcnt lgkmcnt(0)
	s_barrier
	buffer_gl0_inv
	s_cbranch_vccnz .LBB20_176
; %bb.169:                              ;   in Loop: Header=BB20_132 Depth=1
	v_mov_b32_e32 v117, 0
	v_mov_b32_e32 v118, 0
	s_mov_b32 s1, exec_lo
	s_delay_alu instid0(VALU_DEP_1)
	v_dual_mov_b32 v122, v118 :: v_dual_mov_b32 v121, v117
	v_dual_mov_b32 v124, v118 :: v_dual_mov_b32 v123, v117
	v_cmpx_gt_i32_e64 s13, v207
	s_cbranch_execz .LBB20_171
; %bb.170:                              ;   in Loop: Header=BB20_132 Depth=1
	global_load_b128 v[121:124], v[145:146], off
.LBB20_171:                             ;   in Loop: Header=BB20_132 Depth=1
	s_or_b32 exec_lo, exec_lo, s1
	v_dual_mov_b32 v120, v118 :: v_dual_mov_b32 v119, v117
	s_mov_b32 s1, exec_lo
	v_cmpx_gt_i32_e64 s13, v208
	s_cbranch_execz .LBB20_173
; %bb.172:                              ;   in Loop: Header=BB20_132 Depth=1
	v_add_co_u32 v117, vcc_lo, v222, v185
	v_add_co_ci_u32_e32 v118, vcc_lo, 0, v223, vcc_lo
	global_load_b128 v[117:120], v[117:118], off
.LBB20_173:                             ;   in Loop: Header=BB20_132 Depth=1
	s_or_b32 exec_lo, exec_lo, s1
	v_mov_b32_e32 v125, 0
	v_mov_b32_e32 v126, 0
	s_mov_b64 s[6:7], 0
	s_mov_b32 s1, exec_lo
	s_delay_alu instid0(VALU_DEP_1)
	v_dual_mov_b32 v128, v126 :: v_dual_mov_b32 v127, v125
	v_cmpx_gt_i32_e64 s13, v209
	s_cbranch_execz .LBB20_175
; %bb.174:                              ;   in Loop: Header=BB20_132 Depth=1
	v_add_co_u32 v125, vcc_lo, v218, v185
	v_add_co_ci_u32_e32 v126, vcc_lo, 0, v219, vcc_lo
	global_load_b128 v[125:128], v[125:126], off
.LBB20_175:                             ;   in Loop: Header=BB20_132 Depth=1
	s_or_b32 exec_lo, exec_lo, s1
	v_cmp_gt_i32_e64 s1, s13, v210
	s_branch .LBB20_178
.LBB20_176:                             ;   in Loop: Header=BB20_132 Depth=1
	s_mov_b32 s1, 0
                                        ; implicit-def: $sgpr6_sgpr7
                                        ; implicit-def: $vgpr127_vgpr128
                                        ; implicit-def: $vgpr119_vgpr120
                                        ; implicit-def: $vgpr123_vgpr124
	s_cbranch_execz .LBB20_178
; %bb.177:                              ;   in Loop: Header=BB20_132 Depth=1
	s_waitcnt vmcnt(0)
	v_add_co_u32 v117, vcc_lo, v222, v185
	v_add_co_ci_u32_e32 v118, vcc_lo, 0, v223, vcc_lo
	v_add_co_u32 v125, vcc_lo, v218, v185
	v_add_co_ci_u32_e32 v126, vcc_lo, 0, v219, vcc_lo
	global_load_b128 v[121:124], v[145:146], off
	global_load_b128 v[117:120], v[117:118], off
	;; [unrolled: 1-line block ×3, first 2 shown]
	s_or_b32 s1, s1, exec_lo
                                        ; implicit-def: $sgpr6_sgpr7
.LBB20_178:                             ;   in Loop: Header=BB20_132 Depth=1
	v_dual_mov_b32 v146, s7 :: v_dual_mov_b32 v145, s6
	v_dual_mov_b32 v148, s7 :: v_dual_mov_b32 v147, s6
	s_delay_alu instid0(VALU_DEP_3)
	s_and_saveexec_b32 s6, s1
	s_cbranch_execz .LBB20_180
; %bb.179:                              ;   in Loop: Header=BB20_132 Depth=1
	v_add_co_u32 v145, vcc_lo, v214, v185
	v_add_co_ci_u32_e32 v146, vcc_lo, 0, v215, vcc_lo
	global_load_b128 v[145:148], v[145:146], off
.LBB20_180:                             ;   in Loop: Header=BB20_132 Depth=1
	s_or_b32 exec_lo, exec_lo, s6
	ds_load_b128 v[153:156], v190
	ds_load_b128 v[149:152], v197 offset:768
	v_add_f64 v[141:142], v[141:142], 0
	v_add_f64 v[143:144], v[143:144], 0
	;; [unrolled: 1-line block ×4, first 2 shown]
	v_cmp_gt_i32_e32 vcc_lo, s13, v183
	s_or_b32 s1, s15, vcc_lo
	s_delay_alu instid0(SALU_CYCLE_1)
	s_and_b32 s6, s0, s1
	s_waitcnt vmcnt(0) lgkmcnt(1)
	v_mul_f64 v[157:158], v[123:124], v[155:156]
	v_mul_f64 v[159:160], v[123:124], v[153:154]
	v_mul_f64 v[161:162], v[119:120], v[155:156]
	v_mul_f64 v[163:164], v[119:120], v[153:154]
	v_mul_f64 v[199:200], v[127:128], v[155:156]
	v_mul_f64 v[201:202], v[127:128], v[153:154]
	v_mul_f64 v[181:182], v[147:148], v[155:156]
	v_mul_f64 v[194:195], v[147:148], v[153:154]
	v_add_f64 v[137:138], v[141:142], v[137:138]
	v_add_f64 v[139:140], v[143:144], v[139:140]
	;; [unrolled: 1-line block ×4, first 2 shown]
	v_fma_f64 v[157:158], v[121:122], v[153:154], v[157:158]
	v_fma_f64 v[159:160], v[121:122], v[155:156], -v[159:160]
	v_fma_f64 v[245:246], v[117:118], v[153:154], v[161:162]
	v_fma_f64 v[247:248], v[117:118], v[155:156], -v[163:164]
	;; [unrolled: 2-line block ×4, first 2 shown]
	v_add_f64 v[181:182], v[93:94], 0
	v_add_f64 v[194:195], v[95:96], 0
	;; [unrolled: 1-line block ×6, first 2 shown]
	ds_store_b128 v198, v[157:160]
	ds_load_b128 v[161:164], v197 offset:784
	ds_store_b128 v198, v[245:248] offset:1072
	ds_load_b128 v[157:160], v197 offset:800
	ds_store_b128 v198, v[249:252] offset:2144
	;; [unrolled: 2-line block ×3, first 2 shown]
	s_waitcnt lgkmcnt(0)
	s_barrier
	buffer_gl0_inv
	ds_load_b128 v[199:202], v193
	ds_load_b128 v[93:96], v193 offset:16
	v_add_f64 v[141:142], v[181:182], v[89:90]
	v_add_f64 v[143:144], v[194:195], v[91:92]
	ds_load_b128 v[89:92], v193 offset:32
	s_waitcnt lgkmcnt(2)
	v_add_f64 v[199:200], v[199:200], 0
	v_add_f64 v[201:202], v[201:202], 0
	;; [unrolled: 1-line block ×4, first 2 shown]
	ds_load_b128 v[81:84], v193 offset:48
	s_waitcnt lgkmcnt(0)
	s_barrier
	buffer_gl0_inv
	v_add_f64 v[93:94], v[199:200], v[93:94]
	v_add_f64 v[95:96], v[201:202], v[95:96]
	;; [unrolled: 1-line block ×4, first 2 shown]
	s_delay_alu instid0(VALU_DEP_4) | instskip(NEXT) | instid1(VALU_DEP_4)
	v_add_f64 v[141:142], v[93:94], v[89:90]
	v_add_f64 v[143:144], v[95:96], v[91:92]
	;; [unrolled: 1-line block ×8, first 2 shown]
	ds_store_b128 v244, v[77:80]
	ds_store_b128 v244, v[93:96] offset:256
	ds_store_b128 v244, v[89:92] offset:512
	;; [unrolled: 1-line block ×3, first 2 shown]
	s_waitcnt lgkmcnt(0)
	s_barrier
	buffer_gl0_inv
	s_and_saveexec_b32 s1, s6
	s_cbranch_execz .LBB20_182
; %bb.181:                              ;   in Loop: Header=BB20_132 Depth=1
	ds_load_b128 v[77:80], v191
	ds_load_b128 v[81:84], v191 offset:16
	s_waitcnt lgkmcnt(0)
	v_add_f64 v[89:90], v[81:82], v[77:78]
	v_add_f64 v[91:92], v[83:84], v[79:80]
	ds_load_b128 v[77:80], v191 offset:32
	ds_load_b128 v[81:84], v191 offset:48
	s_waitcnt lgkmcnt(1)
	v_add_f64 v[77:78], v[89:90], v[77:78]
	v_add_f64 v[79:80], v[91:92], v[79:80]
	s_waitcnt lgkmcnt(0)
	s_delay_alu instid0(VALU_DEP_2) | instskip(NEXT) | instid1(VALU_DEP_2)
	v_add_f64 v[89:90], v[77:78], v[81:82]
	v_add_f64 v[91:92], v[79:80], v[83:84]
	ds_load_b128 v[77:80], v191 offset:64
	ds_load_b128 v[81:84], v191 offset:80
	s_waitcnt lgkmcnt(1)
	v_add_f64 v[77:78], v[89:90], v[77:78]
	v_add_f64 v[79:80], v[91:92], v[79:80]
	s_waitcnt lgkmcnt(0)
	s_delay_alu instid0(VALU_DEP_2) | instskip(NEXT) | instid1(VALU_DEP_2)
	;; [unrolled: 9-line block ×5, first 2 shown]
	v_add_f64 v[89:90], v[77:78], v[81:82]
	v_add_f64 v[91:92], v[79:80], v[83:84]
	ds_load_b128 v[77:80], v191 offset:192
	ds_load_b128 v[81:84], v191 offset:208
	s_waitcnt lgkmcnt(1)
	v_add_f64 v[77:78], v[89:90], v[77:78]
	v_add_f64 v[79:80], v[91:92], v[79:80]
	s_waitcnt lgkmcnt(0)
	s_delay_alu instid0(VALU_DEP_2)
	v_add_f64 v[89:90], v[77:78], v[81:82]
	scratch_load_b32 v81, off, off          ; 4-byte Folded Reload
	v_add_f64 v[91:92], v[79:80], v[83:84]
	ds_load_b128 v[77:80], v191 offset:224
	s_waitcnt vmcnt(0)
	ds_load_b128 v[81:84], v81
	s_waitcnt lgkmcnt(1)
	v_add_f64 v[77:78], v[89:90], v[77:78]
	v_add_f64 v[79:80], v[91:92], v[79:80]
	s_waitcnt lgkmcnt(0)
	s_delay_alu instid0(VALU_DEP_2) | instskip(NEXT) | instid1(VALU_DEP_2)
	v_add_f64 v[77:78], v[77:78], v[81:82]
	v_add_f64 v[79:80], v[79:80], v[83:84]
	v_add_nc_u32_e32 v81, s12, v211
	s_delay_alu instid0(VALU_DEP_1) | instskip(NEXT) | instid1(VALU_DEP_1)
	v_ashrrev_i32_e32 v82, 31, v81
	v_lshlrev_b64 v[81:82], 4, v[81:82]
	s_delay_alu instid0(VALU_DEP_1) | instskip(NEXT) | instid1(VALU_DEP_2)
	v_add_co_u32 v81, vcc_lo, s3, v81
	v_add_co_ci_u32_e32 v82, vcc_lo, s8, v82, vcc_lo
	global_store_b128 v[81:82], v[77:80], off
.LBB20_182:                             ;   in Loop: Header=BB20_132 Depth=1
	s_or_b32 exec_lo, exec_lo, s1
	v_mul_f64 v[77:78], v[11:12], v[23:24]
	v_mul_f64 v[23:24], v[9:10], v[23:24]
	;; [unrolled: 1-line block ×4, first 2 shown]
	v_add_co_u32 v212, vcc_lo, v212, s4
	v_add_co_ci_u32_e32 v213, vcc_lo, s5, v213, vcc_lo
	v_add_co_u32 v214, vcc_lo, v214, s4
	v_add_co_ci_u32_e32 v215, vcc_lo, s5, v215, vcc_lo
	;; [unrolled: 2-line block ×8, first 2 shown]
	v_add_co_u32 v228, vcc_lo, v228, s4
	v_fma_f64 v[9:10], v[9:10], v[21:22], -v[77:78]
	v_fma_f64 v[11:12], v[11:12], v[21:22], v[23:24]
	v_mul_f64 v[21:22], v[15:16], v[31:32]
	v_mul_f64 v[23:24], v[13:14], v[31:32]
	v_fma_f64 v[5:6], v[5:6], v[33:34], -v[79:80]
	v_fma_f64 v[7:8], v[7:8], v[33:34], v[35:36]
	v_add_co_ci_u32_e32 v229, vcc_lo, s5, v229, vcc_lo
	v_add_co_u32 v230, vcc_lo, v230, s4
	v_add_co_ci_u32_e32 v231, vcc_lo, s5, v231, vcc_lo
	v_add_co_u32 v232, vcc_lo, v232, s4
	;; [unrolled: 2-line block ×7, first 2 shown]
	v_add_co_ci_u32_e32 v243, vcc_lo, s5, v243, vcc_lo
	s_add_i32 s6, s14, 2
	s_add_i32 s1, s14, 1
	v_add_f64 v[0:1], v[0:1], v[9:10]
	v_add_f64 v[2:3], v[2:3], v[11:12]
	v_mul_f64 v[9:10], v[19:20], v[27:28]
	v_mul_f64 v[11:12], v[17:18], v[27:28]
	v_fma_f64 v[13:14], v[13:14], v[29:30], -v[21:22]
	v_fma_f64 v[15:16], v[15:16], v[29:30], v[23:24]
	s_add_i32 s12, s12, 64
	s_cmp_ge_u32 s6, s9
	s_waitcnt_vscnt null, 0x0
	s_barrier
	buffer_gl0_inv
	v_add_f64 v[0:1], v[0:1], v[5:6]
	v_add_f64 v[2:3], v[2:3], v[7:8]
	v_mul_f64 v[5:6], v[43:44], v[55:56]
	v_mul_f64 v[7:8], v[41:42], v[55:56]
	v_fma_f64 v[9:10], v[17:18], v[25:26], -v[9:10]
	v_fma_f64 v[11:12], v[19:20], v[25:26], v[11:12]
	v_add_f64 v[0:1], v[0:1], v[13:14]
	v_add_f64 v[2:3], v[2:3], v[15:16]
	v_mul_f64 v[13:14], v[39:40], v[67:68]
	v_mul_f64 v[15:16], v[37:38], v[67:68]
	v_fma_f64 v[5:6], v[41:42], v[53:54], -v[5:6]
	v_fma_f64 v[7:8], v[43:44], v[53:54], v[7:8]
	;; [unrolled: 6-line block ×12, first 2 shown]
	v_add_f64 v[0:1], v[0:1], v[5:6]
	v_add_f64 v[2:3], v[2:3], v[7:8]
	v_fma_f64 v[5:6], v[145:146], v[153:154], -v[9:10]
	v_fma_f64 v[7:8], v[147:148], v[153:154], v[11:12]
	s_delay_alu instid0(VALU_DEP_4) | instskip(NEXT) | instid1(VALU_DEP_4)
	v_add_f64 v[0:1], v[0:1], v[13:14]
	v_add_f64 v[2:3], v[2:3], v[15:16]
	s_delay_alu instid0(VALU_DEP_2) | instskip(NEXT) | instid1(VALU_DEP_2)
	v_add_f64 v[0:1], v[0:1], v[5:6]
	v_add_f64 v[2:3], v[2:3], v[7:8]
	s_cbranch_scc1 .LBB20_184
; %bb.183:                              ;   in Loop: Header=BB20_132 Depth=1
	s_mov_b32 s14, s1
	s_delay_alu instid0(SALU_CYCLE_1)
	s_cmp_eq_u32 s11, s14
	s_cselect_b32 s13, s24, 0
	s_and_saveexec_b32 s1, s2
	s_cbranch_execnz .LBB20_128
	s_branch .LBB20_132
.LBB20_184:
	scratch_load_b32 v4, off, off offset:4  ; 4-byte Folded Reload
	v_cmp_gt_i32_e32 vcc_lo, s10, v183
	s_or_b32 s0, s18, vcc_lo
	s_delay_alu instid0(SALU_CYCLE_1)
	s_and_b32 s0, s2, s0
	s_waitcnt vmcnt(0)
	v_mad_u32_u24 v4, 0x430, v4, v185
	ds_store_b128 v4, v[0:3]
	s_waitcnt lgkmcnt(0)
	s_barrier
	buffer_gl0_inv
	s_and_saveexec_b32 s1, s0
	s_cbranch_execz .LBB20_186
; %bb.185:
	ds_load_b128 v[0:3], v185 offset:1072
	ds_load_b128 v[4:7], v185
	s_waitcnt lgkmcnt(0)
	v_add_f64 v[8:9], v[0:1], v[4:5]
	v_add_f64 v[10:11], v[2:3], v[6:7]
	ds_load_b128 v[0:3], v185 offset:2144
	ds_load_b128 v[4:7], v185 offset:3216
	s_waitcnt lgkmcnt(1)
	v_add_f64 v[0:1], v[8:9], v[0:1]
	v_add_f64 v[2:3], v[10:11], v[2:3]
	s_waitcnt lgkmcnt(0)
	s_delay_alu instid0(VALU_DEP_2) | instskip(SKIP_4) | instid1(VALU_DEP_1)
	v_add_f64 v[0:1], v[0:1], v[4:5]
	scratch_load_b64 v[4:5], off, off offset:8 ; 8-byte Folded Reload
	v_add_f64 v[2:3], v[2:3], v[6:7]
	s_waitcnt vmcnt(0)
	v_lshlrev_b64 v[4:5], 4, v[4:5]
	v_add_co_u32 v4, vcc_lo, s3, v4
	s_delay_alu instid0(VALU_DEP_2)
	v_add_co_ci_u32_e32 v5, vcc_lo, s8, v5, vcc_lo
	global_store_b128 v[4:5], v[0:3], off
.LBB20_186:
	s_nop 0
	s_sendmsg sendmsg(MSG_DEALLOC_VGPRS)
	s_endpgm
	.section	.rodata,"a",@progbits
	.p2align	6, 0x0
	.amdhsa_kernel _ZL26rocblas_hemvn_kernel_upperILb1ELi64ELi4ELi33ELi32ELi16El19rocblas_complex_numIdEPKS1_PS1_EviT6_lT7_lT5_lS6_lS7_lS5_lT8_i
		.amdhsa_group_segment_fixed_size 19200
		.amdhsa_private_segment_fixed_size 20
		.amdhsa_kernarg_size 392
		.amdhsa_user_sgpr_count 14
		.amdhsa_user_sgpr_dispatch_ptr 0
		.amdhsa_user_sgpr_queue_ptr 0
		.amdhsa_user_sgpr_kernarg_segment_ptr 1
		.amdhsa_user_sgpr_dispatch_id 0
		.amdhsa_user_sgpr_private_segment_size 0
		.amdhsa_wavefront_size32 1
		.amdhsa_uses_dynamic_stack 0
		.amdhsa_enable_private_segment 1
		.amdhsa_system_sgpr_workgroup_id_x 1
		.amdhsa_system_sgpr_workgroup_id_y 0
		.amdhsa_system_sgpr_workgroup_id_z 1
		.amdhsa_system_sgpr_workgroup_info 0
		.amdhsa_system_vgpr_workitem_id 1
		.amdhsa_next_free_vgpr 256
		.amdhsa_next_free_sgpr 32
		.amdhsa_reserve_vcc 1
		.amdhsa_float_round_mode_32 0
		.amdhsa_float_round_mode_16_64 0
		.amdhsa_float_denorm_mode_32 3
		.amdhsa_float_denorm_mode_16_64 3
		.amdhsa_dx10_clamp 1
		.amdhsa_ieee_mode 1
		.amdhsa_fp16_overflow 0
		.amdhsa_workgroup_processor_mode 1
		.amdhsa_memory_ordered 1
		.amdhsa_forward_progress 0
		.amdhsa_shared_vgpr_count 0
		.amdhsa_exception_fp_ieee_invalid_op 0
		.amdhsa_exception_fp_denorm_src 0
		.amdhsa_exception_fp_ieee_div_zero 0
		.amdhsa_exception_fp_ieee_overflow 0
		.amdhsa_exception_fp_ieee_underflow 0
		.amdhsa_exception_fp_ieee_inexact 0
		.amdhsa_exception_int_div_zero 0
	.end_amdhsa_kernel
	.section	.text._ZL26rocblas_hemvn_kernel_upperILb1ELi64ELi4ELi33ELi32ELi16El19rocblas_complex_numIdEPKS1_PS1_EviT6_lT7_lT5_lS6_lS7_lS5_lT8_i,"axG",@progbits,_ZL26rocblas_hemvn_kernel_upperILb1ELi64ELi4ELi33ELi32ELi16El19rocblas_complex_numIdEPKS1_PS1_EviT6_lT7_lT5_lS6_lS7_lS5_lT8_i,comdat
.Lfunc_end20:
	.size	_ZL26rocblas_hemvn_kernel_upperILb1ELi64ELi4ELi33ELi32ELi16El19rocblas_complex_numIdEPKS1_PS1_EviT6_lT7_lT5_lS6_lS7_lS5_lT8_i, .Lfunc_end20-_ZL26rocblas_hemvn_kernel_upperILb1ELi64ELi4ELi33ELi32ELi16El19rocblas_complex_numIdEPKS1_PS1_EviT6_lT7_lT5_lS6_lS7_lS5_lT8_i
                                        ; -- End function
	.section	.AMDGPU.csdata,"",@progbits
; Kernel info:
; codeLenInByte = 12948
; NumSgprs: 34
; NumVgprs: 256
; ScratchSize: 20
; MemoryBound: 1
; FloatMode: 240
; IeeeMode: 1
; LDSByteSize: 19200 bytes/workgroup (compile time only)
; SGPRBlocks: 4
; VGPRBlocks: 31
; NumSGPRsForWavesPerEU: 34
; NumVGPRsForWavesPerEU: 256
; Occupancy: 5
; WaveLimiterHint : 0
; COMPUTE_PGM_RSRC2:SCRATCH_EN: 1
; COMPUTE_PGM_RSRC2:USER_SGPR: 14
; COMPUTE_PGM_RSRC2:TRAP_HANDLER: 0
; COMPUTE_PGM_RSRC2:TGID_X_EN: 1
; COMPUTE_PGM_RSRC2:TGID_Y_EN: 0
; COMPUTE_PGM_RSRC2:TGID_Z_EN: 1
; COMPUTE_PGM_RSRC2:TIDIG_COMP_CNT: 1
	.section	.text._ZL36rocblas_hemvn_kernel_upper_block_sumILi64El19rocblas_complex_numIdEPS1_S1_EviT1_lS3_lT2_lT0_lPT3_i,"axG",@progbits,_ZL36rocblas_hemvn_kernel_upper_block_sumILi64El19rocblas_complex_numIdEPS1_S1_EviT1_lS3_lT2_lT0_lPT3_i,comdat
	.globl	_ZL36rocblas_hemvn_kernel_upper_block_sumILi64El19rocblas_complex_numIdEPS1_S1_EviT1_lS3_lT2_lT0_lPT3_i ; -- Begin function _ZL36rocblas_hemvn_kernel_upper_block_sumILi64El19rocblas_complex_numIdEPS1_S1_EviT1_lS3_lT2_lT0_lPT3_i
	.p2align	8
	.type	_ZL36rocblas_hemvn_kernel_upper_block_sumILi64El19rocblas_complex_numIdEPS1_S1_EviT1_lS3_lT2_lT0_lPT3_i,@function
_ZL36rocblas_hemvn_kernel_upper_block_sumILi64El19rocblas_complex_numIdEPS1_S1_EviT1_lS3_lT2_lT0_lPT3_i: ; @_ZL36rocblas_hemvn_kernel_upper_block_sumILi64El19rocblas_complex_numIdEPS1_S1_EviT1_lS3_lT2_lT0_lPT3_i
; %bb.0:
	s_clause 0x1
	s_load_b128 s[20:23], s[0:1], 0x8
	s_load_b128 s[16:19], s[0:1], 0x20
	s_waitcnt lgkmcnt(0)
	v_cmp_neq_f64_e64 s2, s[20:21], 0
	v_cmp_neq_f64_e64 s3, s[22:23], 0
	s_delay_alu instid0(VALU_DEP_1)
	s_or_b32 s2, s2, s3
	s_mov_b32 s3, -1
	s_and_b32 vcc_lo, exec_lo, s2
	s_cbranch_vccnz .LBB21_2
; %bb.1:
	v_cmp_neq_f64_e64 s3, s[16:17], 1.0
	v_cmp_neq_f64_e64 s4, s[18:19], 0
	s_delay_alu instid0(VALU_DEP_1)
	s_or_b32 s3, s3, s4
.LBB21_2:
	s_delay_alu instid0(SALU_CYCLE_1)
	s_and_not1_b32 vcc_lo, exec_lo, s3
	s_cbranch_vccnz .LBB21_22
; %bb.3:
	s_clause 0x2
	s_load_b256 s[4:11], s[0:1], 0x40
	s_load_b64 s[24:25], s[0:1], 0x38
	s_load_b32 s12, s[0:1], 0x0
	s_xor_b32 s13, s2, -1
	v_lshl_or_b32 v4, s14, 6, v0
	s_waitcnt lgkmcnt(0)
	s_mul_i32 s3, s15, s9
	s_mul_hi_u32 s9, s15, s8
	s_mul_i32 s2, s15, s8
	s_add_i32 s3, s9, s3
	s_delay_alu instid0(SALU_CYCLE_1) | instskip(NEXT) | instid1(SALU_CYCLE_1)
	s_lshl_b64 s[2:3], s[2:3], 4
	s_add_u32 s8, s24, s2
	s_addc_u32 s9, s25, s3
	s_lshl_b64 s[4:5], s[4:5], 4
	v_cmp_gt_i32_e64 s2, s12, v4
	s_add_u32 s3, s8, s4
	s_addc_u32 s4, s9, s5
	s_and_not1_b32 vcc_lo, exec_lo, s13
	s_mov_b32 s5, 0
	s_cbranch_vccnz .LBB21_8
; %bb.4:
	s_mov_b32 s8, 0
                                        ; implicit-def: $vgpr2_vgpr3
                                        ; implicit-def: $vgpr5_vgpr6
	s_and_saveexec_b32 s9, s2
	s_cbranch_execz .LBB21_9
; %bb.5:
	v_cmp_neq_f64_e64 s2, s[16:17], 0
	v_cmp_neq_f64_e64 s5, s[18:19], 0
	v_ashrrev_i32_e32 v0, 31, v4
	v_mul_lo_u32 v1, v4, s7
	v_mad_u64_u32 v[5:6], null, v4, s6, 0
	v_mov_b32_e32 v2, 0
	s_delay_alu instid0(VALU_DEP_4) | instskip(SKIP_1) | instid1(VALU_DEP_2)
	v_mul_lo_u32 v0, v0, s6
	v_mov_b32_e32 v3, 0
	v_add3_u32 v6, v6, v1, v0
	s_delay_alu instid0(VALU_DEP_2) | instskip(SKIP_1) | instid1(SALU_CYCLE_1)
	v_dual_mov_b32 v0, v2 :: v_dual_mov_b32 v1, v3
	s_or_b32 s2, s2, s5
	s_and_not1_b32 vcc_lo, exec_lo, s2
	s_cbranch_vccnz .LBB21_7
; %bb.6:
	v_lshlrev_b64 v[0:1], 4, v[5:6]
	s_delay_alu instid0(VALU_DEP_1) | instskip(NEXT) | instid1(VALU_DEP_2)
	v_add_co_u32 v0, vcc_lo, s3, v0
	v_add_co_ci_u32_e32 v1, vcc_lo, s4, v1, vcc_lo
	global_load_b128 v[7:10], v[0:1], off
	s_waitcnt vmcnt(0)
	v_mul_f64 v[0:1], s[18:19], v[9:10]
	v_mul_f64 v[2:3], s[16:17], v[9:10]
	s_delay_alu instid0(VALU_DEP_2) | instskip(NEXT) | instid1(VALU_DEP_2)
	v_fma_f64 v[0:1], s[16:17], v[7:8], -v[0:1]
	v_fma_f64 v[2:3], s[18:19], v[7:8], v[2:3]
.LBB21_7:
	s_mov_b32 s5, exec_lo
	s_or_b32 exec_lo, exec_lo, s9
	s_delay_alu instid0(SALU_CYCLE_1)
	s_and_b32 vcc_lo, exec_lo, s8
	s_cbranch_vccnz .LBB21_10
	s_branch .LBB21_20
.LBB21_8:
                                        ; implicit-def: $vgpr2_vgpr3
                                        ; implicit-def: $vgpr5_vgpr6
	s_cbranch_execnz .LBB21_10
	s_branch .LBB21_20
.LBB21_9:
	s_or_b32 exec_lo, exec_lo, s9
	s_delay_alu instid0(SALU_CYCLE_1)
	s_and_b32 vcc_lo, exec_lo, s8
	s_cbranch_vccz .LBB21_20
.LBB21_10:
	s_mov_b32 s2, exec_lo
                                        ; implicit-def: $vgpr2_vgpr3
                                        ; implicit-def: $vgpr5_vgpr6
	v_cmpx_gt_i32_e64 s12, v4
	s_cbranch_execz .LBB21_19
; %bb.11:
	v_mov_b32_e32 v0, 0
	v_mov_b32_e32 v1, 0
	v_ashrrev_i32_e32 v5, 31, v4
	s_cmp_lt_i32 s14, 0
	s_delay_alu instid0(VALU_DEP_2)
	v_dual_mov_b32 v3, v1 :: v_dual_mov_b32 v2, v0
	s_cbranch_scc1 .LBB21_14
; %bb.12:
	s_load_b32 s0, s[0:1], 0x68
	s_ashr_i32 s13, s12, 31
	s_mul_hi_u32 s1, s12, s15
	s_mul_i32 s9, s13, s15
	s_add_i32 s8, s14, 1
	s_add_i32 s1, s1, s9
	s_mul_i32 s9, s12, s15
	v_lshlrev_b64 v[2:3], 4, v[4:5]
	v_mov_b32_e32 v0, 0
	v_mov_b32_e32 v1, 0
	s_waitcnt lgkmcnt(0)
	s_mul_i32 s1, s1, s0
	s_mul_hi_u32 s14, s9, s0
	s_mul_i32 s0, s9, s0
	s_add_i32 s1, s14, s1
	s_delay_alu instid0(SALU_CYCLE_1) | instskip(NEXT) | instid1(SALU_CYCLE_1)
	s_lshl_b64 s[0:1], s[0:1], 4
	s_add_u32 s0, s10, s0
	s_addc_u32 s1, s11, s1
	v_add_co_u32 v2, vcc_lo, s0, v2
	v_add_co_ci_u32_e32 v3, vcc_lo, s1, v3, vcc_lo
	s_lshl_b64 s[0:1], s[12:13], 4
	s_delay_alu instid0(VALU_DEP_2) | instskip(NEXT) | instid1(VALU_DEP_2)
	v_add_co_u32 v6, vcc_lo, v2, 8
	v_add_co_ci_u32_e32 v7, vcc_lo, 0, v3, vcc_lo
	v_dual_mov_b32 v3, v1 :: v_dual_mov_b32 v2, v0
.LBB21_13:                              ; =>This Inner Loop Header: Depth=1
	global_load_b128 v[8:11], v[6:7], off offset:-8
	v_add_co_u32 v6, vcc_lo, v6, s0
	v_add_co_ci_u32_e32 v7, vcc_lo, s1, v7, vcc_lo
	s_add_i32 s8, s8, -1
	s_delay_alu instid0(SALU_CYCLE_1)
	s_cmp_eq_u32 s8, 0
	s_waitcnt vmcnt(0)
	v_add_f64 v[2:3], v[2:3], v[8:9]
	v_add_f64 v[0:1], v[0:1], v[10:11]
	s_cbranch_scc0 .LBB21_13
.LBB21_14:
	s_delay_alu instid0(VALU_DEP_1) | instskip(SKIP_3) | instid1(VALU_DEP_4)
	v_mul_f64 v[6:7], s[22:23], v[0:1]
	v_mul_f64 v[8:9], s[20:21], v[0:1]
	v_cmp_neq_f64_e64 s0, s[16:17], 0
	v_cmp_neq_f64_e64 s1, s[18:19], 0
	v_fma_f64 v[0:1], s[20:21], v[2:3], -v[6:7]
	s_delay_alu instid0(VALU_DEP_4) | instskip(SKIP_3) | instid1(SALU_CYCLE_1)
	v_fma_f64 v[2:3], s[22:23], v[2:3], v[8:9]
	v_mul_lo_u32 v7, v5, s6
	v_mul_lo_u32 v8, v4, s7
	s_or_b32 s0, s0, s1
	s_and_not1_b32 vcc_lo, exec_lo, s0
	s_cbranch_vccz .LBB21_16
; %bb.15:
	v_mad_u64_u32 v[5:6], null, v4, s6, 0
	s_delay_alu instid0(VALU_DEP_1)
	v_add3_u32 v6, v6, v8, v7
	s_cbranch_execz .LBB21_17
	s_branch .LBB21_18
.LBB21_16:
                                        ; implicit-def: $vgpr5_vgpr6
.LBB21_17:
	v_mad_u64_u32 v[5:6], null, v4, s6, 0
	s_delay_alu instid0(VALU_DEP_1) | instskip(NEXT) | instid1(VALU_DEP_1)
	v_add3_u32 v6, v6, v8, v7
	v_lshlrev_b64 v[7:8], 4, v[5:6]
	s_delay_alu instid0(VALU_DEP_1) | instskip(NEXT) | instid1(VALU_DEP_2)
	v_add_co_u32 v7, vcc_lo, s3, v7
	v_add_co_ci_u32_e32 v8, vcc_lo, s4, v8, vcc_lo
	global_load_b128 v[7:10], v[7:8], off
	s_waitcnt vmcnt(0)
	v_mul_f64 v[11:12], s[18:19], v[9:10]
	v_mul_f64 v[9:10], s[16:17], v[9:10]
	s_delay_alu instid0(VALU_DEP_2) | instskip(NEXT) | instid1(VALU_DEP_2)
	v_fma_f64 v[11:12], s[16:17], v[7:8], -v[11:12]
	v_fma_f64 v[7:8], s[18:19], v[7:8], v[9:10]
	s_delay_alu instid0(VALU_DEP_2) | instskip(NEXT) | instid1(VALU_DEP_2)
	v_add_f64 v[0:1], v[0:1], v[11:12]
	v_add_f64 v[2:3], v[2:3], v[7:8]
.LBB21_18:
	s_or_b32 s5, s5, exec_lo
.LBB21_19:
	s_or_b32 exec_lo, exec_lo, s2
.LBB21_20:
	s_and_saveexec_b32 s0, s5
	s_cbranch_execz .LBB21_22
; %bb.21:
	v_lshlrev_b64 v[4:5], 4, v[5:6]
	s_delay_alu instid0(VALU_DEP_1) | instskip(NEXT) | instid1(VALU_DEP_2)
	v_add_co_u32 v4, vcc_lo, s3, v4
	v_add_co_ci_u32_e32 v5, vcc_lo, s4, v5, vcc_lo
	global_store_b128 v[4:5], v[0:3], off
.LBB21_22:
	s_nop 0
	s_sendmsg sendmsg(MSG_DEALLOC_VGPRS)
	s_endpgm
	.section	.rodata,"a",@progbits
	.p2align	6, 0x0
	.amdhsa_kernel _ZL36rocblas_hemvn_kernel_upper_block_sumILi64El19rocblas_complex_numIdEPS1_S1_EviT1_lS3_lT2_lT0_lPT3_i
		.amdhsa_group_segment_fixed_size 0
		.amdhsa_private_segment_fixed_size 0
		.amdhsa_kernarg_size 360
		.amdhsa_user_sgpr_count 14
		.amdhsa_user_sgpr_dispatch_ptr 0
		.amdhsa_user_sgpr_queue_ptr 0
		.amdhsa_user_sgpr_kernarg_segment_ptr 1
		.amdhsa_user_sgpr_dispatch_id 0
		.amdhsa_user_sgpr_private_segment_size 0
		.amdhsa_wavefront_size32 1
		.amdhsa_uses_dynamic_stack 0
		.amdhsa_enable_private_segment 0
		.amdhsa_system_sgpr_workgroup_id_x 1
		.amdhsa_system_sgpr_workgroup_id_y 0
		.amdhsa_system_sgpr_workgroup_id_z 1
		.amdhsa_system_sgpr_workgroup_info 0
		.amdhsa_system_vgpr_workitem_id 0
		.amdhsa_next_free_vgpr 13
		.amdhsa_next_free_sgpr 26
		.amdhsa_reserve_vcc 1
		.amdhsa_float_round_mode_32 0
		.amdhsa_float_round_mode_16_64 0
		.amdhsa_float_denorm_mode_32 3
		.amdhsa_float_denorm_mode_16_64 3
		.amdhsa_dx10_clamp 1
		.amdhsa_ieee_mode 1
		.amdhsa_fp16_overflow 0
		.amdhsa_workgroup_processor_mode 1
		.amdhsa_memory_ordered 1
		.amdhsa_forward_progress 0
		.amdhsa_shared_vgpr_count 0
		.amdhsa_exception_fp_ieee_invalid_op 0
		.amdhsa_exception_fp_denorm_src 0
		.amdhsa_exception_fp_ieee_div_zero 0
		.amdhsa_exception_fp_ieee_overflow 0
		.amdhsa_exception_fp_ieee_underflow 0
		.amdhsa_exception_fp_ieee_inexact 0
		.amdhsa_exception_int_div_zero 0
	.end_amdhsa_kernel
	.section	.text._ZL36rocblas_hemvn_kernel_upper_block_sumILi64El19rocblas_complex_numIdEPS1_S1_EviT1_lS3_lT2_lT0_lPT3_i,"axG",@progbits,_ZL36rocblas_hemvn_kernel_upper_block_sumILi64El19rocblas_complex_numIdEPS1_S1_EviT1_lS3_lT2_lT0_lPT3_i,comdat
.Lfunc_end21:
	.size	_ZL36rocblas_hemvn_kernel_upper_block_sumILi64El19rocblas_complex_numIdEPS1_S1_EviT1_lS3_lT2_lT0_lPT3_i, .Lfunc_end21-_ZL36rocblas_hemvn_kernel_upper_block_sumILi64El19rocblas_complex_numIdEPS1_S1_EviT1_lS3_lT2_lT0_lPT3_i
                                        ; -- End function
	.section	.AMDGPU.csdata,"",@progbits
; Kernel info:
; codeLenInByte = 936
; NumSgprs: 28
; NumVgprs: 13
; ScratchSize: 0
; MemoryBound: 0
; FloatMode: 240
; IeeeMode: 1
; LDSByteSize: 0 bytes/workgroup (compile time only)
; SGPRBlocks: 3
; VGPRBlocks: 1
; NumSGPRsForWavesPerEU: 28
; NumVGPRsForWavesPerEU: 13
; Occupancy: 16
; WaveLimiterHint : 0
; COMPUTE_PGM_RSRC2:SCRATCH_EN: 0
; COMPUTE_PGM_RSRC2:USER_SGPR: 14
; COMPUTE_PGM_RSRC2:TRAP_HANDLER: 0
; COMPUTE_PGM_RSRC2:TGID_X_EN: 1
; COMPUTE_PGM_RSRC2:TGID_Y_EN: 0
; COMPUTE_PGM_RSRC2:TGID_Z_EN: 1
; COMPUTE_PGM_RSRC2:TIDIG_COMP_CNT: 0
	.section	.text._ZL26rocblas_hemvn_kernel_upperILb1ELi64ELi4ELi33ELi32ELi16Ei19rocblas_complex_numIdEPKS1_PS1_EviT6_lT7_lT5_lS6_lS7_lS5_lT8_i,"axG",@progbits,_ZL26rocblas_hemvn_kernel_upperILb1ELi64ELi4ELi33ELi32ELi16Ei19rocblas_complex_numIdEPKS1_PS1_EviT6_lT7_lT5_lS6_lS7_lS5_lT8_i,comdat
	.globl	_ZL26rocblas_hemvn_kernel_upperILb1ELi64ELi4ELi33ELi32ELi16Ei19rocblas_complex_numIdEPKS1_PS1_EviT6_lT7_lT5_lS6_lS7_lS5_lT8_i ; -- Begin function _ZL26rocblas_hemvn_kernel_upperILb1ELi64ELi4ELi33ELi32ELi16Ei19rocblas_complex_numIdEPKS1_PS1_EviT6_lT7_lT5_lS6_lS7_lS5_lT8_i
	.p2align	8
	.type	_ZL26rocblas_hemvn_kernel_upperILb1ELi64ELi4ELi33ELi32ELi16Ei19rocblas_complex_numIdEPKS1_PS1_EviT6_lT7_lT5_lS6_lS7_lS5_lT8_i,@function
_ZL26rocblas_hemvn_kernel_upperILb1ELi64ELi4ELi33ELi32ELi16Ei19rocblas_complex_numIdEPKS1_PS1_EviT6_lT7_lT5_lS6_lS7_lS5_lT8_i: ; @_ZL26rocblas_hemvn_kernel_upperILb1ELi64ELi4ELi33ELi32ELi16Ei19rocblas_complex_numIdEPKS1_PS1_EviT6_lT7_lT5_lS6_lS7_lS5_lT8_i
; %bb.0:
	s_load_b64 s[4:5], s[0:1], 0x94
	s_add_u32 s2, s0, 0x88
	s_addc_u32 s3, s1, 0
	s_waitcnt lgkmcnt(0)
	s_lshr_b32 s6, s4, 16
	s_and_b32 s4, s4, 0xffff
	s_and_b32 s5, s5, 0xffff
	s_mul_i32 s4, s6, s4
	s_delay_alu instid0(SALU_CYCLE_1) | instskip(NEXT) | instid1(SALU_CYCLE_1)
	s_mul_i32 s4, s4, s5
	s_cmpk_lg_i32 s4, 0x100
	s_cbranch_scc1 .LBB22_186
; %bb.1:
	s_load_b128 s[4:7], s[0:1], 0x8
	s_waitcnt lgkmcnt(0)
	v_cmp_neq_f64_e64 s12, s[4:5], 0
	v_cmp_neq_f64_e64 s6, s[6:7], 0
	s_clause 0x1
	s_load_b128 s[8:11], s[0:1], 0x58
	s_load_b64 s[4:5], s[0:1], 0x68
	s_mov_b32 s7, -1
	s_delay_alu instid0(VALU_DEP_1) | instskip(NEXT) | instid1(SALU_CYCLE_1)
	s_or_b32 s6, s12, s6
	s_and_b32 vcc_lo, exec_lo, s6
	s_cbranch_vccnz .LBB22_3
; %bb.2:
	s_waitcnt lgkmcnt(0)
	v_cmp_neq_f64_e64 s7, s[10:11], 1.0
	v_cmp_neq_f64_e64 s4, s[4:5], 0
	s_delay_alu instid0(VALU_DEP_1)
	s_or_b32 s7, s7, s4
.LBB22_3:
	s_delay_alu instid0(SALU_CYCLE_1)
	s_and_not1_b32 vcc_lo, exec_lo, s7
	s_cbranch_vccnz .LBB22_186
; %bb.4:
	s_and_not1_b32 vcc_lo, exec_lo, s6
	s_cbranch_vccnz .LBB22_186
; %bb.5:
	s_waitcnt lgkmcnt(0)
	s_clause 0x2
	s_load_b128 s[4:7], s[0:1], 0x38
	s_load_b64 s[10:11], s[0:1], 0x48
	s_load_b32 s30, s[0:1], 0x50
	s_mul_i32 s9, s15, s9
	s_mul_hi_u32 s12, s15, s8
	s_mul_i32 s8, s15, s8
	s_add_i32 s9, s12, s9
	v_and_b32_e32 v170, 0x3ff, v0
	s_lshl_b64 s[12:13], s[8:9], 4
	s_load_b32 s9, s[0:1], 0x0
	s_load_b32 s26, s[2:3], 0x0
	v_bfe_u32 v0, v0, 10, 10
	scratch_store_b32 off, v0, off offset:8 ; 4-byte Folded Spill
	s_waitcnt lgkmcnt(0)
	s_add_u32 s8, s6, s12
	s_addc_u32 s12, s7, s13
	s_lshl_b64 s[6:7], s[10:11], 4
	s_delay_alu instid0(SALU_CYCLE_1) | instskip(SKIP_2) | instid1(SALU_CYCLE_1)
	s_add_u32 s6, s8, s6
	s_addc_u32 s7, s12, s7
	s_lshl_b32 s12, s14, 6
	v_add_nc_u32_e32 v2, s12, v170
	s_ashr_i32 s24, s9, 31
	s_add_i32 s3, s26, -1
	s_lshr_b32 s2, s24, 26
	s_delay_alu instid0(VALU_DEP_1) | instskip(SKIP_1) | instid1(SALU_CYCLE_1)
	v_mov_b32_e32 v1, v2
	s_add_i32 s2, s9, s2
	s_and_not1_b32 s2, s2, 63
	scratch_store_b64 off, v[1:2], off offset:12 ; 8-byte Folded Spill
	v_mul_lo_u32 v1, v2, s30
	s_sub_i32 s27, s9, s2
	v_cmp_eq_u32_e64 s2, 0, v0
	s_cmp_eq_u32 s14, s3
	s_cselect_b32 s10, s27, 0
	s_delay_alu instid0(VALU_DEP_2) | instskip(NEXT) | instid1(VALU_DEP_1)
	v_ashrrev_i32_e32 v2, 31, v1
	v_lshlrev_b64 v[1:2], 4, v[1:2]
	s_delay_alu instid0(VALU_DEP_1) | instskip(NEXT) | instid1(VALU_DEP_2)
	v_add_co_u32 v36, vcc_lo, s6, v1
	v_add_co_ci_u32_e32 v37, vcc_lo, s7, v2, vcc_lo
	s_mov_b32 s6, -1
	s_and_saveexec_b32 s3, s2
	s_cbranch_execz .LBB22_10
; %bb.6:
	v_cmp_le_i32_e32 vcc_lo, s10, v170
	s_cmp_lg_u32 s10, 0
	v_lshl_add_u32 v0, v170, 4, 0x4700
	s_cselect_b32 s7, -1, 0
	s_delay_alu instid0(SALU_CYCLE_1) | instskip(NEXT) | instid1(SALU_CYCLE_1)
	s_and_b32 s7, s7, vcc_lo
	s_and_saveexec_b32 s8, s7
	s_delay_alu instid0(SALU_CYCLE_1)
	s_xor_b32 s7, exec_lo, s8
	s_cbranch_execz .LBB22_8
; %bb.7:
	v_mov_b32_e32 v1, 0
	s_delay_alu instid0(VALU_DEP_1)
	v_mov_b32_e32 v2, v1
	v_mov_b32_e32 v3, v1
	;; [unrolled: 1-line block ×3, first 2 shown]
	ds_store_b128 v0, v[1:4]
                                        ; implicit-def: $vgpr0
.LBB22_8:
	s_and_not1_saveexec_b32 s7, s7
	s_cbranch_execz .LBB22_10
; %bb.9:
	global_load_b128 v[1:4], v[36:37], off
	s_waitcnt vmcnt(0)
	ds_store_2addr_b64 v0, v[1:2], v[3:4] offset1:1
.LBB22_10:
	s_or_b32 exec_lo, exec_lo, s3
	s_clause 0x1
	s_load_b128 s[20:23], s[0:1], 0x20
	s_load_b32 s16, s[0:1], 0x30
	scratch_load_b32 v0, off, off offset:8  ; 4-byte Folded Reload
	v_and_b32_e32 v4, 31, v170
	s_mul_i32 s3, s15, s5
	s_mul_hi_u32 s5, s15, s4
	s_mul_i32 s4, s15, s4
	s_add_i32 s5, s5, s3
	v_lshlrev_b32_e32 v13, 4, v4
	s_lshl_b64 s[4:5], s[4:5], 4
	s_waitcnt lgkmcnt(0)
	s_add_u32 s3, s20, s4
	s_addc_u32 s7, s21, s5
	s_lshl_b64 s[4:5], s[22:23], 4
	s_mul_i32 s18, s12, s16
	s_add_u32 s3, s3, s4
	s_addc_u32 s7, s7, s5
	s_ashr_i32 s13, s12, 31
	s_delay_alu instid0(SALU_CYCLE_1) | instskip(NEXT) | instid1(SALU_CYCLE_1)
	s_lshl_b64 s[4:5], s[12:13], 4
	s_add_u32 s8, s3, s4
	s_addc_u32 s7, s7, s5
	s_ashr_i32 s19, s18, 31
	v_cmp_gt_i32_e64 s3, s10, v4
	s_lshl_b64 s[4:5], s[18:19], 4
	s_delay_alu instid0(SALU_CYCLE_1)
	s_add_u32 s4, s4, s8
	s_addc_u32 s5, s5, s7
	s_cmp_eq_u32 s10, 0
	s_cselect_b32 s28, -1, 0
	s_cmp_lg_u32 s10, 0
	s_cselect_b32 s13, -1, 0
	s_waitcnt vmcnt(0)
	v_lshl_add_u32 v42, v0, 6, v170
	s_delay_alu instid0(VALU_DEP_1) | instskip(NEXT) | instid1(VALU_DEP_1)
	v_lshrrev_b32_e32 v11, 5, v42
	v_mad_u64_u32 v[0:1], null, v11, s16, v[4:5]
	v_mul_u32_u24_e32 v12, 33, v11
	s_delay_alu instid0(VALU_DEP_2) | instskip(NEXT) | instid1(VALU_DEP_1)
	v_ashrrev_i32_e32 v1, 31, v0
	v_lshlrev_b64 v[38:39], 4, v[0:1]
	s_delay_alu instid0(VALU_DEP_1) | instskip(NEXT) | instid1(VALU_DEP_2)
	v_add_co_u32 v0, vcc_lo, s4, v38
	v_add_co_ci_u32_e32 v1, vcc_lo, s5, v39, vcc_lo
	s_and_b32 vcc_lo, exec_lo, s13
	s_cbranch_vccz .LBB22_28
; %bb.11:
	s_delay_alu instid0(VALU_DEP_2)
	v_sub_co_u32 v2, vcc_lo, v0, v13
	s_ashr_i32 s11, s10, 31
	v_subrev_co_ci_u32_e32 v3, vcc_lo, 0, v1, vcc_lo
	s_lshl_b64 s[4:5], s[10:11], 4
	v_add_lshl_u32 v5, v12, v4, 4
	v_add_co_u32 v2, vcc_lo, v2, s4
	s_delay_alu instid0(VALU_DEP_3) | instskip(SKIP_1) | instid1(VALU_DEP_2)
	v_add_co_ci_u32_e32 v3, vcc_lo, s5, v3, vcc_lo
	s_mov_b32 s6, exec_lo
	v_add_co_u32 v2, vcc_lo, v2, -16
	s_delay_alu instid0(VALU_DEP_2) | instskip(NEXT) | instid1(VALU_DEP_2)
	v_add_co_ci_u32_e32 v3, vcc_lo, -1, v3, vcc_lo
	v_cndmask_b32_e64 v2, v2, v0, s3
	s_delay_alu instid0(VALU_DEP_2)
	v_cndmask_b32_e64 v3, v3, v1, s3
	v_cmpx_le_i32_e64 s10, v11
	s_xor_b32 s6, exec_lo, s6
	s_cbranch_execz .LBB22_13
; %bb.12:
	v_mov_b32_e32 v6, 0
	s_delay_alu instid0(VALU_DEP_1)
	v_mov_b32_e32 v7, v6
	v_mov_b32_e32 v8, v6
	;; [unrolled: 1-line block ×3, first 2 shown]
	ds_store_b128 v5, v[6:9]
.LBB22_13:
	s_and_not1_saveexec_b32 s6, s6
	s_cbranch_execz .LBB22_15
; %bb.14:
	global_load_b128 v[6:9], v[2:3], off
	s_waitcnt vmcnt(0)
	ds_store_2addr_b64 v5, v[6:7], v[8:9] offset1:1
.LBB22_15:
	s_or_b32 exec_lo, exec_lo, s6
	v_add_nc_u32_e32 v6, 8, v11
	s_mov_b32 s6, exec_lo
	s_delay_alu instid0(VALU_DEP_1)
	v_cmpx_le_i32_e64 s10, v6
	s_xor_b32 s6, exec_lo, s6
	s_cbranch_execz .LBB22_17
; %bb.16:
	v_mul_u32_u24_e32 v7, 33, v6
	v_mov_b32_e32 v6, 0
	s_delay_alu instid0(VALU_DEP_2) | instskip(NEXT) | instid1(VALU_DEP_2)
	v_add_lshl_u32 v10, v7, v4, 4
	v_mov_b32_e32 v7, v6
	v_mov_b32_e32 v8, v6
	;; [unrolled: 1-line block ×3, first 2 shown]
	ds_store_b128 v10, v[6:9]
.LBB22_17:
	s_and_not1_saveexec_b32 s6, s6
	s_cbranch_execz .LBB22_19
; %bb.18:
	s_lshl_b32 s18, s16, 3
	v_add_nc_u32_e32 v10, 0x1080, v5
	s_ashr_i32 s19, s18, 31
	s_delay_alu instid0(SALU_CYCLE_1) | instskip(NEXT) | instid1(SALU_CYCLE_1)
	s_lshl_b64 s[18:19], s[18:19], 4
	v_add_co_u32 v6, vcc_lo, v2, s18
	v_add_co_ci_u32_e32 v7, vcc_lo, s19, v3, vcc_lo
	global_load_b128 v[6:9], v[6:7], off
	s_waitcnt vmcnt(0)
	ds_store_2addr_b64 v10, v[6:7], v[8:9] offset1:1
.LBB22_19:
	s_or_b32 exec_lo, exec_lo, s6
	v_add_nc_u32_e32 v6, 16, v11
	s_mov_b32 s6, exec_lo
	s_delay_alu instid0(VALU_DEP_1)
	v_cmpx_le_i32_e64 s10, v6
	s_xor_b32 s6, exec_lo, s6
	s_cbranch_execz .LBB22_21
; %bb.20:
	v_mul_u32_u24_e32 v7, 33, v6
	v_mov_b32_e32 v6, 0
	s_delay_alu instid0(VALU_DEP_2) | instskip(NEXT) | instid1(VALU_DEP_2)
	v_add_lshl_u32 v10, v7, v4, 4
	v_mov_b32_e32 v7, v6
	v_mov_b32_e32 v8, v6
	;; [unrolled: 1-line block ×3, first 2 shown]
	ds_store_b128 v10, v[6:9]
.LBB22_21:
	s_and_not1_saveexec_b32 s6, s6
	s_cbranch_execz .LBB22_23
; %bb.22:
	s_lshl_b32 s18, s16, 4
	v_add_nc_u32_e32 v10, 0x2100, v5
	s_ashr_i32 s19, s18, 31
	s_delay_alu instid0(SALU_CYCLE_1) | instskip(NEXT) | instid1(SALU_CYCLE_1)
	s_lshl_b64 s[18:19], s[18:19], 4
	v_add_co_u32 v6, vcc_lo, v2, s18
	v_add_co_ci_u32_e32 v7, vcc_lo, s19, v3, vcc_lo
	global_load_b128 v[6:9], v[6:7], off
	s_waitcnt vmcnt(0)
	ds_store_2addr_b64 v10, v[6:7], v[8:9] offset1:1
.LBB22_23:
	s_or_b32 exec_lo, exec_lo, s6
	v_add_nc_u32_e32 v6, 24, v11
	s_mov_b32 s6, exec_lo
	s_delay_alu instid0(VALU_DEP_1)
	v_cmpx_le_i32_e64 s10, v6
	s_xor_b32 s6, exec_lo, s6
	s_cbranch_execz .LBB22_25
; %bb.24:
	v_mov_b32_e32 v6, 0
	s_delay_alu instid0(VALU_DEP_1)
	v_mov_b32_e32 v7, v6
	v_mov_b32_e32 v8, v6
	;; [unrolled: 1-line block ×3, first 2 shown]
	ds_store_b128 v5, v[6:9] offset:12672
                                        ; implicit-def: $vgpr5
.LBB22_25:
	s_and_not1_saveexec_b32 s6, s6
	s_cbranch_execz .LBB22_27
; %bb.26:
	s_mul_i32 s18, s16, 24
	v_add_nc_u32_e32 v5, 0x3180, v5
	s_ashr_i32 s19, s18, 31
	s_delay_alu instid0(SALU_CYCLE_1) | instskip(NEXT) | instid1(SALU_CYCLE_1)
	s_lshl_b64 s[18:19], s[18:19], 4
	v_add_co_u32 v6, vcc_lo, v2, s18
	v_add_co_ci_u32_e32 v7, vcc_lo, s19, v3, vcc_lo
	global_load_b128 v[6:9], v[6:7], off
	s_waitcnt vmcnt(0)
	ds_store_2addr_b64 v5, v[6:7], v[8:9] offset1:1
.LBB22_27:
	s_or_b32 exec_lo, exec_lo, s6
	v_add_co_u32 v2, vcc_lo, v2, v13
	v_add_co_ci_u32_e32 v3, vcc_lo, 0, v3, vcc_lo
	s_delay_alu instid0(VALU_DEP_2) | instskip(NEXT) | instid1(VALU_DEP_2)
	v_sub_co_u32 v2, vcc_lo, v2, s4
	v_subrev_co_ci_u32_e32 v3, vcc_lo, s5, v3, vcc_lo
	s_delay_alu instid0(VALU_DEP_2) | instskip(NEXT) | instid1(VALU_DEP_2)
	v_add_co_u32 v2, vcc_lo, v2, 16
	v_add_co_ci_u32_e32 v3, vcc_lo, 0, v3, vcc_lo
	s_delay_alu instid0(VALU_DEP_2) | instskip(NEXT) | instid1(VALU_DEP_2)
	v_cndmask_b32_e64 v5, v2, v0, s3
	v_cndmask_b32_e64 v6, v3, v1, s3
	s_branch .LBB22_30
.LBB22_28:
                                        ; implicit-def: $vgpr5_vgpr6
	s_and_b32 vcc_lo, exec_lo, s6
	s_cbranch_vccz .LBB22_30
; %bb.29:
	s_lshl_b32 s4, s16, 3
	s_ashr_i32 s17, s16, 31
	s_ashr_i32 s5, s4, 31
	s_delay_alu instid0(SALU_CYCLE_1) | instskip(NEXT) | instid1(SALU_CYCLE_1)
	s_lshl_b64 s[4:5], s[4:5], 4
	v_add_co_u32 v2, vcc_lo, v0, s4
	v_add_co_ci_u32_e32 v3, vcc_lo, s5, v1, vcc_lo
	s_lshl_b64 s[4:5], s[16:17], 7
	s_delay_alu instid0(VALU_DEP_2) | instid1(SALU_CYCLE_1)
	v_add_co_u32 v5, vcc_lo, v2, s4
	s_delay_alu instid0(VALU_DEP_2) | instskip(NEXT) | instid1(VALU_DEP_2)
	v_add_co_ci_u32_e32 v6, vcc_lo, s5, v3, vcc_lo
	v_add_co_u32 v22, vcc_lo, v5, s4
	s_delay_alu instid0(VALU_DEP_2)
	v_add_co_ci_u32_e32 v23, vcc_lo, s5, v6, vcc_lo
	s_clause 0x1
	global_load_b128 v[7:10], v[0:1], off
	global_load_b128 v[14:17], v[2:3], off
	;; [unrolled: 1-line block ×4, first 2 shown]
	v_add_lshl_u32 v2, v12, v4, 4
	v_dual_mov_b32 v6, v1 :: v_dual_mov_b32 v5, v0
	s_delay_alu instid0(VALU_DEP_2)
	v_add_nc_u32_e32 v3, 0x1080, v2
	v_add_nc_u32_e32 v26, 0x2100, v2
	;; [unrolled: 1-line block ×3, first 2 shown]
	s_waitcnt vmcnt(3)
	ds_store_2addr_b64 v2, v[7:8], v[9:10] offset1:1
	s_waitcnt vmcnt(2)
	ds_store_2addr_b64 v3, v[14:15], v[16:17] offset1:1
	;; [unrolled: 2-line block ×4, first 2 shown]
.LBB22_30:
	v_lshlrev_b32_e32 v16, 2, v11
	s_waitcnt lgkmcnt(0)
	s_waitcnt_vscnt null, 0x0
	s_barrier
	buffer_gl0_inv
	v_cmp_le_u32_e64 s4, v16, v4
	s_delay_alu instid0(VALU_DEP_1) | instskip(NEXT) | instid1(SALU_CYCLE_1)
	s_and_saveexec_b32 s3, s4
	s_xor_b32 s3, exec_lo, s3
	s_cbranch_execz .LBB22_34
; %bb.31:
	s_mov_b32 s5, exec_lo
	v_cmpx_eq_u32_e64 v16, v4
	s_cbranch_execz .LBB22_33
; %bb.32:
	v_mul_u32_u24_e32 v1, 34, v4
	v_mov_b32_e32 v0, 0
	s_delay_alu instid0(VALU_DEP_1)
	v_dual_mov_b32 v1, v0 :: v_dual_lshlrev_b32 v2, 4, v1
	ds_store_b64 v2, v[0:1] offset:8
.LBB22_33:
	s_or_b32 exec_lo, exec_lo, s5
.LBB22_34:
	s_or_saveexec_b32 s3, s3
	v_mul_u32_u24_e32 v14, 33, v4
	v_mul_u32_u24_e32 v1, 0x84, v11
	s_delay_alu instid0(VALU_DEP_2)
	v_add_lshl_u32 v9, v16, v14, 4
	s_xor_b32 exec_lo, exec_lo, s3
	s_cbranch_execz .LBB22_36
; %bb.35:
	s_delay_alu instid0(VALU_DEP_2)
	v_add_lshl_u32 v0, v1, v4, 4
	ds_load_b128 v[17:20], v0
	s_waitcnt lgkmcnt(0)
	v_xor_b32_e32 v20, 0x80000000, v20
	ds_store_b128 v9, v[17:20]
.LBB22_36:
	s_or_b32 exec_lo, exec_lo, s3
	v_or_b32_e32 v10, 1, v16
	v_cmp_ge_u32_e64 s5, v16, v4
	s_delay_alu instid0(VALU_DEP_2) | instskip(NEXT) | instid1(VALU_DEP_2)
	v_mul_u32_u24_e32 v0, 33, v10
	s_and_saveexec_b32 s3, s5
	s_delay_alu instid0(SALU_CYCLE_1)
	s_xor_b32 s3, exec_lo, s3
	s_cbranch_execz .LBB22_38
; %bb.37:
	s_delay_alu instid0(VALU_DEP_1)
	v_add_lshl_u32 v2, v0, v4, 4
	ds_load_b128 v[17:20], v2
	s_waitcnt lgkmcnt(0)
	v_xor_b32_e32 v20, 0x80000000, v20
	ds_store_b128 v9, v[17:20] offset:16
.LBB22_38:
	s_and_not1_saveexec_b32 s3, s3
	s_cbranch_execz .LBB22_42
; %bb.39:
	s_mov_b32 s6, exec_lo
	v_cmpx_eq_u32_e64 v10, v4
	s_cbranch_execz .LBB22_41
; %bb.40:
	v_mul_u32_u24_e32 v3, 34, v4
	s_delay_alu instid0(VALU_DEP_1) | instskip(NEXT) | instid1(VALU_DEP_1)
	v_dual_mov_b32 v2, 0 :: v_dual_lshlrev_b32 v7, 4, v3
	v_mov_b32_e32 v3, v2
	ds_store_b64 v7, v[2:3] offset:8
.LBB22_41:
	s_or_b32 exec_lo, exec_lo, s6
.LBB22_42:
	s_delay_alu instid0(SALU_CYCLE_1) | instskip(SKIP_1) | instid1(VALU_DEP_1)
	s_or_b32 exec_lo, exec_lo, s3
	v_or_b32_e32 v17, 2, v16
	v_cmp_le_u32_e64 s6, v17, v4
	s_delay_alu instid0(VALU_DEP_1) | instskip(NEXT) | instid1(SALU_CYCLE_1)
	s_and_saveexec_b32 s3, s6
	s_xor_b32 s3, exec_lo, s3
	s_cbranch_execz .LBB22_46
; %bb.43:
	s_mov_b32 s7, exec_lo
	v_cmpx_eq_u32_e64 v17, v4
	s_cbranch_execz .LBB22_45
; %bb.44:
	v_mul_u32_u24_e32 v3, 34, v4
	s_delay_alu instid0(VALU_DEP_1) | instskip(NEXT) | instid1(VALU_DEP_1)
	v_dual_mov_b32 v2, 0 :: v_dual_lshlrev_b32 v7, 4, v3
	v_mov_b32_e32 v3, v2
	ds_store_b64 v7, v[2:3] offset:8
.LBB22_45:
	s_or_b32 exec_lo, exec_lo, s7
.LBB22_46:
	s_and_not1_saveexec_b32 s3, s3
	s_cbranch_execz .LBB22_48
; %bb.47:
	v_mul_u32_u24_e32 v2, 33, v17
	s_delay_alu instid0(VALU_DEP_1)
	v_add_lshl_u32 v2, v2, v4, 4
	ds_load_b128 v[18:21], v2
	s_waitcnt lgkmcnt(0)
	v_xor_b32_e32 v21, 0x80000000, v21
	ds_store_b128 v9, v[18:21] offset:32
.LBB22_48:
	s_or_b32 exec_lo, exec_lo, s3
	v_or_b32_e32 v18, 3, v16
	s_delay_alu instid0(VALU_DEP_1) | instskip(NEXT) | instid1(VALU_DEP_1)
	v_cmp_le_u32_e64 s7, v18, v4
	s_and_saveexec_b32 s3, s7
	s_delay_alu instid0(SALU_CYCLE_1)
	s_xor_b32 s3, exec_lo, s3
	s_cbranch_execz .LBB22_52
; %bb.49:
	s_mov_b32 s8, exec_lo
	v_cmpx_eq_u32_e64 v18, v4
	s_cbranch_execz .LBB22_51
; %bb.50:
	v_mul_u32_u24_e32 v3, 34, v4
	s_delay_alu instid0(VALU_DEP_1) | instskip(NEXT) | instid1(VALU_DEP_1)
	v_dual_mov_b32 v2, 0 :: v_dual_lshlrev_b32 v7, 4, v3
	v_mov_b32_e32 v3, v2
	ds_store_b64 v7, v[2:3] offset:8
.LBB22_51:
	s_or_b32 exec_lo, exec_lo, s8
.LBB22_52:
	s_and_not1_saveexec_b32 s3, s3
	s_cbranch_execz .LBB22_54
; %bb.53:
	v_mul_u32_u24_e32 v2, 33, v18
	s_delay_alu instid0(VALU_DEP_1)
	v_add_lshl_u32 v2, v2, v4, 4
	ds_load_b128 v[19:22], v2
	s_waitcnt lgkmcnt(0)
	v_xor_b32_e32 v22, 0x80000000, v22
	ds_store_b128 v9, v[19:22] offset:48
.LBB22_54:
	s_or_b32 exec_lo, exec_lo, s3
	v_add_lshl_u32 v15, v1, v4, 4
	v_lshlrev_b32_e32 v19, 4, v16
	s_waitcnt lgkmcnt(0)
	s_barrier
	buffer_gl0_inv
	ds_load_b128 v[20:23], v15
	ds_load_b128 v[24:27], v19 offset:18176
	v_add_lshl_u32 v45, v0, v4, 4
	ds_load_b128 v[0:3], v19 offset:18192
	ds_load_b128 v[28:31], v45
	v_cmp_gt_u32_e64 s3, 32, v42
	s_waitcnt lgkmcnt(2)
	v_mul_f64 v[7:8], v[26:27], v[22:23]
	v_mul_f64 v[22:23], v[24:25], v[22:23]
	s_waitcnt lgkmcnt(0)
	v_mul_f64 v[34:35], v[2:3], v[30:31]
	v_mul_f64 v[40:41], v[0:1], v[30:31]
	s_delay_alu instid0(VALU_DEP_4) | instskip(NEXT) | instid1(VALU_DEP_4)
	v_fma_f64 v[7:8], v[24:25], v[20:21], -v[7:8]
	v_fma_f64 v[43:44], v[26:27], v[20:21], v[22:23]
	ds_load_b128 v[20:23], v45 offset:528
	ds_load_b128 v[24:27], v19 offset:18208
	;; [unrolled: 1-line block ×4, first 2 shown]
	s_waitcnt lgkmcnt(0)
	s_barrier
	v_fma_f64 v[0:1], v[0:1], v[28:29], -v[34:35]
	v_fma_f64 v[2:3], v[2:3], v[28:29], v[40:41]
	buffer_gl0_inv
	v_mul_f64 v[50:51], v[26:27], v[22:23]
	v_mul_f64 v[22:23], v[24:25], v[22:23]
	;; [unrolled: 1-line block ×4, first 2 shown]
	v_add_f64 v[7:8], v[7:8], 0
	v_add_f64 v[28:29], v[43:44], 0
	v_add_lshl_u32 v44, v11, v14, 4
	v_fma_f64 v[24:25], v[24:25], v[20:21], -v[50:51]
	v_fma_f64 v[20:21], v[26:27], v[20:21], v[22:23]
	v_fma_f64 v[22:23], v[32:33], v[46:47], v[40:41]
	v_add_f64 v[0:1], v[7:8], v[0:1]
	v_add_f64 v[2:3], v[28:29], v[2:3]
	v_fma_f64 v[7:8], v[30:31], v[46:47], -v[34:35]
	s_delay_alu instid0(VALU_DEP_3) | instskip(NEXT) | instid1(VALU_DEP_3)
	v_add_f64 v[0:1], v[0:1], v[24:25]
	v_add_f64 v[2:3], v[2:3], v[20:21]
	s_delay_alu instid0(VALU_DEP_2) | instskip(SKIP_1) | instid1(VALU_DEP_3)
	v_add_f64 v[20:21], v[0:1], v[7:8]
	v_mov_b32_e32 v0, 0
	v_add_f64 v[22:23], v[2:3], v[22:23]
	v_mov_b32_e32 v1, 0
	v_lshlrev_b32_e32 v43, 4, v14
	s_delay_alu instid0(VALU_DEP_2)
	v_dual_mov_b32 v3, v1 :: v_dual_mov_b32 v2, v0
	ds_store_b128 v44, v[20:23]
	s_waitcnt lgkmcnt(0)
	s_barrier
	buffer_gl0_inv
	s_and_saveexec_b32 s8, s3
	s_cbranch_execz .LBB22_56
; %bb.55:
	ds_load_b128 v[0:3], v43
	ds_load_b128 v[20:23], v43 offset:16
	s_waitcnt lgkmcnt(0)
	v_add_f64 v[7:8], v[20:21], v[0:1]
	v_add_f64 v[24:25], v[22:23], v[2:3]
	ds_load_b128 v[0:3], v43 offset:32
	ds_load_b128 v[20:23], v43 offset:48
	s_waitcnt lgkmcnt(1)
	v_add_f64 v[0:1], v[7:8], v[0:1]
	v_add_f64 v[2:3], v[24:25], v[2:3]
	s_waitcnt lgkmcnt(0)
	s_delay_alu instid0(VALU_DEP_2) | instskip(NEXT) | instid1(VALU_DEP_2)
	v_add_f64 v[7:8], v[0:1], v[20:21]
	v_add_f64 v[24:25], v[2:3], v[22:23]
	ds_load_b128 v[0:3], v43 offset:64
	ds_load_b128 v[20:23], v43 offset:80
	s_waitcnt lgkmcnt(1)
	v_add_f64 v[0:1], v[7:8], v[0:1]
	v_add_f64 v[2:3], v[24:25], v[2:3]
	s_waitcnt lgkmcnt(0)
	s_delay_alu instid0(VALU_DEP_2) | instskip(NEXT) | instid1(VALU_DEP_2)
	v_add_f64 v[7:8], v[0:1], v[20:21]
	v_add_f64 v[24:25], v[2:3], v[22:23]
	ds_load_b128 v[0:3], v43 offset:96
	ds_load_b128 v[20:23], v43 offset:112
	s_waitcnt lgkmcnt(1)
	v_add_f64 v[0:1], v[7:8], v[0:1]
	v_add_f64 v[2:3], v[24:25], v[2:3]
	s_waitcnt lgkmcnt(0)
	s_delay_alu instid0(VALU_DEP_2) | instskip(NEXT) | instid1(VALU_DEP_2)
	v_add_f64 v[0:1], v[0:1], v[20:21]
	v_add_f64 v[2:3], v[2:3], v[22:23]
.LBB22_56:
	s_or_b32 exec_lo, exec_lo, s8
	s_lshl_b32 s20, s16, 5
	s_delay_alu instid0(SALU_CYCLE_1)
	s_ashr_i32 s21, s20, 31
	s_barrier
	s_lshl_b64 s[18:19], s[20:21], 4
	buffer_gl0_inv
	v_add_co_u32 v20, vcc_lo, v5, s18
	v_add_co_ci_u32_e32 v21, vcc_lo, s19, v6, vcc_lo
	s_delay_alu instid0(VALU_DEP_2) | instskip(NEXT) | instid1(VALU_DEP_2)
	v_add_co_u32 v7, vcc_lo, 0x200, v20
	v_add_co_ci_u32_e32 v8, vcc_lo, 0, v21, vcc_lo
	s_and_b32 vcc_lo, exec_lo, s13
	s_cbranch_vccz .LBB22_74
; %bb.57:
	s_delay_alu instid0(VALU_DEP_2)
	v_sub_co_u32 v5, vcc_lo, v7, v13
	s_ashr_i32 s11, s10, 31
	v_subrev_co_ci_u32_e32 v6, vcc_lo, 0, v8, vcc_lo
	s_lshl_b64 s[22:23], s[10:11], 4
	v_or_b32_e32 v22, 32, v4
	v_add_co_u32 v5, vcc_lo, v5, s22
	s_delay_alu instid0(VALU_DEP_3) | instskip(SKIP_1) | instid1(VALU_DEP_2)
	v_add_co_ci_u32_e32 v6, vcc_lo, s23, v6, vcc_lo
	s_sub_i32 s11, s10, 32
	v_add_co_u32 v5, vcc_lo, 0xfffffdf0, v5
	s_delay_alu instid0(VALU_DEP_2) | instskip(SKIP_3) | instid1(VALU_DEP_4)
	v_add_co_ci_u32_e32 v6, vcc_lo, -1, v6, vcc_lo
	v_cmp_gt_i32_e32 vcc_lo, s10, v22
	v_cmp_le_i32_e64 s8, s11, v11
	v_add_lshl_u32 v22, v12, v4, 4
	v_dual_cndmask_b32 v6, v6, v8 :: v_dual_cndmask_b32 v5, v5, v7
	s_delay_alu instid0(VALU_DEP_3) | instskip(NEXT) | instid1(SALU_CYCLE_1)
	s_and_saveexec_b32 s17, s8
	s_xor_b32 s8, exec_lo, s17
	s_cbranch_execz .LBB22_59
; %bb.58:
	v_mov_b32_e32 v23, 0
	s_delay_alu instid0(VALU_DEP_1)
	v_mov_b32_e32 v24, v23
	v_mov_b32_e32 v25, v23
	;; [unrolled: 1-line block ×3, first 2 shown]
	ds_store_b128 v22, v[23:26]
.LBB22_59:
	s_and_not1_saveexec_b32 s8, s8
	s_cbranch_execz .LBB22_61
; %bb.60:
	global_load_b128 v[23:26], v[5:6], off
	s_waitcnt vmcnt(0)
	ds_store_2addr_b64 v22, v[23:24], v[25:26] offset1:1
.LBB22_61:
	s_or_b32 exec_lo, exec_lo, s8
	v_add_nc_u32_e32 v23, 8, v11
	s_delay_alu instid0(VALU_DEP_1) | instskip(NEXT) | instid1(VALU_DEP_1)
	v_cmp_le_i32_e64 s8, s11, v23
	s_and_saveexec_b32 s17, s8
	s_delay_alu instid0(SALU_CYCLE_1)
	s_xor_b32 s8, exec_lo, s17
	s_cbranch_execz .LBB22_63
; %bb.62:
	v_mul_u32_u24_e32 v24, 33, v23
	v_mov_b32_e32 v23, 0
	s_delay_alu instid0(VALU_DEP_2) | instskip(NEXT) | instid1(VALU_DEP_2)
	v_add_lshl_u32 v27, v24, v4, 4
	v_mov_b32_e32 v24, v23
	v_mov_b32_e32 v25, v23
	v_mov_b32_e32 v26, v23
	ds_store_b128 v27, v[23:26]
.LBB22_63:
	s_and_not1_saveexec_b32 s17, s8
	s_cbranch_execz .LBB22_65
; %bb.64:
	s_lshl_b32 s34, s16, 3
	v_add_nc_u32_e32 v27, 0x1080, v22
	s_ashr_i32 s35, s34, 31
	s_delay_alu instid0(SALU_CYCLE_1) | instskip(NEXT) | instid1(SALU_CYCLE_1)
	s_lshl_b64 s[34:35], s[34:35], 4
	v_add_co_u32 v23, s8, v5, s34
	s_delay_alu instid0(VALU_DEP_1)
	v_add_co_ci_u32_e64 v24, s8, s35, v6, s8
	global_load_b128 v[23:26], v[23:24], off
	s_waitcnt vmcnt(0)
	ds_store_2addr_b64 v27, v[23:24], v[25:26] offset1:1
.LBB22_65:
	s_or_b32 exec_lo, exec_lo, s17
	v_add_nc_u32_e32 v23, 16, v11
	s_delay_alu instid0(VALU_DEP_1) | instskip(NEXT) | instid1(VALU_DEP_1)
	v_cmp_le_i32_e64 s8, s11, v23
	s_and_saveexec_b32 s17, s8
	s_delay_alu instid0(SALU_CYCLE_1)
	s_xor_b32 s8, exec_lo, s17
	s_cbranch_execz .LBB22_67
; %bb.66:
	v_mul_u32_u24_e32 v24, 33, v23
	v_mov_b32_e32 v23, 0
	s_delay_alu instid0(VALU_DEP_2) | instskip(NEXT) | instid1(VALU_DEP_2)
	v_add_lshl_u32 v27, v24, v4, 4
	v_mov_b32_e32 v24, v23
	v_mov_b32_e32 v25, v23
	;; [unrolled: 1-line block ×3, first 2 shown]
	ds_store_b128 v27, v[23:26]
.LBB22_67:
	s_and_not1_saveexec_b32 s17, s8
	s_cbranch_execz .LBB22_69
; %bb.68:
	s_lshl_b32 s34, s16, 4
	v_add_nc_u32_e32 v27, 0x2100, v22
	s_ashr_i32 s35, s34, 31
	s_delay_alu instid0(SALU_CYCLE_1) | instskip(NEXT) | instid1(SALU_CYCLE_1)
	s_lshl_b64 s[34:35], s[34:35], 4
	v_add_co_u32 v23, s8, v5, s34
	s_delay_alu instid0(VALU_DEP_1)
	v_add_co_ci_u32_e64 v24, s8, s35, v6, s8
	global_load_b128 v[23:26], v[23:24], off
	s_waitcnt vmcnt(0)
	ds_store_2addr_b64 v27, v[23:24], v[25:26] offset1:1
.LBB22_69:
	s_or_b32 exec_lo, exec_lo, s17
	v_add_nc_u32_e32 v23, 24, v11
	s_delay_alu instid0(VALU_DEP_1) | instskip(NEXT) | instid1(VALU_DEP_1)
	v_cmp_le_i32_e64 s8, s11, v23
	s_and_saveexec_b32 s11, s8
	s_delay_alu instid0(SALU_CYCLE_1)
	s_xor_b32 s8, exec_lo, s11
	s_cbranch_execz .LBB22_71
; %bb.70:
	v_mov_b32_e32 v23, 0
	s_delay_alu instid0(VALU_DEP_1)
	v_mov_b32_e32 v24, v23
	v_mov_b32_e32 v25, v23
	;; [unrolled: 1-line block ×3, first 2 shown]
	ds_store_b128 v22, v[23:26] offset:12672
                                        ; implicit-def: $vgpr22
.LBB22_71:
	s_and_not1_saveexec_b32 s11, s8
	s_cbranch_execz .LBB22_73
; %bb.72:
	s_mul_i32 s34, s16, 24
	v_add_nc_u32_e32 v22, 0x3180, v22
	s_ashr_i32 s35, s34, 31
	s_delay_alu instid0(SALU_CYCLE_1) | instskip(NEXT) | instid1(SALU_CYCLE_1)
	s_lshl_b64 s[34:35], s[34:35], 4
	v_add_co_u32 v23, s8, v5, s34
	s_delay_alu instid0(VALU_DEP_1)
	v_add_co_ci_u32_e64 v24, s8, s35, v6, s8
	global_load_b128 v[23:26], v[23:24], off
	s_waitcnt vmcnt(0)
	ds_store_2addr_b64 v22, v[23:24], v[25:26] offset1:1
.LBB22_73:
	s_or_b32 exec_lo, exec_lo, s11
	v_add_co_u32 v5, s8, v5, v13
	s_delay_alu instid0(VALU_DEP_1) | instskip(NEXT) | instid1(VALU_DEP_2)
	v_add_co_ci_u32_e64 v6, s8, 0, v6, s8
	v_sub_co_u32 v5, s8, v5, s22
	s_delay_alu instid0(VALU_DEP_1) | instskip(NEXT) | instid1(VALU_DEP_2)
	v_subrev_co_ci_u32_e64 v6, s8, s23, v6, s8
	v_add_co_u32 v5, s8, 0x210, v5
	s_delay_alu instid0(VALU_DEP_1) | instskip(NEXT) | instid1(VALU_DEP_1)
	v_add_co_ci_u32_e64 v6, s8, 0, v6, s8
	v_dual_cndmask_b32 v5, v5, v7 :: v_dual_cndmask_b32 v6, v6, v8
	s_branch .LBB22_76
.LBB22_74:
                                        ; implicit-def: $vgpr5_vgpr6
	s_cbranch_execz .LBB22_76
; %bb.75:
	s_lshl_b32 s22, s16, 3
	s_ashr_i32 s17, s16, 31
	s_ashr_i32 s23, s22, 31
	v_add_lshl_u32 v40, v12, v4, 4
	s_lshl_b64 s[22:23], s[22:23], 4
	s_delay_alu instid0(SALU_CYCLE_1) | instskip(SKIP_3) | instid1(VALU_DEP_3)
	v_add_co_u32 v5, vcc_lo, v20, s22
	v_add_co_ci_u32_e32 v6, vcc_lo, s23, v21, vcc_lo
	s_lshl_b64 s[22:23], s[16:17], 7
	v_add_nc_u32_e32 v46, 0x2100, v40
	v_add_co_u32 v28, vcc_lo, v5, s22
	s_delay_alu instid0(VALU_DEP_3) | instskip(SKIP_1) | instid1(VALU_DEP_3)
	v_add_co_ci_u32_e32 v29, vcc_lo, s23, v6, vcc_lo
	v_add_nc_u32_e32 v41, 0x1080, v40
	v_add_co_u32 v32, vcc_lo, v28, s22
	s_delay_alu instid0(VALU_DEP_3)
	v_add_co_ci_u32_e32 v33, vcc_lo, s23, v29, vcc_lo
	s_clause 0x3
	global_load_b128 v[20:23], v[7:8], off
	global_load_b128 v[24:27], v[5:6], off offset:512
	global_load_b128 v[28:31], v[28:29], off offset:512
	;; [unrolled: 1-line block ×3, first 2 shown]
	v_dual_mov_b32 v5, v7 :: v_dual_mov_b32 v6, v8
	v_add_nc_u32_e32 v47, 0x3180, v40
	s_waitcnt vmcnt(3)
	ds_store_2addr_b64 v40, v[20:21], v[22:23] offset1:1
	s_waitcnt vmcnt(2)
	ds_store_2addr_b64 v41, v[24:25], v[26:27] offset1:1
	;; [unrolled: 2-line block ×4, first 2 shown]
.LBB22_76:
	s_waitcnt lgkmcnt(0)
	s_barrier
	buffer_gl0_inv
	s_and_saveexec_b32 s8, s4
	s_delay_alu instid0(SALU_CYCLE_1)
	s_xor_b32 s4, exec_lo, s8
	s_cbranch_execnz .LBB22_105
; %bb.77:
	s_and_not1_saveexec_b32 s4, s4
	s_cbranch_execnz .LBB22_108
.LBB22_78:
	s_or_b32 exec_lo, exec_lo, s4
	s_and_saveexec_b32 s4, s5
	s_delay_alu instid0(SALU_CYCLE_1)
	s_xor_b32 s4, exec_lo, s4
	s_cbranch_execnz .LBB22_109
.LBB22_79:
	s_and_not1_saveexec_b32 s4, s4
	s_cbranch_execnz .LBB22_110
.LBB22_80:
	s_or_b32 exec_lo, exec_lo, s4
	s_and_saveexec_b32 s4, s6
	s_delay_alu instid0(SALU_CYCLE_1)
	s_xor_b32 s4, exec_lo, s4
	s_cbranch_execnz .LBB22_113
.LBB22_81:
	s_and_not1_saveexec_b32 s4, s4
	s_cbranch_execnz .LBB22_116
.LBB22_82:
	s_or_b32 exec_lo, exec_lo, s4
	s_and_saveexec_b32 s4, s7
	s_delay_alu instid0(SALU_CYCLE_1)
	s_xor_b32 s4, exec_lo, s4
	s_cbranch_execnz .LBB22_117
.LBB22_83:
	s_or_saveexec_b32 s4, s4
	v_add_nc_u32_e32 v16, 0x4700, v19
	s_xor_b32 exec_lo, exec_lo, s4
	s_cbranch_execz .LBB22_85
.LBB22_84:
	ds_load_b128 v[17:20], v45 offset:1056
	s_waitcnt lgkmcnt(0)
	v_xor_b32_e32 v20, 0x80000000, v20
	ds_store_b128 v9, v[17:20] offset:48
.LBB22_85:
	s_or_b32 exec_lo, exec_lo, s4
	s_waitcnt lgkmcnt(0)
	s_barrier
	buffer_gl0_inv
	ds_load_b128 v[7:10], v16 offset:512
	ds_load_b128 v[17:20], v15
	v_cmp_eq_u32_e64 s4, 1, v11
	s_waitcnt lgkmcnt(0)
	v_mul_f64 v[31:32], v[9:10], v[19:20]
	v_mul_f64 v[33:34], v[7:8], v[19:20]
	ds_load_b128 v[19:22], v45
	ds_load_b128 v[23:26], v16 offset:528
	ds_load_b128 v[27:30], v16 offset:544
	s_waitcnt lgkmcnt(1)
	v_mul_f64 v[40:41], v[25:26], v[21:22]
	v_mul_f64 v[21:22], v[23:24], v[21:22]
	v_fma_f64 v[46:47], v[7:8], v[17:18], -v[31:32]
	v_fma_f64 v[17:18], v[9:10], v[17:18], v[33:34]
	ds_load_b128 v[7:10], v45 offset:528
	ds_load_b128 v[31:34], v45 offset:1056
	s_waitcnt lgkmcnt(1)
	v_mul_f64 v[48:49], v[29:30], v[9:10]
	v_mul_f64 v[9:10], v[27:28], v[9:10]
	v_fma_f64 v[23:24], v[23:24], v[19:20], -v[40:41]
	v_fma_f64 v[21:22], v[25:26], v[19:20], v[21:22]
	v_add_f64 v[25:26], v[46:47], 0
	v_add_f64 v[40:41], v[17:18], 0
	ds_load_b128 v[17:20], v16 offset:560
	s_waitcnt lgkmcnt(0)
	s_barrier
	buffer_gl0_inv
	v_fma_f64 v[27:28], v[27:28], v[7:8], -v[48:49]
	v_mul_f64 v[46:47], v[19:20], v[33:34]
	v_mul_f64 v[33:34], v[17:18], v[33:34]
	v_fma_f64 v[7:8], v[29:30], v[7:8], v[9:10]
	v_add_f64 v[9:10], v[25:26], v[23:24]
	v_add_f64 v[21:22], v[40:41], v[21:22]
	v_fma_f64 v[17:18], v[17:18], v[31:32], -v[46:47]
	v_fma_f64 v[19:20], v[19:20], v[31:32], v[33:34]
	s_delay_alu instid0(VALU_DEP_4) | instskip(NEXT) | instid1(VALU_DEP_4)
	v_add_f64 v[9:10], v[9:10], v[27:28]
	v_add_f64 v[21:22], v[21:22], v[7:8]
	s_delay_alu instid0(VALU_DEP_2) | instskip(NEXT) | instid1(VALU_DEP_2)
	v_add_f64 v[7:8], v[9:10], v[17:18]
	v_add_f64 v[9:10], v[21:22], v[19:20]
	ds_store_b128 v44, v[7:10]
	s_waitcnt lgkmcnt(0)
	s_barrier
	buffer_gl0_inv
	s_and_saveexec_b32 s5, s4
	s_cbranch_execz .LBB22_87
; %bb.86:
	ds_load_b128 v[0:3], v43
	ds_load_b128 v[7:10], v43 offset:16
	s_waitcnt lgkmcnt(0)
	v_add_f64 v[17:18], v[7:8], v[0:1]
	v_add_f64 v[19:20], v[9:10], v[2:3]
	ds_load_b128 v[0:3], v43 offset:32
	ds_load_b128 v[7:10], v43 offset:48
	s_waitcnt lgkmcnt(1)
	v_add_f64 v[0:1], v[17:18], v[0:1]
	v_add_f64 v[2:3], v[19:20], v[2:3]
	s_waitcnt lgkmcnt(0)
	s_delay_alu instid0(VALU_DEP_2) | instskip(NEXT) | instid1(VALU_DEP_2)
	v_add_f64 v[17:18], v[0:1], v[7:8]
	v_add_f64 v[19:20], v[2:3], v[9:10]
	ds_load_b128 v[0:3], v43 offset:64
	ds_load_b128 v[7:10], v43 offset:80
	s_waitcnt lgkmcnt(1)
	v_add_f64 v[0:1], v[17:18], v[0:1]
	v_add_f64 v[2:3], v[19:20], v[2:3]
	s_waitcnt lgkmcnt(0)
	s_delay_alu instid0(VALU_DEP_2) | instskip(NEXT) | instid1(VALU_DEP_2)
	;; [unrolled: 9-line block ×3, first 2 shown]
	v_add_f64 v[0:1], v[0:1], v[7:8]
	v_add_f64 v[2:3], v[2:3], v[9:10]
.LBB22_87:
	s_or_b32 exec_lo, exec_lo, s5
	v_add_co_u32 v7, vcc_lo, 0xfffffe00, v5
	v_add_co_ci_u32_e32 v8, vcc_lo, -1, v6, vcc_lo
	s_and_b32 vcc_lo, exec_lo, s13
	s_barrier
	buffer_gl0_inv
	s_cbranch_vccz .LBB22_120
; %bb.88:
	v_sub_co_u32 v9, vcc_lo, v5, v13
	s_ashr_i32 s11, s10, 31
	v_subrev_co_ci_u32_e32 v10, vcc_lo, 0, v6, vcc_lo
	s_lshl_b64 s[6:7], s[10:11], 4
	s_sub_i32 s8, s10, 32
	v_add_co_u32 v9, vcc_lo, v9, s6
	s_delay_alu instid0(VALU_DEP_2) | instskip(SKIP_1) | instid1(VALU_DEP_3)
	v_add_co_ci_u32_e32 v10, vcc_lo, s7, v10, vcc_lo
	v_cmp_le_i32_e64 s5, s8, v11
	v_add_co_u32 v9, vcc_lo, 0xfffffdf0, v9
	s_delay_alu instid0(VALU_DEP_3) | instskip(SKIP_2) | instid1(VALU_DEP_3)
	v_add_co_ci_u32_e32 v10, vcc_lo, -1, v10, vcc_lo
	v_cmp_gt_i32_e32 vcc_lo, s10, v4
	v_add_lshl_u32 v20, v12, v4, 4
	v_dual_cndmask_b32 v10, v10, v8 :: v_dual_cndmask_b32 v9, v9, v7
	s_and_saveexec_b32 s11, s5
	s_delay_alu instid0(SALU_CYCLE_1)
	s_xor_b32 s5, exec_lo, s11
	s_cbranch_execz .LBB22_90
; %bb.89:
	v_mov_b32_e32 v21, 0
	s_delay_alu instid0(VALU_DEP_1)
	v_mov_b32_e32 v22, v21
	v_mov_b32_e32 v23, v21
	;; [unrolled: 1-line block ×3, first 2 shown]
	ds_store_b128 v20, v[21:24]
.LBB22_90:
	s_and_not1_saveexec_b32 s5, s5
	s_cbranch_execz .LBB22_92
; %bb.91:
	global_load_b128 v[21:24], v[9:10], off
	s_waitcnt vmcnt(0)
	ds_store_2addr_b64 v20, v[21:22], v[23:24] offset1:1
.LBB22_92:
	s_or_b32 exec_lo, exec_lo, s5
	v_add_nc_u32_e32 v19, 8, v11
	s_delay_alu instid0(VALU_DEP_1) | instskip(NEXT) | instid1(VALU_DEP_1)
	v_cmp_le_i32_e64 s5, s8, v19
	s_and_saveexec_b32 s11, s5
	s_delay_alu instid0(SALU_CYCLE_1)
	s_xor_b32 s5, exec_lo, s11
	s_cbranch_execz .LBB22_94
; %bb.93:
	v_mul_u32_u24_e32 v17, 33, v19
	v_mov_b32_e32 v21, 0
	s_delay_alu instid0(VALU_DEP_2) | instskip(NEXT) | instid1(VALU_DEP_2)
	v_add_lshl_u32 v17, v17, v4, 4
	v_mov_b32_e32 v22, v21
	v_mov_b32_e32 v23, v21
	;; [unrolled: 1-line block ×3, first 2 shown]
	ds_store_b128 v17, v[21:24]
.LBB22_94:
	s_and_not1_saveexec_b32 s11, s5
	s_cbranch_execz .LBB22_96
; %bb.95:
	s_lshl_b32 s22, s16, 3
	s_delay_alu instid0(SALU_CYCLE_1) | instskip(NEXT) | instid1(SALU_CYCLE_1)
	s_ashr_i32 s23, s22, 31
	s_lshl_b64 s[22:23], s[22:23], 4
	s_delay_alu instid0(SALU_CYCLE_1) | instskip(NEXT) | instid1(VALU_DEP_1)
	v_add_co_u32 v17, s5, v9, s22
	v_add_co_ci_u32_e64 v18, s5, s23, v10, s5
	global_load_b128 v[21:24], v[17:18], off
	v_add_nc_u32_e32 v17, 0x1080, v20
	s_waitcnt vmcnt(0)
	ds_store_2addr_b64 v17, v[21:22], v[23:24] offset1:1
.LBB22_96:
	s_or_b32 exec_lo, exec_lo, s11
	v_add_nc_u32_e32 v17, 16, v11
	s_delay_alu instid0(VALU_DEP_1) | instskip(NEXT) | instid1(VALU_DEP_1)
	v_cmp_le_i32_e64 s5, s8, v17
	s_and_saveexec_b32 s11, s5
	s_delay_alu instid0(SALU_CYCLE_1)
	s_xor_b32 s5, exec_lo, s11
	s_cbranch_execz .LBB22_98
; %bb.97:
	v_mul_u32_u24_e32 v18, 33, v17
	v_mov_b32_e32 v21, 0
	s_delay_alu instid0(VALU_DEP_2) | instskip(NEXT) | instid1(VALU_DEP_2)
	v_add_lshl_u32 v18, v18, v4, 4
	v_mov_b32_e32 v22, v21
	v_mov_b32_e32 v23, v21
	;; [unrolled: 1-line block ×3, first 2 shown]
	ds_store_b128 v18, v[21:24]
.LBB22_98:
	s_and_not1_saveexec_b32 s11, s5
	s_cbranch_execz .LBB22_100
; %bb.99:
	s_lshl_b32 s22, s16, 4
	v_add_nc_u32_e32 v18, 0x2100, v20
	s_ashr_i32 s23, s22, 31
	s_delay_alu instid0(SALU_CYCLE_1) | instskip(NEXT) | instid1(SALU_CYCLE_1)
	s_lshl_b64 s[22:23], s[22:23], 4
	v_add_co_u32 v21, s5, v9, s22
	s_delay_alu instid0(VALU_DEP_1)
	v_add_co_ci_u32_e64 v22, s5, s23, v10, s5
	global_load_b128 v[21:24], v[21:22], off
	s_waitcnt vmcnt(0)
	ds_store_2addr_b64 v18, v[21:22], v[23:24] offset1:1
.LBB22_100:
	s_or_b32 exec_lo, exec_lo, s11
	v_add_nc_u32_e32 v18, 24, v11
	s_delay_alu instid0(VALU_DEP_1) | instskip(NEXT) | instid1(VALU_DEP_1)
	v_cmp_le_i32_e64 s5, s8, v18
	s_and_saveexec_b32 s8, s5
	s_delay_alu instid0(SALU_CYCLE_1)
	s_xor_b32 s5, exec_lo, s8
	s_cbranch_execz .LBB22_102
; %bb.101:
	v_mov_b32_e32 v21, 0
	s_delay_alu instid0(VALU_DEP_1)
	v_mov_b32_e32 v22, v21
	v_mov_b32_e32 v23, v21
	v_mov_b32_e32 v24, v21
	ds_store_b128 v20, v[21:24] offset:12672
                                        ; implicit-def: $vgpr20
.LBB22_102:
	s_and_not1_saveexec_b32 s8, s5
	s_cbranch_execz .LBB22_104
; %bb.103:
	s_mul_i32 s22, s16, 24
	v_add_nc_u32_e32 v20, 0x3180, v20
	s_ashr_i32 s23, s22, 31
	s_delay_alu instid0(SALU_CYCLE_1) | instskip(NEXT) | instid1(SALU_CYCLE_1)
	s_lshl_b64 s[22:23], s[22:23], 4
	v_add_co_u32 v21, s5, v9, s22
	s_delay_alu instid0(VALU_DEP_1)
	v_add_co_ci_u32_e64 v22, s5, s23, v10, s5
	global_load_b128 v[21:24], v[21:22], off
	s_waitcnt vmcnt(0)
	ds_store_2addr_b64 v20, v[21:22], v[23:24] offset1:1
.LBB22_104:
	s_or_b32 exec_lo, exec_lo, s8
	v_add_co_u32 v9, s5, v9, v13
	s_delay_alu instid0(VALU_DEP_1) | instskip(NEXT) | instid1(VALU_DEP_2)
	v_add_co_ci_u32_e64 v10, s5, 0, v10, s5
	v_sub_co_u32 v9, s5, v9, s6
	s_delay_alu instid0(VALU_DEP_1) | instskip(NEXT) | instid1(VALU_DEP_2)
	v_subrev_co_ci_u32_e64 v10, s5, s7, v10, s5
	v_add_co_u32 v9, s5, v9, 16
	s_delay_alu instid0(VALU_DEP_1) | instskip(NEXT) | instid1(VALU_DEP_1)
	v_add_co_ci_u32_e64 v10, s5, 0, v10, s5
	v_dual_cndmask_b32 v40, v9, v7 :: v_dual_cndmask_b32 v41, v10, v8
	s_branch .LBB22_122
.LBB22_105:
	s_mov_b32 s8, exec_lo
	v_cmpx_eq_u32_e64 v16, v4
	s_cbranch_execz .LBB22_107
; %bb.106:
	v_mul_u32_u24_e32 v8, 34, v4
	s_delay_alu instid0(VALU_DEP_1) | instskip(NEXT) | instid1(VALU_DEP_1)
	v_dual_mov_b32 v7, 0 :: v_dual_lshlrev_b32 v16, 4, v8
	v_mov_b32_e32 v8, v7
	ds_store_b64 v16, v[7:8] offset:8
.LBB22_107:
	s_or_b32 exec_lo, exec_lo, s8
	s_and_not1_saveexec_b32 s4, s4
	s_cbranch_execz .LBB22_78
.LBB22_108:
	ds_load_b128 v[20:23], v15
	s_waitcnt lgkmcnt(0)
	v_xor_b32_e32 v23, 0x80000000, v23
	ds_store_b128 v9, v[20:23]
	s_or_b32 exec_lo, exec_lo, s4
	s_and_saveexec_b32 s4, s5
	s_delay_alu instid0(SALU_CYCLE_1)
	s_xor_b32 s4, exec_lo, s4
	s_cbranch_execz .LBB22_79
.LBB22_109:
	ds_load_b128 v[20:23], v45
                                        ; implicit-def: $vgpr10
	s_waitcnt lgkmcnt(0)
	v_xor_b32_e32 v23, 0x80000000, v23
	ds_store_b128 v9, v[20:23] offset:16
	s_and_not1_saveexec_b32 s4, s4
	s_cbranch_execz .LBB22_80
.LBB22_110:
	s_mov_b32 s5, exec_lo
	v_cmpx_eq_u32_e64 v10, v4
	s_cbranch_execz .LBB22_112
; %bb.111:
	v_mul_u32_u24_e32 v8, 34, v4
	s_delay_alu instid0(VALU_DEP_1) | instskip(NEXT) | instid1(VALU_DEP_1)
	v_dual_mov_b32 v7, 0 :: v_dual_lshlrev_b32 v10, 4, v8
	v_mov_b32_e32 v8, v7
	ds_store_b64 v10, v[7:8] offset:8
.LBB22_112:
	s_or_b32 exec_lo, exec_lo, s5
	s_delay_alu instid0(SALU_CYCLE_1) | instskip(SKIP_1) | instid1(SALU_CYCLE_1)
	s_or_b32 exec_lo, exec_lo, s4
	s_and_saveexec_b32 s4, s6
	s_xor_b32 s4, exec_lo, s4
	s_cbranch_execz .LBB22_81
.LBB22_113:
	s_mov_b32 s5, exec_lo
	v_cmpx_eq_u32_e64 v17, v4
	s_cbranch_execz .LBB22_115
; %bb.114:
	v_mul_u32_u24_e32 v8, 34, v4
	s_delay_alu instid0(VALU_DEP_1) | instskip(NEXT) | instid1(VALU_DEP_1)
	v_dual_mov_b32 v7, 0 :: v_dual_lshlrev_b32 v10, 4, v8
	v_mov_b32_e32 v8, v7
	ds_store_b64 v10, v[7:8] offset:8
.LBB22_115:
	s_or_b32 exec_lo, exec_lo, s5
	s_and_not1_saveexec_b32 s4, s4
	s_cbranch_execz .LBB22_82
.LBB22_116:
	ds_load_b128 v[20:23], v45 offset:528
	s_waitcnt lgkmcnt(0)
	v_xor_b32_e32 v23, 0x80000000, v23
	ds_store_b128 v9, v[20:23] offset:32
	s_or_b32 exec_lo, exec_lo, s4
	s_and_saveexec_b32 s4, s7
	s_delay_alu instid0(SALU_CYCLE_1)
	s_xor_b32 s4, exec_lo, s4
	s_cbranch_execz .LBB22_83
.LBB22_117:
	s_mov_b32 s5, exec_lo
	v_cmpx_eq_u32_e64 v18, v4
	s_cbranch_execz .LBB22_119
; %bb.118:
	v_mul_u32_u24_e32 v8, 34, v4
	v_mov_b32_e32 v7, 0
	s_delay_alu instid0(VALU_DEP_1)
	v_dual_mov_b32 v8, v7 :: v_dual_lshlrev_b32 v9, 4, v8
	ds_store_b64 v9, v[7:8] offset:8
.LBB22_119:
	s_or_b32 exec_lo, exec_lo, s5
                                        ; implicit-def: $vgpr9
	s_or_saveexec_b32 s4, s4
	v_add_nc_u32_e32 v16, 0x4700, v19
	s_xor_b32 exec_lo, exec_lo, s4
	s_cbranch_execnz .LBB22_84
	s_branch .LBB22_85
.LBB22_120:
                                        ; implicit-def: $vgpr40_vgpr41
                                        ; implicit-def: $vgpr19
                                        ; implicit-def: $vgpr17
                                        ; implicit-def: $vgpr18
	s_cbranch_execz .LBB22_122
; %bb.121:
	s_lshl_b32 s6, s16, 3
	s_ashr_i32 s17, s16, 31
	s_ashr_i32 s7, s6, 31
	v_add_lshl_u32 v4, v12, v4, 4
	s_lshl_b64 s[6:7], s[6:7], 4
	v_add_nc_u32_e32 v19, 8, v11
	v_add_co_u32 v5, vcc_lo, v5, s6
	v_add_co_ci_u32_e32 v6, vcc_lo, s7, v6, vcc_lo
	s_lshl_b64 s[6:7], s[16:17], 7
	v_dual_mov_b32 v41, v8 :: v_dual_mov_b32 v40, v7
	s_delay_alu instid0(VALU_DEP_3) | instskip(NEXT) | instid1(VALU_DEP_3)
	v_add_co_u32 v9, vcc_lo, v5, s6
	v_add_co_ci_u32_e32 v10, vcc_lo, s7, v6, vcc_lo
	s_delay_alu instid0(VALU_DEP_2) | instskip(NEXT) | instid1(VALU_DEP_2)
	v_add_co_u32 v17, vcc_lo, v9, s6
	v_add_co_ci_u32_e32 v18, vcc_lo, s7, v10, vcc_lo
	s_clause 0x3
	global_load_b128 v[20:23], v[7:8], off
	global_load_b128 v[24:27], v[5:6], off offset:-512
	global_load_b128 v[28:31], v[9:10], off offset:-512
	;; [unrolled: 1-line block ×3, first 2 shown]
	v_add_nc_u32_e32 v6, 0x2100, v4
	v_add_nc_u32_e32 v17, 16, v11
	;; [unrolled: 1-line block ×5, first 2 shown]
	s_waitcnt vmcnt(3)
	ds_store_2addr_b64 v4, v[20:21], v[22:23] offset1:1
	s_waitcnt vmcnt(2)
	ds_store_2addr_b64 v5, v[24:25], v[26:27] offset1:1
	;; [unrolled: 2-line block ×4, first 2 shown]
.LBB22_122:
	v_lshlrev_b32_e32 v8, 4, v11
	s_waitcnt lgkmcnt(0)
	s_barrier
	buffer_gl0_inv
	ds_load_b128 v[4:7], v44
	ds_load_b128 v[8:11], v8 offset:18176
	v_add_lshl_u32 v20, v19, v14, 4
	v_lshlrev_b32_e32 v23, 4, v19
	ds_load_b128 v[19:22], v20
	ds_load_b128 v[23:26], v23 offset:18176
	s_waitcnt lgkmcnt(2)
	v_mul_f64 v[12:13], v[6:7], v[10:11]
	v_mul_f64 v[6:7], v[6:7], v[8:9]
	s_waitcnt lgkmcnt(0)
	v_mul_f64 v[27:28], v[21:22], v[25:26]
	v_mul_f64 v[21:22], v[21:22], v[23:24]
	s_delay_alu instid0(VALU_DEP_4) | instskip(NEXT) | instid1(VALU_DEP_4)
	v_fma_f64 v[12:13], v[4:5], v[8:9], v[12:13]
	v_fma_f64 v[29:30], v[4:5], v[10:11], -v[6:7]
	v_add_lshl_u32 v4, v17, v14, 4
	v_lshlrev_b32_e32 v8, 4, v17
	v_add_lshl_u32 v14, v18, v14, 4
	ds_load_b128 v[4:7], v4
	ds_load_b128 v[8:11], v8 offset:18176
	v_fma_f64 v[27:28], v[19:20], v[23:24], v[27:28]
	v_fma_f64 v[25:26], v[19:20], v[25:26], -v[21:22]
	v_lshlrev_b32_e32 v21, 4, v18
	ds_load_b128 v[17:20], v14
	ds_load_b128 v[21:24], v21 offset:18176
	s_waitcnt lgkmcnt(2)
	v_mul_f64 v[31:32], v[6:7], v[10:11]
	v_mul_f64 v[6:7], v[6:7], v[8:9]
	s_waitcnt lgkmcnt(0)
	v_mul_f64 v[33:34], v[19:20], v[23:24]
	v_mul_f64 v[19:20], v[19:20], v[21:22]
	v_add_f64 v[12:13], v[12:13], 0
	v_add_f64 v[29:30], v[29:30], 0
	v_fma_f64 v[8:9], v[4:5], v[8:9], v[31:32]
	v_fma_f64 v[4:5], v[4:5], v[10:11], -v[6:7]
	s_delay_alu instid0(VALU_DEP_4) | instskip(NEXT) | instid1(VALU_DEP_4)
	v_add_f64 v[6:7], v[12:13], v[27:28]
	v_add_f64 v[10:11], v[29:30], v[25:26]
	v_fma_f64 v[12:13], v[17:18], v[21:22], v[33:34]
	v_fma_f64 v[17:18], v[17:18], v[23:24], -v[19:20]
	s_delay_alu instid0(VALU_DEP_4) | instskip(NEXT) | instid1(VALU_DEP_4)
	v_add_f64 v[6:7], v[6:7], v[8:9]
	v_add_f64 v[4:5], v[10:11], v[4:5]
	s_delay_alu instid0(VALU_DEP_2) | instskip(NEXT) | instid1(VALU_DEP_2)
	v_add_f64 v[46:47], v[6:7], v[12:13]
	v_add_f64 v[48:49], v[4:5], v[17:18]
	ds_load_b128 v[20:23], v16 offset:528
	ds_load_b128 v[8:11], v16 offset:544
	;; [unrolled: 1-line block ×3, first 2 shown]
	ds_load_b128 v[32:35], v15
	ds_load_b128 v[4:7], v16 offset:560
	ds_load_b128 v[24:27], v45
	ds_load_b128 v[16:19], v45 offset:528
	ds_load_b128 v[12:15], v45 offset:1056
	s_waitcnt lgkmcnt(0)
	s_barrier
	buffer_gl0_inv
	ds_store_b128 v44, v[46:49]
	s_waitcnt lgkmcnt(0)
	s_barrier
	buffer_gl0_inv
	s_and_saveexec_b32 s5, s4
	s_cbranch_execz .LBB22_124
; %bb.123:
	ds_load_b128 v[45:48], v43
	ds_load_b128 v[49:52], v43 offset:16
	s_waitcnt lgkmcnt(1)
	v_add_f64 v[0:1], v[0:1], v[45:46]
	v_add_f64 v[2:3], v[2:3], v[47:48]
	s_waitcnt lgkmcnt(0)
	s_delay_alu instid0(VALU_DEP_2) | instskip(NEXT) | instid1(VALU_DEP_2)
	v_add_f64 v[49:50], v[0:1], v[49:50]
	v_add_f64 v[51:52], v[2:3], v[51:52]
	ds_load_b128 v[0:3], v43 offset:32
	ds_load_b128 v[45:48], v43 offset:48
	s_waitcnt lgkmcnt(1)
	v_add_f64 v[0:1], v[49:50], v[0:1]
	v_add_f64 v[2:3], v[51:52], v[2:3]
	s_waitcnt lgkmcnt(0)
	s_delay_alu instid0(VALU_DEP_2) | instskip(NEXT) | instid1(VALU_DEP_2)
	v_add_f64 v[49:50], v[0:1], v[45:46]
	v_add_f64 v[51:52], v[2:3], v[47:48]
	ds_load_b128 v[0:3], v43 offset:64
	;; [unrolled: 9-line block ×3, first 2 shown]
	ds_load_b128 v[45:48], v43 offset:112
	s_waitcnt lgkmcnt(1)
	v_add_f64 v[0:1], v[49:50], v[0:1]
	v_add_f64 v[2:3], v[51:52], v[2:3]
	s_waitcnt lgkmcnt(0)
	s_delay_alu instid0(VALU_DEP_2) | instskip(NEXT) | instid1(VALU_DEP_2)
	v_add_f64 v[0:1], v[0:1], v[45:46]
	v_add_f64 v[2:3], v[2:3], v[47:48]
.LBB22_124:
	s_or_b32 exec_lo, exec_lo, s5
	v_mul_f64 v[45:46], v[30:31], v[34:35]
	v_mul_f64 v[34:35], v[28:29], v[34:35]
	;; [unrolled: 1-line block ×4, first 2 shown]
	s_barrier
	buffer_gl0_inv
	v_fma_f64 v[28:29], v[28:29], v[32:33], -v[45:46]
	v_fma_f64 v[30:31], v[30:31], v[32:33], v[34:35]
	v_mul_f64 v[32:33], v[10:11], v[18:19]
	v_mul_f64 v[18:19], v[8:9], v[18:19]
	v_fma_f64 v[20:21], v[20:21], v[24:25], -v[47:48]
	v_fma_f64 v[22:23], v[22:23], v[24:25], v[26:27]
	v_add_f64 v[24:25], v[28:29], 0
	v_add_f64 v[26:27], v[30:31], 0
	v_mul_f64 v[28:29], v[6:7], v[14:15]
	v_mul_f64 v[14:15], v[4:5], v[14:15]
	v_fma_f64 v[8:9], v[8:9], v[16:17], -v[32:33]
	v_fma_f64 v[10:11], v[10:11], v[16:17], v[18:19]
	v_add_f64 v[16:17], v[24:25], v[20:21]
	v_add_f64 v[18:19], v[26:27], v[22:23]
	v_fma_f64 v[4:5], v[4:5], v[12:13], -v[28:29]
	v_fma_f64 v[6:7], v[6:7], v[12:13], v[14:15]
	s_delay_alu instid0(VALU_DEP_4) | instskip(NEXT) | instid1(VALU_DEP_4)
	v_add_f64 v[8:9], v[16:17], v[8:9]
	v_add_f64 v[10:11], v[18:19], v[10:11]
	s_delay_alu instid0(VALU_DEP_2) | instskip(NEXT) | instid1(VALU_DEP_2)
	v_add_f64 v[4:5], v[8:9], v[4:5]
	v_add_f64 v[6:7], v[10:11], v[6:7]
	ds_store_b128 v44, v[4:7]
	s_waitcnt lgkmcnt(0)
	s_barrier
	buffer_gl0_inv
	s_and_saveexec_b32 s4, s3
	s_cbranch_execz .LBB22_126
; %bb.125:
	ds_load_b128 v[4:7], v43
	ds_load_b128 v[8:11], v43 offset:16
	s_waitcnt lgkmcnt(1)
	v_add_f64 v[0:1], v[0:1], v[4:5]
	v_add_f64 v[2:3], v[2:3], v[6:7]
	s_waitcnt lgkmcnt(0)
	s_delay_alu instid0(VALU_DEP_2) | instskip(NEXT) | instid1(VALU_DEP_2)
	v_add_f64 v[8:9], v[0:1], v[8:9]
	v_add_f64 v[10:11], v[2:3], v[10:11]
	ds_load_b128 v[0:3], v43 offset:32
	ds_load_b128 v[4:7], v43 offset:48
	s_waitcnt lgkmcnt(1)
	v_add_f64 v[0:1], v[8:9], v[0:1]
	v_add_f64 v[2:3], v[10:11], v[2:3]
	s_waitcnt lgkmcnt(0)
	s_delay_alu instid0(VALU_DEP_2) | instskip(NEXT) | instid1(VALU_DEP_2)
	v_add_f64 v[8:9], v[0:1], v[4:5]
	v_add_f64 v[10:11], v[2:3], v[6:7]
	ds_load_b128 v[0:3], v43 offset:64
	ds_load_b128 v[4:7], v43 offset:80
	s_waitcnt lgkmcnt(1)
	v_add_f64 v[0:1], v[8:9], v[0:1]
	v_add_f64 v[2:3], v[10:11], v[2:3]
	s_waitcnt lgkmcnt(0)
	s_delay_alu instid0(VALU_DEP_2) | instskip(NEXT) | instid1(VALU_DEP_2)
	v_add_f64 v[8:9], v[0:1], v[4:5]
	v_add_f64 v[10:11], v[2:3], v[6:7]
	ds_load_b128 v[0:3], v43 offset:96
	ds_load_b128 v[4:7], v43 offset:112
	s_waitcnt lgkmcnt(1)
	v_add_f64 v[0:1], v[8:9], v[0:1]
	v_add_f64 v[2:3], v[10:11], v[2:3]
	s_waitcnt lgkmcnt(0)
	s_delay_alu instid0(VALU_DEP_2) | instskip(NEXT) | instid1(VALU_DEP_2)
	v_add_f64 v[0:1], v[0:1], v[4:5]
	v_add_f64 v[2:3], v[2:3], v[6:7]
.LBB22_126:
	s_or_b32 exec_lo, exec_lo, s4
	s_load_b64 s[0:1], s[0:1], 0x78
	s_mul_hi_u32 s3, s9, s15
	s_mul_i32 s24, s24, s15
	s_mul_i32 s4, s9, s15
	s_add_i32 s3, s3, s24
	s_mul_hi_u32 s5, s4, s26
	s_mul_i32 s3, s3, s26
	s_mul_i32 s4, s4, s26
	s_add_i32 s5, s5, s3
	s_mul_hi_i32 s7, s9, s14
	s_lshl_b64 s[4:5], s[4:5], 4
	s_mul_i32 s6, s9, s14
	v_lshlrev_b32_e32 v13, 4, v170
	s_waitcnt lgkmcnt(0)
	s_barrier
	buffer_gl0_inv
	s_add_u32 s3, s0, s4
	s_addc_u32 s4, s1, s5
	s_lshl_b64 s[0:1], s[6:7], 4
	s_delay_alu instid0(SALU_CYCLE_1) | instskip(SKIP_2) | instid1(SALU_CYCLE_1)
	s_add_u32 s3, s3, s0
	s_addc_u32 s11, s4, s1
	s_add_i32 s1, s14, 1
	s_cmp_ge_u32 s1, s26
	s_cbranch_scc1 .LBB22_184
; %bb.127:
	scratch_load_b32 v12, off, off offset:8 ; 4-byte Folded Reload
	v_and_b32_e32 v8, 48, v170
	v_add_nc_u32_e32 v9, 0x4300, v13
	s_mul_i32 s4, s12, s30
	v_and_b32_e32 v6, 15, v170
	v_lshrrev_b32_e32 v7, 4, v42
	s_ashr_i32 s5, s4, 31
	scratch_store_b32 off, v9, off          ; 4-byte Folded Spill
	v_lshlrev_b32_e32 v9, 4, v8
	v_or_b32_e32 v10, 0xf0, v13
	s_lshl_b64 s[4:5], s[4:5], 4
	v_lshlrev_b32_e32 v11, 6, v7
	v_sub_co_u32 v176, vcc_lo, v36, s4
	v_mad_u32_u24 v180, 0x430, v6, v9
	v_mad_u32_u24 v9, 0x430, v6, v10
	v_mul_i32_i24_e32 v10, 0xffffffd0, v7
	v_add_nc_u32_e32 v7, s12, v8
	v_subrev_co_ci_u32_e32 v177, vcc_lo, s5, v37, vcc_lo
	v_sub_co_u32 v200, vcc_lo, 0, v38
	v_sub_co_ci_u32_e32 v201, vcc_lo, 0, v39, vcc_lo
	v_mad_u32_u24 v182, 0x430, v6, v11
	scratch_store_b32 off, v9, off offset:4 ; 4-byte Folded Spill
	s_lshl_b32 s22, s16, 4
	s_mul_i32 s34, s16, 3
	s_ashr_i32 s17, s16, 31
	s_ashr_i32 s35, s34, 31
	s_lshl_b32 s29, s30, 6
	s_lshl_b64 s[12:13], s[34:35], 4
	s_ashr_i32 s23, s22, 31
	s_lshl_b32 s24, s16, 1
	s_mul_i32 s30, s30, s1
	s_lshl_b64 s[8:9], s[16:17], 4
	s_mul_i32 s1, s16, 0x300
	s_add_i32 s15, s26, -2
	s_ashr_i32 s25, s24, 31
	s_lshl_b32 s4, s30, 6
	s_lshl_b64 s[6:7], s[22:23], 6
	s_mul_hi_i32 s5, s22, 48
	v_add_nc_u32_e32 v179, 0x4700, v13
	v_cmp_gt_u32_e64 s0, 64, v42
	v_add_nc_u32_e32 v242, v182, v10
	s_waitcnt vmcnt(0)
	v_lshlrev_b32_e32 v175, 2, v12
	v_lshl_add_u32 v186, v12, 6, 0x4300
	v_mad_u32_u24 v187, 0x10c0, v12, v13
	s_delay_alu instid0(VALU_DEP_3) | instskip(SKIP_2) | instid1(SALU_CYCLE_1)
	v_mad_u64_u32 v[4:5], null, v175, s16, v[170:171]
	v_add3_u32 v171, v7, v6, 64
	s_lshl_b64 s[16:17], s[16:17], 5
	s_add_u32 s30, s16, s18
	s_addc_u32 s31, s17, s19
	s_add_u32 s1, s1, s16
	s_delay_alu instid0(VALU_DEP_2) | instskip(SKIP_1) | instid1(VALU_DEP_1)
	v_ashrrev_i32_e32 v5, 31, v4
	s_addc_u32 s5, s5, s17
	v_lshlrev_b64 v[6:7], 4, v[4:5]
	v_add_co_u32 v4, vcc_lo, s20, v4
	v_add_co_ci_u32_e32 v5, vcc_lo, s21, v5, vcc_lo
	s_delay_alu instid0(VALU_DEP_3) | instskip(NEXT) | instid1(VALU_DEP_2)
	v_add_co_u32 v8, vcc_lo, s18, v6
	v_lshlrev_b64 v[4:5], 4, v[4:5]
	v_add_co_ci_u32_e32 v9, vcc_lo, s19, v7, vcc_lo
	s_delay_alu instid0(VALU_DEP_3) | instskip(NEXT) | instid1(VALU_DEP_2)
	v_add_co_u32 v11, vcc_lo, v8, v40
	v_add_co_ci_u32_e32 v12, vcc_lo, v9, v41, vcc_lo
	s_delay_alu instid0(VALU_DEP_4) | instskip(NEXT) | instid1(VALU_DEP_3)
	v_mad_i64_i32 v[8:9], null, s22, 48, v[4:5]
	v_add_co_u32 v202, vcc_lo, v11, 8
	s_delay_alu instid0(VALU_DEP_3) | instskip(NEXT) | instid1(VALU_DEP_3)
	v_add_co_ci_u32_e32 v203, vcc_lo, 0, v12, vcc_lo
	v_add_co_u32 v11, vcc_lo, v8, s12
	s_delay_alu instid0(VALU_DEP_4) | instskip(NEXT) | instid1(VALU_DEP_2)
	v_add_co_ci_u32_e32 v12, vcc_lo, s13, v9, vcc_lo
	v_add_co_u32 v204, vcc_lo, v40, v11
	s_delay_alu instid0(VALU_DEP_2) | instskip(SKIP_4) | instid1(VALU_DEP_4)
	v_add_co_ci_u32_e32 v205, vcc_lo, v41, v12, vcc_lo
	v_add_co_u32 v11, vcc_lo, s30, v6
	v_add_co_ci_u32_e32 v12, vcc_lo, s31, v7, vcc_lo
	v_add_co_u32 v4, vcc_lo, s1, v4
	;; [unrolled: 2-line block ×3, first 2 shown]
	s_delay_alu instid0(VALU_DEP_4) | instskip(NEXT) | instid1(VALU_DEP_4)
	v_add_co_ci_u32_e32 v207, vcc_lo, v41, v12, vcc_lo
	v_add_co_u32 v4, vcc_lo, v4, v40
	s_add_u32 s1, s8, s18
	v_add_co_ci_u32_e32 v5, vcc_lo, v5, v41, vcc_lo
	s_addc_u32 s5, s9, s19
	v_add_co_u32 v11, vcc_lo, s1, v6
	v_add_co_ci_u32_e32 v12, vcc_lo, s5, v7, vcc_lo
	v_add_co_u32 v208, vcc_lo, v4, 8
	v_add_co_ci_u32_e32 v209, vcc_lo, 0, v5, vcc_lo
	s_delay_alu instid0(VALU_DEP_4) | instskip(NEXT) | instid1(VALU_DEP_4)
	v_add_co_u32 v4, vcc_lo, v11, v40
	v_add_co_ci_u32_e32 v5, vcc_lo, v12, v41, vcc_lo
	s_lshl_b64 s[16:17], s[24:25], 4
	s_delay_alu instid0(VALU_DEP_2) | instskip(SKIP_1) | instid1(VALU_DEP_2)
	v_add_co_u32 v210, vcc_lo, v4, 8
	s_add_u32 s20, s18, s16
	v_add_co_ci_u32_e32 v211, vcc_lo, 0, v5, vcc_lo
	s_addc_u32 s21, s19, s17
	v_add_co_u32 v4, vcc_lo, s20, v6
	v_add_co_ci_u32_e32 v5, vcc_lo, s21, v7, vcc_lo
	v_add_co_u32 v11, vcc_lo, v8, s16
	v_add_co_ci_u32_e32 v12, vcc_lo, s17, v9, vcc_lo
	s_delay_alu instid0(VALU_DEP_4) | instskip(NEXT) | instid1(VALU_DEP_4)
	v_add_co_u32 v4, vcc_lo, v4, v40
	v_add_co_ci_u32_e32 v5, vcc_lo, v5, v41, vcc_lo
	s_delay_alu instid0(VALU_DEP_4) | instskip(NEXT) | instid1(VALU_DEP_4)
	v_add_co_u32 v212, vcc_lo, v40, v11
	v_add_co_ci_u32_e32 v213, vcc_lo, v41, v12, vcc_lo
	s_delay_alu instid0(VALU_DEP_4) | instskip(NEXT) | instid1(VALU_DEP_4)
	v_add_co_u32 v214, vcc_lo, v4, 8
	v_add_co_ci_u32_e32 v215, vcc_lo, 0, v5, vcc_lo
	v_add_co_u32 v4, vcc_lo, v8, s8
	s_add_u32 s20, s18, s12
	v_add_co_ci_u32_e32 v5, vcc_lo, s9, v9, vcc_lo
	s_addc_u32 s21, s19, s13
	v_add_co_u32 v11, vcc_lo, s20, v6
	v_add_co_ci_u32_e32 v12, vcc_lo, s21, v7, vcc_lo
	v_add_co_u32 v216, vcc_lo, v40, v4
	v_add_co_ci_u32_e32 v217, vcc_lo, v41, v5, vcc_lo
	s_delay_alu instid0(VALU_DEP_4) | instskip(NEXT) | instid1(VALU_DEP_4)
	v_add_co_u32 v4, vcc_lo, v11, v40
	v_add_co_ci_u32_e32 v5, vcc_lo, v12, v41, vcc_lo
	s_lshl_b64 s[20:21], s[22:23], 4
	s_delay_alu instid0(VALU_DEP_2) | instskip(SKIP_1) | instid1(VALU_DEP_2)
	v_add_co_u32 v218, vcc_lo, v4, 8
	s_add_u32 s24, s18, s20
	v_add_co_ci_u32_e32 v219, vcc_lo, 0, v5, vcc_lo
	s_addc_u32 s25, s19, s21
	v_add_co_u32 v4, vcc_lo, s24, v6
	v_add_co_ci_u32_e32 v5, vcc_lo, s25, v7, vcc_lo
	v_add_co_u32 v220, vcc_lo, v40, v8
	v_add_co_ci_u32_e32 v221, vcc_lo, v41, v9, vcc_lo
	s_delay_alu instid0(VALU_DEP_4) | instskip(NEXT) | instid1(VALU_DEP_4)
	v_add_co_u32 v4, vcc_lo, v4, v40
	v_add_co_ci_u32_e32 v5, vcc_lo, v5, v41, vcc_lo
	s_lshl_b64 s[22:23], s[22:23], 5
	s_delay_alu instid0(VALU_DEP_2)
	v_add_co_u32 v222, vcc_lo, v4, 8
	s_add_u32 s18, s22, s18
	s_addc_u32 s19, s23, s19
	s_add_u32 s33, s18, s12
	v_add_co_ci_u32_e32 v223, vcc_lo, 0, v5, vcc_lo
	s_addc_u32 s34, s19, s13
	v_add_co_u32 v4, vcc_lo, s33, v6
	s_add_u32 s1, s1, s20
	v_add_co_ci_u32_e32 v5, vcc_lo, s34, v7, vcc_lo
	s_addc_u32 s5, s5, s21
	v_add_co_u32 v8, vcc_lo, s1, v6
	v_add_co_ci_u32_e32 v9, vcc_lo, s5, v7, vcc_lo
	v_add_co_u32 v224, vcc_lo, v40, v4
	v_add_co_ci_u32_e32 v225, vcc_lo, v41, v5, vcc_lo
	s_delay_alu instid0(VALU_DEP_4)
	v_add_co_u32 v4, vcc_lo, v8, v40
	s_add_u32 s1, s30, s22
	v_add_co_ci_u32_e32 v5, vcc_lo, v9, v41, vcc_lo
	s_addc_u32 s5, s31, s23
	v_add_co_u32 v8, vcc_lo, s1, v6
	v_add_co_ci_u32_e32 v9, vcc_lo, s5, v7, vcc_lo
	v_add_co_u32 v226, vcc_lo, v4, 8
	v_add_co_ci_u32_e32 v227, vcc_lo, 0, v5, vcc_lo
	s_delay_alu instid0(VALU_DEP_4)
	;; [unrolled: 9-line block ×4, first 2 shown]
	v_add_co_u32 v232, vcc_lo, v40, v8
	s_add_u32 s1, s30, s20
	v_add_co_ci_u32_e32 v233, vcc_lo, v41, v9, vcc_lo
	s_addc_u32 s5, s31, s21
	v_add_co_u32 v4, vcc_lo, s1, v6
	s_add_u32 s1, s18, s8
	v_add_co_ci_u32_e32 v5, vcc_lo, s5, v7, vcc_lo
	s_addc_u32 s5, s19, s9
	v_add_co_u32 v8, vcc_lo, s1, v6
	v_add_co_ci_u32_e32 v9, vcc_lo, s5, v7, vcc_lo
	v_add_co_u32 v234, vcc_lo, v40, v4
	v_add_co_ci_u32_e32 v235, vcc_lo, v41, v5, vcc_lo
	s_delay_alu instid0(VALU_DEP_4)
	v_add_co_u32 v236, vcc_lo, v40, v8
	s_add_u32 s1, s24, s12
	v_add_co_ci_u32_e32 v237, vcc_lo, v41, v9, vcc_lo
	s_addc_u32 s5, s25, s13
	v_add_co_u32 v4, vcc_lo, s1, v6
	v_add_co_ci_u32_e32 v5, vcc_lo, s5, v7, vcc_lo
	v_add_co_u32 v6, vcc_lo, s18, v6
	v_add_co_ci_u32_e32 v7, vcc_lo, s19, v7, vcc_lo
	s_delay_alu instid0(VALU_DEP_4) | instskip(NEXT) | instid1(VALU_DEP_4)
	v_add_co_u32 v4, vcc_lo, v4, v40
	v_add_co_ci_u32_e32 v5, vcc_lo, v5, v41, vcc_lo
	s_delay_alu instid0(VALU_DEP_4) | instskip(NEXT) | instid1(VALU_DEP_4)
	v_add_co_u32 v6, vcc_lo, v6, v40
	v_add_co_ci_u32_e32 v7, vcc_lo, v7, v41, vcc_lo
	s_delay_alu instid0(VALU_DEP_4)
	v_add_co_u32 v238, vcc_lo, v4, 8
	v_mov_b32_e32 v4, 0
	v_add_co_ci_u32_e32 v239, vcc_lo, 0, v5, vcc_lo
	v_add_co_u32 v240, vcc_lo, v6, 8
	v_or_b32_e32 v181, 2, v175
	v_or_b32_e32 v185, 3, v175
	v_add_nc_u32_e32 v255, 16, v175
	v_add_nc_u32_e32 v169, 17, v175
	;; [unrolled: 1-line block ×12, first 2 shown]
	v_add_co_ci_u32_e32 v241, vcc_lo, 0, v7, vcc_lo
	s_cmp_eq_u32 s15, s14
	s_cselect_b32 s12, s27, 0
	s_and_saveexec_b32 s1, s2
	s_cbranch_execz .LBB22_132
.LBB22_128:
	v_cmp_le_i32_e32 vcc_lo, s12, v170
	s_cmp_lg_u32 s12, 0
	s_cselect_b32 s5, -1, 0
	s_delay_alu instid0(SALU_CYCLE_1) | instskip(NEXT) | instid1(SALU_CYCLE_1)
	s_and_b32 s5, s5, vcc_lo
	s_and_saveexec_b32 s8, s5
	s_delay_alu instid0(SALU_CYCLE_1)
	s_xor_b32 s5, exec_lo, s8
	s_cbranch_execz .LBB22_130
; %bb.129:
	scratch_load_b32 v8, off, off           ; 4-byte Folded Reload
	v_mov_b32_e32 v5, v4
	v_mov_b32_e32 v6, v4
	v_mov_b32_e32 v7, v4
	s_waitcnt vmcnt(0)
	ds_store_b128 v8, v[4:7]
.LBB22_130:
	s_and_not1_saveexec_b32 s5, s5
	s_cbranch_execz .LBB22_132
; %bb.131:
	s_ashr_i32 s5, s4, 31
	s_delay_alu instid0(SALU_CYCLE_1) | instskip(NEXT) | instid1(SALU_CYCLE_1)
	s_lshl_b64 s[8:9], s[4:5], 4
	v_add_co_u32 v5, vcc_lo, v176, s8
	v_add_co_ci_u32_e32 v6, vcc_lo, s9, v177, vcc_lo
	global_load_b128 v[5:8], v[5:6], off
	scratch_load_b32 v9, off, off           ; 4-byte Folded Reload
	s_waitcnt vmcnt(0)
	ds_store_2addr_b64 v9, v[5:6], v[7:8] offset1:1
.LBB22_132:                             ; =>This Inner Loop Header: Depth=1
	s_or_b32 exec_lo, exec_lo, s1
	s_cmp_eq_u32 s12, 0
	v_add_co_u32 v17, vcc_lo, v202, v200
	s_cselect_b32 s5, -1, 0
	s_cmp_lg_u32 s12, 0
	v_add_co_ci_u32_e32 v18, vcc_lo, v203, v201, vcc_lo
	s_cselect_b32 s1, -1, 0
	s_waitcnt lgkmcnt(0)
	s_waitcnt_vscnt null, 0x0
	s_and_b32 vcc_lo, exec_lo, s1
	s_barrier
	buffer_gl0_inv
	s_cbranch_vccz .LBB22_140
; %bb.133:                              ;   in Loop: Header=BB22_132 Depth=1
	v_mov_b32_e32 v5, 0
	v_mov_b32_e32 v6, 0
	s_mov_b32 s8, exec_lo
	s_delay_alu instid0(VALU_DEP_1)
	v_dual_mov_b32 v10, v6 :: v_dual_mov_b32 v9, v5
	v_dual_mov_b32 v12, v6 :: v_dual_mov_b32 v11, v5
	v_cmpx_gt_i32_e64 s12, v175
	s_cbranch_execz .LBB22_135
; %bb.134:                              ;   in Loop: Header=BB22_132 Depth=1
	global_load_b128 v[9:12], v[17:18], off offset:-8
.LBB22_135:                             ;   in Loop: Header=BB22_132 Depth=1
	s_or_b32 exec_lo, exec_lo, s8
	v_or_b32_e32 v7, 1, v175
	s_delay_alu instid0(VALU_DEP_1)
	v_cmp_gt_i32_e32 vcc_lo, s12, v7
	v_dual_mov_b32 v8, v6 :: v_dual_mov_b32 v7, v5
	s_and_saveexec_b32 s8, vcc_lo
	s_cbranch_execz .LBB22_137
; %bb.136:                              ;   in Loop: Header=BB22_132 Depth=1
	v_add_co_u32 v5, vcc_lo, v210, v200
	v_add_co_ci_u32_e32 v6, vcc_lo, v211, v201, vcc_lo
	global_load_b128 v[5:8], v[5:6], off offset:-8
.LBB22_137:                             ;   in Loop: Header=BB22_132 Depth=1
	s_or_b32 exec_lo, exec_lo, s8
	v_mov_b32_e32 v13, 0
	v_mov_b32_e32 v14, 0
	s_mov_b64 s[8:9], 0
	s_mov_b32 s13, exec_lo
	s_delay_alu instid0(VALU_DEP_1)
	v_dual_mov_b32 v16, v14 :: v_dual_mov_b32 v15, v13
	v_cmpx_gt_i32_e64 s12, v181
	s_cbranch_execz .LBB22_139
; %bb.138:                              ;   in Loop: Header=BB22_132 Depth=1
	v_add_co_u32 v13, vcc_lo, v214, v200
	v_add_co_ci_u32_e32 v14, vcc_lo, v215, v201, vcc_lo
	global_load_b128 v[13:16], v[13:14], off offset:-8
.LBB22_139:                             ;   in Loop: Header=BB22_132 Depth=1
	s_or_b32 exec_lo, exec_lo, s13
	v_cmp_gt_i32_e64 s13, s12, v185
	s_branch .LBB22_142
.LBB22_140:                             ;   in Loop: Header=BB22_132 Depth=1
	s_mov_b32 s13, 0
                                        ; implicit-def: $sgpr8_sgpr9
                                        ; implicit-def: $vgpr15_vgpr16
                                        ; implicit-def: $vgpr7_vgpr8
                                        ; implicit-def: $vgpr11_vgpr12
	s_cbranch_execz .LBB22_142
; %bb.141:                              ;   in Loop: Header=BB22_132 Depth=1
	s_waitcnt vmcnt(0)
	v_add_co_u32 v5, vcc_lo, v210, v200
	v_add_co_ci_u32_e32 v6, vcc_lo, v211, v201, vcc_lo
	v_add_co_u32 v13, vcc_lo, v206, v200
	v_add_co_ci_u32_e32 v14, vcc_lo, v207, v201, vcc_lo
	global_load_b128 v[9:12], v[17:18], off offset:-8
	global_load_b128 v[5:8], v[5:6], off offset:-8
	global_load_b128 v[13:16], v[13:14], off
	s_or_b32 s13, s13, exec_lo
                                        ; implicit-def: $sgpr8_sgpr9
.LBB22_142:                             ;   in Loop: Header=BB22_132 Depth=1
	v_dual_mov_b32 v18, s9 :: v_dual_mov_b32 v17, s8
	v_dual_mov_b32 v20, s9 :: v_dual_mov_b32 v19, s8
	s_delay_alu instid0(VALU_DEP_3)
	s_and_saveexec_b32 s8, s13
	s_cbranch_execz .LBB22_144
; %bb.143:                              ;   in Loop: Header=BB22_132 Depth=1
	v_add_co_u32 v17, vcc_lo, v218, v200
	v_add_co_ci_u32_e32 v18, vcc_lo, v219, v201, vcc_lo
	global_load_b128 v[17:20], v[17:18], off offset:-8
.LBB22_144:                             ;   in Loop: Header=BB22_132 Depth=1
	s_or_b32 exec_lo, exec_lo, s8
	ds_load_b128 v[25:28], v179
	ds_load_b128 v[21:24], v186
	v_add_co_u32 v49, vcc_lo, v222, v200
	v_cndmask_b32_e64 v117, 0, 1, s1
	v_add_co_ci_u32_e32 v50, vcc_lo, v223, v201, vcc_lo
	s_and_not1_b32 vcc_lo, exec_lo, s1
	s_waitcnt vmcnt(0) lgkmcnt(1)
	v_mul_f64 v[29:30], v[11:12], v[27:28]
	v_mul_f64 v[31:32], v[11:12], v[25:26]
	;; [unrolled: 1-line block ×8, first 2 shown]
	v_fma_f64 v[29:30], v[9:10], v[25:26], v[29:30]
	v_fma_f64 v[31:32], v[9:10], v[27:28], -v[31:32]
	v_fma_f64 v[37:38], v[5:6], v[25:26], v[33:34]
	v_fma_f64 v[39:40], v[5:6], v[27:28], -v[35:36]
	;; [unrolled: 2-line block ×4, first 2 shown]
	ds_store_b128 v187, v[29:32]
	ds_load_b128 v[33:36], v186 offset:16
	ds_store_b128 v187, v[37:40] offset:1072
	ds_load_b128 v[29:32], v186 offset:32
	ds_store_b128 v187, v[41:44] offset:2144
	;; [unrolled: 2-line block ×3, first 2 shown]
	s_waitcnt lgkmcnt(0)
	s_barrier
	buffer_gl0_inv
	ds_load_b128 v[93:96], v182
	ds_load_b128 v[89:92], v182 offset:16
	ds_load_b128 v[85:88], v182 offset:32
	;; [unrolled: 1-line block ×3, first 2 shown]
	s_waitcnt lgkmcnt(0)
	s_barrier
	buffer_gl0_inv
	s_cbranch_vccnz .LBB22_152
; %bb.145:                              ;   in Loop: Header=BB22_132 Depth=1
	v_mov_b32_e32 v37, 0
	v_mov_b32_e32 v38, 0
	s_mov_b32 s1, exec_lo
	s_delay_alu instid0(VALU_DEP_1)
	v_dual_mov_b32 v42, v38 :: v_dual_mov_b32 v41, v37
	v_dual_mov_b32 v44, v38 :: v_dual_mov_b32 v43, v37
	v_cmpx_gt_i32_e64 s12, v255
	s_cbranch_execz .LBB22_147
; %bb.146:                              ;   in Loop: Header=BB22_132 Depth=1
	global_load_b128 v[41:44], v[49:50], off offset:-8
.LBB22_147:                             ;   in Loop: Header=BB22_132 Depth=1
	s_or_b32 exec_lo, exec_lo, s1
	v_dual_mov_b32 v40, v38 :: v_dual_mov_b32 v39, v37
	s_mov_b32 s1, exec_lo
	v_cmpx_gt_i32_e64 s12, v169
	s_cbranch_execz .LBB22_149
; %bb.148:                              ;   in Loop: Header=BB22_132 Depth=1
	v_add_co_u32 v37, vcc_lo, v226, v200
	v_add_co_ci_u32_e32 v38, vcc_lo, v227, v201, vcc_lo
	global_load_b128 v[37:40], v[37:38], off offset:-8
.LBB22_149:                             ;   in Loop: Header=BB22_132 Depth=1
	s_or_b32 exec_lo, exec_lo, s1
	v_mov_b32_e32 v45, 0
	v_mov_b32_e32 v46, 0
	s_mov_b64 s[8:9], 0
	s_mov_b32 s1, exec_lo
	s_delay_alu instid0(VALU_DEP_1)
	v_dual_mov_b32 v48, v46 :: v_dual_mov_b32 v47, v45
	v_cmpx_gt_i32_e64 s12, v178
	s_cbranch_execz .LBB22_151
; %bb.150:                              ;   in Loop: Header=BB22_132 Depth=1
	v_add_co_u32 v45, vcc_lo, v230, v200
	v_add_co_ci_u32_e32 v46, vcc_lo, v231, v201, vcc_lo
	global_load_b128 v[45:48], v[45:46], off offset:-8
.LBB22_151:                             ;   in Loop: Header=BB22_132 Depth=1
	s_or_b32 exec_lo, exec_lo, s1
	v_cmp_gt_i32_e64 s1, s12, v174
	s_branch .LBB22_154
.LBB22_152:                             ;   in Loop: Header=BB22_132 Depth=1
	s_mov_b32 s1, 0
                                        ; implicit-def: $sgpr8_sgpr9
                                        ; implicit-def: $vgpr47_vgpr48
                                        ; implicit-def: $vgpr39_vgpr40
                                        ; implicit-def: $vgpr43_vgpr44
	s_cbranch_execz .LBB22_154
; %bb.153:                              ;   in Loop: Header=BB22_132 Depth=1
	s_waitcnt vmcnt(0)
	v_add_co_u32 v37, vcc_lo, v226, v200
	v_add_co_ci_u32_e32 v38, vcc_lo, v227, v201, vcc_lo
	v_add_co_u32 v45, vcc_lo, v234, v200
	v_add_co_ci_u32_e32 v46, vcc_lo, v235, v201, vcc_lo
	global_load_b128 v[41:44], v[49:50], off offset:-8
	global_load_b128 v[37:40], v[37:38], off offset:-8
	global_load_b128 v[45:48], v[45:46], off
	s_or_b32 s1, s1, exec_lo
                                        ; implicit-def: $sgpr8_sgpr9
.LBB22_154:                             ;   in Loop: Header=BB22_132 Depth=1
	v_dual_mov_b32 v50, s9 :: v_dual_mov_b32 v49, s8
	v_dual_mov_b32 v52, s9 :: v_dual_mov_b32 v51, s8
	s_delay_alu instid0(VALU_DEP_3)
	s_and_saveexec_b32 s8, s1
	s_cbranch_execz .LBB22_156
; %bb.155:                              ;   in Loop: Header=BB22_132 Depth=1
	v_add_co_u32 v49, vcc_lo, v238, v200
	v_add_co_ci_u32_e32 v50, vcc_lo, v239, v201, vcc_lo
	global_load_b128 v[49:52], v[49:50], off offset:-8
.LBB22_156:                             ;   in Loop: Header=BB22_132 Depth=1
	s_or_b32 exec_lo, exec_lo, s8
	ds_load_b128 v[57:60], v179
	ds_load_b128 v[53:56], v186 offset:256
	v_cmp_ne_u32_e32 vcc_lo, 1, v117
	v_add_co_u32 v97, s1, v240, v200
	s_delay_alu instid0(VALU_DEP_1)
	v_add_co_ci_u32_e64 v98, s1, v241, v201, s1
	s_and_b32 vcc_lo, exec_lo, vcc_lo
	s_waitcnt vmcnt(0) lgkmcnt(1)
	v_mul_f64 v[61:62], v[43:44], v[59:60]
	v_mul_f64 v[63:64], v[43:44], v[57:58]
	;; [unrolled: 1-line block ×8, first 2 shown]
	v_fma_f64 v[61:62], v[41:42], v[57:58], v[61:62]
	v_fma_f64 v[63:64], v[41:42], v[59:60], -v[63:64]
	v_fma_f64 v[69:70], v[37:38], v[57:58], v[65:66]
	v_fma_f64 v[71:72], v[37:38], v[59:60], -v[67:68]
	;; [unrolled: 2-line block ×4, first 2 shown]
	ds_store_b128 v187, v[61:64]
	ds_load_b128 v[65:68], v186 offset:272
	ds_store_b128 v187, v[69:72] offset:1072
	ds_load_b128 v[61:64], v186 offset:288
	ds_store_b128 v187, v[73:76] offset:2144
	;; [unrolled: 2-line block ×3, first 2 shown]
	s_waitcnt lgkmcnt(0)
	s_barrier
	buffer_gl0_inv
	ds_load_b128 v[141:144], v182
	ds_load_b128 v[137:140], v182 offset:16
	ds_load_b128 v[133:136], v182 offset:32
	ds_load_b128 v[129:132], v182 offset:48
	s_waitcnt lgkmcnt(0)
	s_barrier
	buffer_gl0_inv
	s_cbranch_vccnz .LBB22_164
; %bb.157:                              ;   in Loop: Header=BB22_132 Depth=1
	v_mov_b32_e32 v69, 0
	v_mov_b32_e32 v70, 0
	s_mov_b32 s1, exec_lo
	s_delay_alu instid0(VALU_DEP_1)
	v_dual_mov_b32 v74, v70 :: v_dual_mov_b32 v73, v69
	v_dual_mov_b32 v76, v70 :: v_dual_mov_b32 v75, v69
	v_cmpx_gt_i32_e64 s12, v192
	s_cbranch_execz .LBB22_159
; %bb.158:                              ;   in Loop: Header=BB22_132 Depth=1
	global_load_b128 v[73:76], v[97:98], off offset:-8
.LBB22_159:                             ;   in Loop: Header=BB22_132 Depth=1
	s_or_b32 exec_lo, exec_lo, s1
	v_dual_mov_b32 v72, v70 :: v_dual_mov_b32 v71, v69
	s_mov_b32 s1, exec_lo
	v_cmpx_gt_i32_e64 s12, v193
	s_cbranch_execz .LBB22_161
; %bb.160:                              ;   in Loop: Header=BB22_132 Depth=1
	v_add_co_u32 v69, vcc_lo, v236, v200
	v_add_co_ci_u32_e32 v70, vcc_lo, v237, v201, vcc_lo
	global_load_b128 v[69:72], v[69:70], off
.LBB22_161:                             ;   in Loop: Header=BB22_132 Depth=1
	s_or_b32 exec_lo, exec_lo, s1
	v_mov_b32_e32 v77, 0
	v_mov_b32_e32 v78, 0
	s_mov_b64 s[8:9], 0
	s_mov_b32 s1, exec_lo
	s_delay_alu instid0(VALU_DEP_1)
	v_dual_mov_b32 v80, v78 :: v_dual_mov_b32 v79, v77
	v_cmpx_gt_i32_e64 s12, v194
	s_cbranch_execz .LBB22_163
; %bb.162:                              ;   in Loop: Header=BB22_132 Depth=1
	v_add_co_u32 v77, vcc_lo, v232, v200
	v_add_co_ci_u32_e32 v78, vcc_lo, v233, v201, vcc_lo
	global_load_b128 v[77:80], v[77:78], off
.LBB22_163:                             ;   in Loop: Header=BB22_132 Depth=1
	s_or_b32 exec_lo, exec_lo, s1
	v_cmp_gt_i32_e64 s1, s12, v195
	s_branch .LBB22_166
.LBB22_164:                             ;   in Loop: Header=BB22_132 Depth=1
	s_mov_b32 s1, 0
                                        ; implicit-def: $sgpr8_sgpr9
                                        ; implicit-def: $vgpr79_vgpr80
                                        ; implicit-def: $vgpr71_vgpr72
                                        ; implicit-def: $vgpr75_vgpr76
	s_cbranch_execz .LBB22_166
; %bb.165:                              ;   in Loop: Header=BB22_132 Depth=1
	s_waitcnt vmcnt(0)
	v_add_co_u32 v69, vcc_lo, v236, v200
	v_add_co_ci_u32_e32 v70, vcc_lo, v237, v201, vcc_lo
	v_add_co_u32 v77, vcc_lo, v228, v200
	v_add_co_ci_u32_e32 v78, vcc_lo, v229, v201, vcc_lo
	global_load_b128 v[73:76], v[97:98], off offset:-8
	global_load_b128 v[69:72], v[69:70], off
	global_load_b128 v[77:80], v[77:78], off offset:-8
	s_or_b32 s1, s1, exec_lo
                                        ; implicit-def: $sgpr8_sgpr9
.LBB22_166:                             ;   in Loop: Header=BB22_132 Depth=1
	v_dual_mov_b32 v98, s9 :: v_dual_mov_b32 v97, s8
	v_dual_mov_b32 v100, s9 :: v_dual_mov_b32 v99, s8
	s_delay_alu instid0(VALU_DEP_3)
	s_and_saveexec_b32 s8, s1
	s_cbranch_execz .LBB22_168
; %bb.167:                              ;   in Loop: Header=BB22_132 Depth=1
	v_add_co_u32 v97, vcc_lo, v224, v200
	v_add_co_ci_u32_e32 v98, vcc_lo, v225, v201, vcc_lo
	global_load_b128 v[97:100], v[97:98], off
.LBB22_168:                             ;   in Loop: Header=BB22_132 Depth=1
	s_or_b32 exec_lo, exec_lo, s8
	ds_load_b128 v[105:108], v179
	ds_load_b128 v[101:104], v186 offset:512
	v_cmp_ne_u32_e32 vcc_lo, 1, v117
	s_and_b32 vcc_lo, exec_lo, vcc_lo
	s_waitcnt vmcnt(0) lgkmcnt(1)
	v_mul_f64 v[109:110], v[75:76], v[107:108]
	v_mul_f64 v[111:112], v[75:76], v[105:106]
	v_mul_f64 v[113:114], v[71:72], v[107:108]
	v_mul_f64 v[115:116], v[71:72], v[105:106]
	v_mul_f64 v[122:123], v[79:80], v[107:108]
	v_mul_f64 v[124:125], v[79:80], v[105:106]
	v_mul_f64 v[126:127], v[99:100], v[107:108]
	v_mul_f64 v[147:148], v[99:100], v[105:106]
	v_fma_f64 v[109:110], v[73:74], v[105:106], v[109:110]
	v_fma_f64 v[111:112], v[73:74], v[107:108], -v[111:112]
	v_fma_f64 v[118:119], v[69:70], v[105:106], v[113:114]
	v_fma_f64 v[120:121], v[69:70], v[107:108], -v[115:116]
	;; [unrolled: 2-line block ×4, first 2 shown]
	ds_store_b128 v187, v[109:112]
	ds_load_b128 v[113:116], v186 offset:528
	ds_store_b128 v187, v[118:121] offset:1072
	ds_load_b128 v[109:112], v186 offset:544
	ds_store_b128 v187, v[122:125] offset:2144
	;; [unrolled: 2-line block ×3, first 2 shown]
	s_waitcnt lgkmcnt(0)
	s_barrier
	buffer_gl0_inv
	ds_load_b128 v[165:168], v182
	ds_load_b128 v[161:164], v182 offset:16
	ds_load_b128 v[153:156], v182 offset:32
	;; [unrolled: 1-line block ×3, first 2 shown]
	v_add_co_u32 v145, s1, v220, v200
	s_delay_alu instid0(VALU_DEP_1)
	v_add_co_ci_u32_e64 v146, s1, v221, v201, s1
	s_waitcnt lgkmcnt(0)
	s_barrier
	buffer_gl0_inv
	s_cbranch_vccnz .LBB22_176
; %bb.169:                              ;   in Loop: Header=BB22_132 Depth=1
	v_mov_b32_e32 v117, 0
	v_mov_b32_e32 v118, 0
	s_mov_b32 s1, exec_lo
	s_delay_alu instid0(VALU_DEP_1)
	v_dual_mov_b32 v122, v118 :: v_dual_mov_b32 v121, v117
	v_dual_mov_b32 v124, v118 :: v_dual_mov_b32 v123, v117
	v_cmpx_gt_i32_e64 s12, v196
	s_cbranch_execz .LBB22_171
; %bb.170:                              ;   in Loop: Header=BB22_132 Depth=1
	global_load_b128 v[121:124], v[145:146], off
.LBB22_171:                             ;   in Loop: Header=BB22_132 Depth=1
	s_or_b32 exec_lo, exec_lo, s1
	v_dual_mov_b32 v120, v118 :: v_dual_mov_b32 v119, v117
	s_mov_b32 s1, exec_lo
	v_cmpx_gt_i32_e64 s12, v197
	s_cbranch_execz .LBB22_173
; %bb.172:                              ;   in Loop: Header=BB22_132 Depth=1
	v_add_co_u32 v117, vcc_lo, v216, v200
	v_add_co_ci_u32_e32 v118, vcc_lo, v217, v201, vcc_lo
	global_load_b128 v[117:120], v[117:118], off
.LBB22_173:                             ;   in Loop: Header=BB22_132 Depth=1
	s_or_b32 exec_lo, exec_lo, s1
	v_mov_b32_e32 v125, 0
	v_mov_b32_e32 v126, 0
	s_mov_b64 s[8:9], 0
	s_mov_b32 s1, exec_lo
	s_delay_alu instid0(VALU_DEP_1)
	v_dual_mov_b32 v128, v126 :: v_dual_mov_b32 v127, v125
	v_cmpx_gt_i32_e64 s12, v198
	s_cbranch_execz .LBB22_175
; %bb.174:                              ;   in Loop: Header=BB22_132 Depth=1
	v_add_co_u32 v125, vcc_lo, v212, v200
	v_add_co_ci_u32_e32 v126, vcc_lo, v213, v201, vcc_lo
	global_load_b128 v[125:128], v[125:126], off
.LBB22_175:                             ;   in Loop: Header=BB22_132 Depth=1
	s_or_b32 exec_lo, exec_lo, s1
	v_cmp_gt_i32_e64 s1, s12, v199
	s_branch .LBB22_178
.LBB22_176:                             ;   in Loop: Header=BB22_132 Depth=1
	s_mov_b32 s1, 0
                                        ; implicit-def: $sgpr8_sgpr9
                                        ; implicit-def: $vgpr127_vgpr128
                                        ; implicit-def: $vgpr119_vgpr120
                                        ; implicit-def: $vgpr123_vgpr124
	s_cbranch_execz .LBB22_178
; %bb.177:                              ;   in Loop: Header=BB22_132 Depth=1
	s_waitcnt vmcnt(0)
	v_add_co_u32 v117, vcc_lo, v216, v200
	v_add_co_ci_u32_e32 v118, vcc_lo, v217, v201, vcc_lo
	v_add_co_u32 v125, vcc_lo, v208, v200
	v_add_co_ci_u32_e32 v126, vcc_lo, v209, v201, vcc_lo
	global_load_b128 v[121:124], v[145:146], off
	global_load_b128 v[117:120], v[117:118], off
	global_load_b128 v[125:128], v[125:126], off offset:-8
	s_or_b32 s1, s1, exec_lo
                                        ; implicit-def: $sgpr8_sgpr9
.LBB22_178:                             ;   in Loop: Header=BB22_132 Depth=1
	v_dual_mov_b32 v146, s9 :: v_dual_mov_b32 v145, s8
	v_dual_mov_b32 v148, s9 :: v_dual_mov_b32 v147, s8
	s_delay_alu instid0(VALU_DEP_3)
	s_and_saveexec_b32 s8, s1
	s_cbranch_execz .LBB22_180
; %bb.179:                              ;   in Loop: Header=BB22_132 Depth=1
	v_add_co_u32 v145, vcc_lo, v204, v200
	v_add_co_ci_u32_e32 v146, vcc_lo, v205, v201, vcc_lo
	global_load_b128 v[145:148], v[145:146], off
.LBB22_180:                             ;   in Loop: Header=BB22_132 Depth=1
	s_or_b32 exec_lo, exec_lo, s8
	v_add_f64 v[93:94], v[93:94], 0
	v_add_f64 v[95:96], v[95:96], 0
	ds_load_b128 v[243:246], v179
	ds_load_b128 v[157:160], v186 offset:768
	v_add_f64 v[165:166], v[165:166], 0
	v_add_f64 v[167:168], v[167:168], 0
	v_cmp_gt_i32_e32 vcc_lo, s12, v170
	s_or_b32 s1, s5, vcc_lo
	s_delay_alu instid0(SALU_CYCLE_1)
	s_and_b32 s5, s0, s1
	s_waitcnt vmcnt(0) lgkmcnt(1)
	v_mul_f64 v[188:189], v[123:124], v[245:246]
	v_mul_f64 v[190:191], v[123:124], v[243:244]
	;; [unrolled: 1-line block ×4, first 2 shown]
	v_add_f64 v[89:90], v[93:94], v[89:90]
	v_add_f64 v[91:92], v[95:96], v[91:92]
	;; [unrolled: 1-line block ×4, first 2 shown]
	v_fma_f64 v[247:248], v[121:122], v[243:244], v[188:189]
	v_fma_f64 v[249:250], v[121:122], v[245:246], -v[190:191]
	v_mul_f64 v[188:189], v[119:120], v[245:246]
	v_mul_f64 v[190:191], v[119:120], v[243:244]
	v_add_f64 v[85:86], v[89:90], v[85:86]
	v_add_f64 v[87:88], v[91:92], v[87:88]
	;; [unrolled: 1-line block ×4, first 2 shown]
	ds_store_b128 v187, v[247:250]
	v_fma_f64 v[251:252], v[117:118], v[243:244], v[188:189]
	v_fma_f64 v[253:254], v[117:118], v[245:246], -v[190:191]
	v_mul_f64 v[188:189], v[127:128], v[245:246]
	v_mul_f64 v[190:191], v[127:128], v[243:244]
	ds_load_b128 v[89:92], v186 offset:784
	v_add_f64 v[93:94], v[85:86], v[81:82]
	v_add_f64 v[95:96], v[87:88], v[83:84]
	;; [unrolled: 1-line block ×6, first 2 shown]
	ds_store_b128 v187, v[251:254] offset:1072
	v_fma_f64 v[188:189], v[125:126], v[243:244], v[188:189]
	v_fma_f64 v[190:191], v[125:126], v[245:246], -v[190:191]
	v_fma_f64 v[243:244], v[145:146], v[243:244], v[183:184]
	v_fma_f64 v[245:246], v[145:146], v[245:246], -v[172:173]
	ds_load_b128 v[85:88], v186 offset:800
	v_add_f64 v[81:82], v[81:82], v[137:138]
	v_add_f64 v[83:84], v[83:84], v[139:140]
	ds_store_b128 v187, v[188:191] offset:2144
	v_add_f64 v[81:82], v[81:82], v[133:134]
	v_add_f64 v[83:84], v[83:84], v[135:136]
	s_delay_alu instid0(VALU_DEP_2) | instskip(NEXT) | instid1(VALU_DEP_2)
	v_add_f64 v[129:130], v[81:82], v[129:130]
	v_add_f64 v[131:132], v[83:84], v[131:132]
	ds_load_b128 v[81:84], v186 offset:816
	ds_store_b128 v187, v[243:246] offset:3216
	s_waitcnt lgkmcnt(0)
	s_barrier
	buffer_gl0_inv
	ds_load_b128 v[133:136], v182
	ds_load_b128 v[137:140], v182 offset:16
	s_waitcnt lgkmcnt(1)
	v_add_f64 v[133:134], v[133:134], 0
	v_add_f64 v[135:136], v[135:136], 0
	s_waitcnt lgkmcnt(0)
	s_delay_alu instid0(VALU_DEP_2) | instskip(NEXT) | instid1(VALU_DEP_2)
	v_add_f64 v[141:142], v[133:134], v[137:138]
	v_add_f64 v[143:144], v[135:136], v[139:140]
	ds_load_b128 v[133:136], v182 offset:32
	ds_load_b128 v[137:140], v182 offset:48
	s_waitcnt lgkmcnt(0)
	s_barrier
	buffer_gl0_inv
	ds_store_b128 v242, v[93:96]
	ds_store_b128 v242, v[129:132] offset:256
	ds_store_b128 v242, v[149:152] offset:512
	v_add_f64 v[133:134], v[141:142], v[133:134]
	v_add_f64 v[135:136], v[143:144], v[135:136]
	s_delay_alu instid0(VALU_DEP_2) | instskip(NEXT) | instid1(VALU_DEP_2)
	v_add_f64 v[133:134], v[133:134], v[137:138]
	v_add_f64 v[135:136], v[135:136], v[139:140]
	ds_store_b128 v242, v[133:136] offset:768
	s_waitcnt lgkmcnt(0)
	s_barrier
	buffer_gl0_inv
	s_and_saveexec_b32 s1, s5
	s_cbranch_execz .LBB22_182
; %bb.181:                              ;   in Loop: Header=BB22_132 Depth=1
	ds_load_b128 v[93:96], v180
	ds_load_b128 v[129:132], v180 offset:16
	v_ashrrev_i32_e32 v172, 31, v171
	s_waitcnt lgkmcnt(0)
	v_add_f64 v[133:134], v[129:130], v[93:94]
	v_add_f64 v[135:136], v[131:132], v[95:96]
	ds_load_b128 v[93:96], v180 offset:32
	ds_load_b128 v[129:132], v180 offset:48
	s_waitcnt lgkmcnt(1)
	v_add_f64 v[93:94], v[133:134], v[93:94]
	v_add_f64 v[95:96], v[135:136], v[95:96]
	s_waitcnt lgkmcnt(0)
	s_delay_alu instid0(VALU_DEP_2) | instskip(NEXT) | instid1(VALU_DEP_2)
	v_add_f64 v[133:134], v[93:94], v[129:130]
	v_add_f64 v[135:136], v[95:96], v[131:132]
	ds_load_b128 v[93:96], v180 offset:64
	ds_load_b128 v[129:132], v180 offset:80
	s_waitcnt lgkmcnt(1)
	v_add_f64 v[93:94], v[133:134], v[93:94]
	v_add_f64 v[95:96], v[135:136], v[95:96]
	s_waitcnt lgkmcnt(0)
	s_delay_alu instid0(VALU_DEP_2) | instskip(NEXT) | instid1(VALU_DEP_2)
	;; [unrolled: 9-line block ×5, first 2 shown]
	v_add_f64 v[133:134], v[93:94], v[129:130]
	v_add_f64 v[135:136], v[95:96], v[131:132]
	ds_load_b128 v[93:96], v180 offset:192
	ds_load_b128 v[129:132], v180 offset:208
	s_waitcnt lgkmcnt(1)
	v_add_f64 v[93:94], v[133:134], v[93:94]
	v_add_f64 v[95:96], v[135:136], v[95:96]
	s_waitcnt lgkmcnt(0)
	s_delay_alu instid0(VALU_DEP_2)
	v_add_f64 v[133:134], v[93:94], v[129:130]
	scratch_load_b32 v129, off, off offset:4 ; 4-byte Folded Reload
	v_add_f64 v[135:136], v[95:96], v[131:132]
	ds_load_b128 v[93:96], v180 offset:224
	s_waitcnt vmcnt(0)
	ds_load_b128 v[129:132], v129
	s_waitcnt lgkmcnt(1)
	v_add_f64 v[93:94], v[133:134], v[93:94]
	v_add_f64 v[95:96], v[135:136], v[95:96]
	s_waitcnt lgkmcnt(0)
	s_delay_alu instid0(VALU_DEP_2) | instskip(NEXT) | instid1(VALU_DEP_2)
	v_add_f64 v[93:94], v[93:94], v[129:130]
	v_add_f64 v[95:96], v[95:96], v[131:132]
	v_lshlrev_b64 v[129:130], 4, v[171:172]
	s_delay_alu instid0(VALU_DEP_1) | instskip(NEXT) | instid1(VALU_DEP_2)
	v_add_co_u32 v129, vcc_lo, s3, v129
	v_add_co_ci_u32_e32 v130, vcc_lo, s11, v130, vcc_lo
	global_store_b128 v[129:130], v[93:96], off
.LBB22_182:                             ;   in Loop: Header=BB22_132 Depth=1
	s_or_b32 exec_lo, exec_lo, s1
	v_mul_f64 v[93:94], v[11:12], v[23:24]
	v_mul_f64 v[23:24], v[9:10], v[23:24]
	;; [unrolled: 1-line block ×4, first 2 shown]
	v_add_co_u32 v202, vcc_lo, v202, s6
	v_add_co_ci_u32_e32 v203, vcc_lo, s7, v203, vcc_lo
	v_add_co_u32 v204, vcc_lo, v204, s6
	v_add_co_ci_u32_e32 v205, vcc_lo, s7, v205, vcc_lo
	;; [unrolled: 2-line block ×8, first 2 shown]
	v_add_co_u32 v218, vcc_lo, v218, s6
	v_fma_f64 v[9:10], v[9:10], v[21:22], -v[93:94]
	v_fma_f64 v[11:12], v[11:12], v[21:22], v[23:24]
	v_mul_f64 v[21:22], v[15:16], v[31:32]
	v_mul_f64 v[23:24], v[13:14], v[31:32]
	v_fma_f64 v[5:6], v[5:6], v[33:34], -v[95:96]
	v_fma_f64 v[7:8], v[7:8], v[33:34], v[35:36]
	v_add_co_ci_u32_e32 v219, vcc_lo, s7, v219, vcc_lo
	v_add_co_u32 v220, vcc_lo, v220, s6
	v_add_co_ci_u32_e32 v221, vcc_lo, s7, v221, vcc_lo
	v_add_co_u32 v222, vcc_lo, v222, s6
	;; [unrolled: 2-line block ×8, first 2 shown]
	v_add_f64 v[0:1], v[0:1], v[9:10]
	v_add_f64 v[2:3], v[2:3], v[11:12]
	v_mul_f64 v[9:10], v[19:20], v[27:28]
	v_mul_f64 v[11:12], v[17:18], v[27:28]
	v_fma_f64 v[13:14], v[13:14], v[29:30], -v[21:22]
	v_fma_f64 v[15:16], v[15:16], v[29:30], v[23:24]
	v_add_co_ci_u32_e32 v235, vcc_lo, s7, v235, vcc_lo
	v_add_co_u32 v236, vcc_lo, v236, s6
	v_add_co_ci_u32_e32 v237, vcc_lo, s7, v237, vcc_lo
	v_add_co_u32 v238, vcc_lo, v238, s6
	;; [unrolled: 2-line block ×3, first 2 shown]
	v_add_nc_u32_e32 v171, 64, v171
	v_add_co_ci_u32_e32 v241, vcc_lo, s7, v241, vcc_lo
	s_add_i32 s5, s14, 2
	s_add_i32 s1, s14, 1
	s_add_i32 s4, s4, s29
	s_cmp_ge_u32 s5, s26
	s_waitcnt_vscnt null, 0x0
	s_barrier
	buffer_gl0_inv
	v_add_f64 v[0:1], v[0:1], v[5:6]
	v_add_f64 v[2:3], v[2:3], v[7:8]
	v_mul_f64 v[5:6], v[43:44], v[55:56]
	v_mul_f64 v[7:8], v[41:42], v[55:56]
	v_fma_f64 v[9:10], v[17:18], v[25:26], -v[9:10]
	v_fma_f64 v[11:12], v[19:20], v[25:26], v[11:12]
	v_add_f64 v[0:1], v[0:1], v[13:14]
	v_add_f64 v[2:3], v[2:3], v[15:16]
	v_mul_f64 v[13:14], v[39:40], v[67:68]
	v_mul_f64 v[15:16], v[37:38], v[67:68]
	v_fma_f64 v[5:6], v[41:42], v[53:54], -v[5:6]
	v_fma_f64 v[7:8], v[43:44], v[53:54], v[7:8]
	;; [unrolled: 6-line block ×12, first 2 shown]
	v_add_f64 v[0:1], v[0:1], v[5:6]
	v_add_f64 v[2:3], v[2:3], v[7:8]
	v_fma_f64 v[5:6], v[145:146], v[81:82], -v[9:10]
	v_fma_f64 v[7:8], v[147:148], v[81:82], v[11:12]
	s_delay_alu instid0(VALU_DEP_4) | instskip(NEXT) | instid1(VALU_DEP_4)
	v_add_f64 v[0:1], v[0:1], v[13:14]
	v_add_f64 v[2:3], v[2:3], v[15:16]
	s_delay_alu instid0(VALU_DEP_2) | instskip(NEXT) | instid1(VALU_DEP_2)
	v_add_f64 v[0:1], v[0:1], v[5:6]
	v_add_f64 v[2:3], v[2:3], v[7:8]
	s_cbranch_scc1 .LBB22_184
; %bb.183:                              ;   in Loop: Header=BB22_132 Depth=1
	s_mov_b32 s14, s1
	s_delay_alu instid0(SALU_CYCLE_1)
	s_cmp_eq_u32 s15, s14
	s_cselect_b32 s12, s27, 0
	s_and_saveexec_b32 s1, s2
	s_cbranch_execnz .LBB22_128
	s_branch .LBB22_132
.LBB22_184:
	scratch_load_b32 v4, off, off offset:8  ; 4-byte Folded Reload
	v_lshlrev_b32_e32 v12, 4, v170
	v_cmp_gt_i32_e32 vcc_lo, s10, v170
	s_or_b32 s0, s28, vcc_lo
	s_delay_alu instid0(SALU_CYCLE_1)
	s_and_b32 s0, s2, s0
	s_waitcnt vmcnt(0)
	v_mad_u32_u24 v4, 0x430, v4, v12
	ds_store_b128 v4, v[0:3]
	s_waitcnt lgkmcnt(0)
	s_barrier
	buffer_gl0_inv
	s_and_saveexec_b32 s1, s0
	s_cbranch_execz .LBB22_186
; %bb.185:
	ds_load_b128 v[0:3], v12 offset:1072
	ds_load_b128 v[4:7], v12
	s_waitcnt lgkmcnt(0)
	v_add_f64 v[8:9], v[0:1], v[4:5]
	v_add_f64 v[10:11], v[2:3], v[6:7]
	ds_load_b128 v[0:3], v12 offset:2144
	ds_load_b128 v[4:7], v12 offset:3216
	s_waitcnt lgkmcnt(1)
	v_add_f64 v[0:1], v[8:9], v[0:1]
	v_add_f64 v[2:3], v[10:11], v[2:3]
	s_waitcnt lgkmcnt(0)
	s_delay_alu instid0(VALU_DEP_2) | instskip(SKIP_4) | instid1(VALU_DEP_1)
	v_add_f64 v[0:1], v[0:1], v[4:5]
	scratch_load_b64 v[4:5], off, off offset:12 ; 8-byte Folded Reload
	v_add_f64 v[2:3], v[2:3], v[6:7]
	s_waitcnt vmcnt(0)
	v_ashrrev_i32_e32 v5, 31, v4
	v_lshlrev_b64 v[4:5], 4, v[4:5]
	s_delay_alu instid0(VALU_DEP_1) | instskip(NEXT) | instid1(VALU_DEP_2)
	v_add_co_u32 v4, vcc_lo, s3, v4
	v_add_co_ci_u32_e32 v5, vcc_lo, s11, v5, vcc_lo
	global_store_b128 v[4:5], v[0:3], off
.LBB22_186:
	s_nop 0
	s_sendmsg sendmsg(MSG_DEALLOC_VGPRS)
	s_endpgm
	.section	.rodata,"a",@progbits
	.p2align	6, 0x0
	.amdhsa_kernel _ZL26rocblas_hemvn_kernel_upperILb1ELi64ELi4ELi33ELi32ELi16Ei19rocblas_complex_numIdEPKS1_PS1_EviT6_lT7_lT5_lS6_lS7_lS5_lT8_i
		.amdhsa_group_segment_fixed_size 19200
		.amdhsa_private_segment_fixed_size 24
		.amdhsa_kernarg_size 392
		.amdhsa_user_sgpr_count 14
		.amdhsa_user_sgpr_dispatch_ptr 0
		.amdhsa_user_sgpr_queue_ptr 0
		.amdhsa_user_sgpr_kernarg_segment_ptr 1
		.amdhsa_user_sgpr_dispatch_id 0
		.amdhsa_user_sgpr_private_segment_size 0
		.amdhsa_wavefront_size32 1
		.amdhsa_uses_dynamic_stack 0
		.amdhsa_enable_private_segment 1
		.amdhsa_system_sgpr_workgroup_id_x 1
		.amdhsa_system_sgpr_workgroup_id_y 0
		.amdhsa_system_sgpr_workgroup_id_z 1
		.amdhsa_system_sgpr_workgroup_info 0
		.amdhsa_system_vgpr_workitem_id 1
		.amdhsa_next_free_vgpr 256
		.amdhsa_next_free_sgpr 36
		.amdhsa_reserve_vcc 1
		.amdhsa_float_round_mode_32 0
		.amdhsa_float_round_mode_16_64 0
		.amdhsa_float_denorm_mode_32 3
		.amdhsa_float_denorm_mode_16_64 3
		.amdhsa_dx10_clamp 1
		.amdhsa_ieee_mode 1
		.amdhsa_fp16_overflow 0
		.amdhsa_workgroup_processor_mode 1
		.amdhsa_memory_ordered 1
		.amdhsa_forward_progress 0
		.amdhsa_shared_vgpr_count 0
		.amdhsa_exception_fp_ieee_invalid_op 0
		.amdhsa_exception_fp_denorm_src 0
		.amdhsa_exception_fp_ieee_div_zero 0
		.amdhsa_exception_fp_ieee_overflow 0
		.amdhsa_exception_fp_ieee_underflow 0
		.amdhsa_exception_fp_ieee_inexact 0
		.amdhsa_exception_int_div_zero 0
	.end_amdhsa_kernel
	.section	.text._ZL26rocblas_hemvn_kernel_upperILb1ELi64ELi4ELi33ELi32ELi16Ei19rocblas_complex_numIdEPKS1_PS1_EviT6_lT7_lT5_lS6_lS7_lS5_lT8_i,"axG",@progbits,_ZL26rocblas_hemvn_kernel_upperILb1ELi64ELi4ELi33ELi32ELi16Ei19rocblas_complex_numIdEPKS1_PS1_EviT6_lT7_lT5_lS6_lS7_lS5_lT8_i,comdat
.Lfunc_end22:
	.size	_ZL26rocblas_hemvn_kernel_upperILb1ELi64ELi4ELi33ELi32ELi16Ei19rocblas_complex_numIdEPKS1_PS1_EviT6_lT7_lT5_lS6_lS7_lS5_lT8_i, .Lfunc_end22-_ZL26rocblas_hemvn_kernel_upperILb1ELi64ELi4ELi33ELi32ELi16Ei19rocblas_complex_numIdEPKS1_PS1_EviT6_lT7_lT5_lS6_lS7_lS5_lT8_i
                                        ; -- End function
	.section	.AMDGPU.csdata,"",@progbits
; Kernel info:
; codeLenInByte = 13000
; NumSgprs: 38
; NumVgprs: 256
; ScratchSize: 24
; MemoryBound: 1
; FloatMode: 240
; IeeeMode: 1
; LDSByteSize: 19200 bytes/workgroup (compile time only)
; SGPRBlocks: 4
; VGPRBlocks: 31
; NumSGPRsForWavesPerEU: 38
; NumVGPRsForWavesPerEU: 256
; Occupancy: 5
; WaveLimiterHint : 1
; COMPUTE_PGM_RSRC2:SCRATCH_EN: 1
; COMPUTE_PGM_RSRC2:USER_SGPR: 14
; COMPUTE_PGM_RSRC2:TRAP_HANDLER: 0
; COMPUTE_PGM_RSRC2:TGID_X_EN: 1
; COMPUTE_PGM_RSRC2:TGID_Y_EN: 0
; COMPUTE_PGM_RSRC2:TGID_Z_EN: 1
; COMPUTE_PGM_RSRC2:TIDIG_COMP_CNT: 1
	.section	.text._ZL36rocblas_hemvn_kernel_upper_block_sumILi64Ei19rocblas_complex_numIdEPS1_S1_EviT1_lS3_lT2_lT0_lPT3_i,"axG",@progbits,_ZL36rocblas_hemvn_kernel_upper_block_sumILi64Ei19rocblas_complex_numIdEPS1_S1_EviT1_lS3_lT2_lT0_lPT3_i,comdat
	.globl	_ZL36rocblas_hemvn_kernel_upper_block_sumILi64Ei19rocblas_complex_numIdEPS1_S1_EviT1_lS3_lT2_lT0_lPT3_i ; -- Begin function _ZL36rocblas_hemvn_kernel_upper_block_sumILi64Ei19rocblas_complex_numIdEPS1_S1_EviT1_lS3_lT2_lT0_lPT3_i
	.p2align	8
	.type	_ZL36rocblas_hemvn_kernel_upper_block_sumILi64Ei19rocblas_complex_numIdEPS1_S1_EviT1_lS3_lT2_lT0_lPT3_i,@function
_ZL36rocblas_hemvn_kernel_upper_block_sumILi64Ei19rocblas_complex_numIdEPS1_S1_EviT1_lS3_lT2_lT0_lPT3_i: ; @_ZL36rocblas_hemvn_kernel_upper_block_sumILi64Ei19rocblas_complex_numIdEPS1_S1_EviT1_lS3_lT2_lT0_lPT3_i
; %bb.0:
	s_clause 0x1
	s_load_b128 s[8:11], s[0:1], 0x8
	s_load_b128 s[4:7], s[0:1], 0x20
	s_waitcnt lgkmcnt(0)
	v_cmp_neq_f64_e64 s2, s[8:9], 0
	v_cmp_neq_f64_e64 s3, s[10:11], 0
	s_delay_alu instid0(VALU_DEP_1)
	s_or_b32 s2, s2, s3
	s_mov_b32 s3, -1
	s_and_b32 vcc_lo, exec_lo, s2
	s_cbranch_vccnz .LBB23_2
; %bb.1:
	v_cmp_neq_f64_e64 s3, s[4:5], 1.0
	v_cmp_neq_f64_e64 s12, s[6:7], 0
	s_delay_alu instid0(VALU_DEP_1)
	s_or_b32 s3, s3, s12
.LBB23_2:
	s_delay_alu instid0(SALU_CYCLE_1)
	s_and_not1_b32 vcc_lo, exec_lo, s3
	s_cbranch_vccnz .LBB23_22
; %bb.3:
	s_clause 0x3
	s_load_b128 s[16:19], s[0:1], 0x50
	s_load_b128 s[24:27], s[0:1], 0x38
	s_load_b32 s20, s[0:1], 0x48
	s_load_b32 s12, s[0:1], 0x0
	s_xor_b32 s13, s2, -1
	v_lshl_or_b32 v4, s14, 6, v0
	s_waitcnt lgkmcnt(0)
	s_mul_i32 s3, s15, s17
	s_mul_hi_u32 s17, s15, s16
	s_mul_i32 s2, s15, s16
	s_add_i32 s3, s17, s3
	s_delay_alu instid0(SALU_CYCLE_1) | instskip(NEXT) | instid1(SALU_CYCLE_1)
	s_lshl_b64 s[2:3], s[2:3], 4
	s_add_u32 s21, s24, s2
	s_addc_u32 s22, s25, s3
	s_lshl_b64 s[16:17], s[26:27], 4
	v_cmp_gt_i32_e64 s2, s12, v4
	s_add_u32 s3, s21, s16
	s_addc_u32 s16, s22, s17
	s_and_not1_b32 vcc_lo, exec_lo, s13
	s_mov_b32 s17, 0
	s_cbranch_vccnz .LBB23_8
; %bb.4:
	s_mov_b32 s13, 0
                                        ; implicit-def: $vgpr2_vgpr3
                                        ; implicit-def: $vgpr5_vgpr6
	s_and_saveexec_b32 s21, s2
	s_cbranch_execz .LBB23_9
; %bb.5:
	v_cmp_neq_f64_e64 s2, s[4:5], 0
	v_cmp_neq_f64_e64 s17, s[6:7], 0
	v_mul_lo_u32 v5, v4, s20
	v_mov_b32_e32 v2, 0
	v_mov_b32_e32 v3, 0
	s_delay_alu instid0(VALU_DEP_1) | instskip(NEXT) | instid1(VALU_DEP_4)
	v_dual_mov_b32 v0, v2 :: v_dual_mov_b32 v1, v3
	v_ashrrev_i32_e32 v6, 31, v5
	s_or_b32 s2, s2, s17
	s_delay_alu instid0(SALU_CYCLE_1)
	s_and_not1_b32 vcc_lo, exec_lo, s2
	s_cbranch_vccnz .LBB23_7
; %bb.6:
	s_delay_alu instid0(VALU_DEP_1) | instskip(NEXT) | instid1(VALU_DEP_1)
	v_lshlrev_b64 v[0:1], 4, v[5:6]
	v_add_co_u32 v0, vcc_lo, s3, v0
	s_delay_alu instid0(VALU_DEP_2) | instskip(SKIP_4) | instid1(VALU_DEP_2)
	v_add_co_ci_u32_e32 v1, vcc_lo, s16, v1, vcc_lo
	global_load_b128 v[7:10], v[0:1], off
	s_waitcnt vmcnt(0)
	v_mul_f64 v[0:1], s[6:7], v[9:10]
	v_mul_f64 v[2:3], s[4:5], v[9:10]
	v_fma_f64 v[0:1], s[4:5], v[7:8], -v[0:1]
	s_delay_alu instid0(VALU_DEP_2)
	v_fma_f64 v[2:3], s[6:7], v[7:8], v[2:3]
.LBB23_7:
	s_mov_b32 s17, exec_lo
	s_or_b32 exec_lo, exec_lo, s21
	s_delay_alu instid0(SALU_CYCLE_1)
	s_and_b32 vcc_lo, exec_lo, s13
	s_cbranch_vccnz .LBB23_10
	s_branch .LBB23_20
.LBB23_8:
                                        ; implicit-def: $vgpr2_vgpr3
                                        ; implicit-def: $vgpr5_vgpr6
	s_cbranch_execnz .LBB23_10
	s_branch .LBB23_20
.LBB23_9:
	s_or_b32 exec_lo, exec_lo, s21
	s_delay_alu instid0(SALU_CYCLE_1)
	s_and_b32 vcc_lo, exec_lo, s13
	s_cbranch_vccz .LBB23_20
.LBB23_10:
	s_mov_b32 s2, exec_lo
                                        ; implicit-def: $vgpr2_vgpr3
                                        ; implicit-def: $vgpr5_vgpr6
	v_cmpx_gt_i32_e64 s12, v4
	s_cbranch_execz .LBB23_19
; %bb.11:
	v_mov_b32_e32 v0, 0
	v_mov_b32_e32 v1, 0
	s_cmp_lt_i32 s14, 0
	s_delay_alu instid0(VALU_DEP_1)
	v_dual_mov_b32 v3, v1 :: v_dual_mov_b32 v2, v0
	s_cbranch_scc1 .LBB23_14
; %bb.12:
	s_load_b32 s0, s[0:1], 0x68
	s_ashr_i32 s13, s12, 31
	s_mul_hi_u32 s1, s12, s15
	s_mul_i32 s21, s13, s15
	v_dual_mov_b32 v5, 0 :: v_dual_mov_b32 v0, 0
	s_add_i32 s1, s1, s21
	s_mul_i32 s15, s12, s15
	s_add_i32 s14, s14, 1
	s_delay_alu instid0(VALU_DEP_1)
	v_lshlrev_b64 v[2:3], 4, v[4:5]
	v_mov_b32_e32 v1, 0
	s_waitcnt lgkmcnt(0)
	s_mul_i32 s1, s1, s0
	s_mul_hi_u32 s21, s15, s0
	s_mul_i32 s0, s15, s0
	s_add_i32 s1, s21, s1
	s_delay_alu instid0(SALU_CYCLE_1) | instskip(NEXT) | instid1(SALU_CYCLE_1)
	s_lshl_b64 s[0:1], s[0:1], 4
	s_add_u32 s0, s18, s0
	s_addc_u32 s1, s19, s1
	v_add_co_u32 v2, vcc_lo, s0, v2
	v_add_co_ci_u32_e32 v3, vcc_lo, s1, v3, vcc_lo
	s_lshl_b64 s[0:1], s[12:13], 4
	s_delay_alu instid0(VALU_DEP_2) | instskip(NEXT) | instid1(VALU_DEP_2)
	v_add_co_u32 v5, vcc_lo, v2, 8
	v_add_co_ci_u32_e32 v6, vcc_lo, 0, v3, vcc_lo
	v_dual_mov_b32 v3, v1 :: v_dual_mov_b32 v2, v0
.LBB23_13:                              ; =>This Inner Loop Header: Depth=1
	global_load_b128 v[7:10], v[5:6], off offset:-8
	v_add_co_u32 v5, vcc_lo, v5, s0
	v_add_co_ci_u32_e32 v6, vcc_lo, s1, v6, vcc_lo
	s_add_i32 s14, s14, -1
	s_delay_alu instid0(SALU_CYCLE_1)
	s_cmp_eq_u32 s14, 0
	s_waitcnt vmcnt(0)
	v_add_f64 v[2:3], v[2:3], v[7:8]
	v_add_f64 v[0:1], v[0:1], v[9:10]
	s_cbranch_scc0 .LBB23_13
.LBB23_14:
	s_delay_alu instid0(VALU_DEP_1) | instskip(SKIP_3) | instid1(VALU_DEP_4)
	v_mul_f64 v[5:6], s[10:11], v[0:1]
	v_mul_f64 v[7:8], s[8:9], v[0:1]
	v_cmp_neq_f64_e64 s0, s[4:5], 0
	v_cmp_neq_f64_e64 s1, s[6:7], 0
	v_fma_f64 v[0:1], s[8:9], v[2:3], -v[5:6]
	s_delay_alu instid0(VALU_DEP_4) | instskip(SKIP_1) | instid1(VALU_DEP_4)
	v_fma_f64 v[2:3], s[10:11], v[2:3], v[7:8]
	v_mul_lo_u32 v5, v4, s20
	s_or_b32 s0, s0, s1
	s_delay_alu instid0(SALU_CYCLE_1) | instskip(NEXT) | instid1(VALU_DEP_1)
	s_and_not1_b32 vcc_lo, exec_lo, s0
	v_ashrrev_i32_e32 v6, 31, v5
	s_cbranch_vccz .LBB23_16
; %bb.15:
	s_cbranch_execz .LBB23_17
	s_branch .LBB23_18
.LBB23_16:
.LBB23_17:
	s_delay_alu instid0(VALU_DEP_1) | instskip(NEXT) | instid1(VALU_DEP_1)
	v_lshlrev_b64 v[7:8], 4, v[5:6]
	v_add_co_u32 v7, vcc_lo, s3, v7
	s_delay_alu instid0(VALU_DEP_2) | instskip(SKIP_4) | instid1(VALU_DEP_2)
	v_add_co_ci_u32_e32 v8, vcc_lo, s16, v8, vcc_lo
	global_load_b128 v[7:10], v[7:8], off
	s_waitcnt vmcnt(0)
	v_mul_f64 v[11:12], s[6:7], v[9:10]
	v_mul_f64 v[9:10], s[4:5], v[9:10]
	v_fma_f64 v[11:12], s[4:5], v[7:8], -v[11:12]
	s_delay_alu instid0(VALU_DEP_2) | instskip(NEXT) | instid1(VALU_DEP_2)
	v_fma_f64 v[7:8], s[6:7], v[7:8], v[9:10]
	v_add_f64 v[0:1], v[0:1], v[11:12]
	s_delay_alu instid0(VALU_DEP_2)
	v_add_f64 v[2:3], v[2:3], v[7:8]
.LBB23_18:
	s_or_b32 s17, s17, exec_lo
.LBB23_19:
	s_or_b32 exec_lo, exec_lo, s2
.LBB23_20:
	s_and_saveexec_b32 s0, s17
	s_cbranch_execz .LBB23_22
; %bb.21:
	v_lshlrev_b64 v[4:5], 4, v[5:6]
	s_delay_alu instid0(VALU_DEP_1) | instskip(NEXT) | instid1(VALU_DEP_2)
	v_add_co_u32 v4, vcc_lo, s3, v4
	v_add_co_ci_u32_e32 v5, vcc_lo, s16, v5, vcc_lo
	global_store_b128 v[4:5], v[0:3], off
.LBB23_22:
	s_nop 0
	s_sendmsg sendmsg(MSG_DEALLOC_VGPRS)
	s_endpgm
	.section	.rodata,"a",@progbits
	.p2align	6, 0x0
	.amdhsa_kernel _ZL36rocblas_hemvn_kernel_upper_block_sumILi64Ei19rocblas_complex_numIdEPS1_S1_EviT1_lS3_lT2_lT0_lPT3_i
		.amdhsa_group_segment_fixed_size 0
		.amdhsa_private_segment_fixed_size 0
		.amdhsa_kernarg_size 360
		.amdhsa_user_sgpr_count 14
		.amdhsa_user_sgpr_dispatch_ptr 0
		.amdhsa_user_sgpr_queue_ptr 0
		.amdhsa_user_sgpr_kernarg_segment_ptr 1
		.amdhsa_user_sgpr_dispatch_id 0
		.amdhsa_user_sgpr_private_segment_size 0
		.amdhsa_wavefront_size32 1
		.amdhsa_uses_dynamic_stack 0
		.amdhsa_enable_private_segment 0
		.amdhsa_system_sgpr_workgroup_id_x 1
		.amdhsa_system_sgpr_workgroup_id_y 0
		.amdhsa_system_sgpr_workgroup_id_z 1
		.amdhsa_system_sgpr_workgroup_info 0
		.amdhsa_system_vgpr_workitem_id 0
		.amdhsa_next_free_vgpr 13
		.amdhsa_next_free_sgpr 28
		.amdhsa_reserve_vcc 1
		.amdhsa_float_round_mode_32 0
		.amdhsa_float_round_mode_16_64 0
		.amdhsa_float_denorm_mode_32 3
		.amdhsa_float_denorm_mode_16_64 3
		.amdhsa_dx10_clamp 1
		.amdhsa_ieee_mode 1
		.amdhsa_fp16_overflow 0
		.amdhsa_workgroup_processor_mode 1
		.amdhsa_memory_ordered 1
		.amdhsa_forward_progress 0
		.amdhsa_shared_vgpr_count 0
		.amdhsa_exception_fp_ieee_invalid_op 0
		.amdhsa_exception_fp_denorm_src 0
		.amdhsa_exception_fp_ieee_div_zero 0
		.amdhsa_exception_fp_ieee_overflow 0
		.amdhsa_exception_fp_ieee_underflow 0
		.amdhsa_exception_fp_ieee_inexact 0
		.amdhsa_exception_int_div_zero 0
	.end_amdhsa_kernel
	.section	.text._ZL36rocblas_hemvn_kernel_upper_block_sumILi64Ei19rocblas_complex_numIdEPS1_S1_EviT1_lS3_lT2_lT0_lPT3_i,"axG",@progbits,_ZL36rocblas_hemvn_kernel_upper_block_sumILi64Ei19rocblas_complex_numIdEPS1_S1_EviT1_lS3_lT2_lT0_lPT3_i,comdat
.Lfunc_end23:
	.size	_ZL36rocblas_hemvn_kernel_upper_block_sumILi64Ei19rocblas_complex_numIdEPS1_S1_EviT1_lS3_lT2_lT0_lPT3_i, .Lfunc_end23-_ZL36rocblas_hemvn_kernel_upper_block_sumILi64Ei19rocblas_complex_numIdEPS1_S1_EviT1_lS3_lT2_lT0_lPT3_i
                                        ; -- End function
	.section	.AMDGPU.csdata,"",@progbits
; Kernel info:
; codeLenInByte = 892
; NumSgprs: 30
; NumVgprs: 13
; ScratchSize: 0
; MemoryBound: 0
; FloatMode: 240
; IeeeMode: 1
; LDSByteSize: 0 bytes/workgroup (compile time only)
; SGPRBlocks: 3
; VGPRBlocks: 1
; NumSGPRsForWavesPerEU: 30
; NumVGPRsForWavesPerEU: 13
; Occupancy: 16
; WaveLimiterHint : 0
; COMPUTE_PGM_RSRC2:SCRATCH_EN: 0
; COMPUTE_PGM_RSRC2:USER_SGPR: 14
; COMPUTE_PGM_RSRC2:TRAP_HANDLER: 0
; COMPUTE_PGM_RSRC2:TGID_X_EN: 1
; COMPUTE_PGM_RSRC2:TGID_Y_EN: 0
; COMPUTE_PGM_RSRC2:TGID_Z_EN: 1
; COMPUTE_PGM_RSRC2:TIDIG_COMP_CNT: 0
	.section	.text._ZL26rocblas_hemvn_kernel_lowerILb1ELi64ELi4ELi33ELi32ELi16ElPK19rocblas_complex_numIdES3_PS1_EviT6_lT7_lT5_lS6_lS7_lS5_lT8_i,"axG",@progbits,_ZL26rocblas_hemvn_kernel_lowerILb1ELi64ELi4ELi33ELi32ELi16ElPK19rocblas_complex_numIdES3_PS1_EviT6_lT7_lT5_lS6_lS7_lS5_lT8_i,comdat
	.globl	_ZL26rocblas_hemvn_kernel_lowerILb1ELi64ELi4ELi33ELi32ELi16ElPK19rocblas_complex_numIdES3_PS1_EviT6_lT7_lT5_lS6_lS7_lS5_lT8_i ; -- Begin function _ZL26rocblas_hemvn_kernel_lowerILb1ELi64ELi4ELi33ELi32ELi16ElPK19rocblas_complex_numIdES3_PS1_EviT6_lT7_lT5_lS6_lS7_lS5_lT8_i
	.p2align	8
	.type	_ZL26rocblas_hemvn_kernel_lowerILb1ELi64ELi4ELi33ELi32ELi16ElPK19rocblas_complex_numIdES3_PS1_EviT6_lT7_lT5_lS6_lS7_lS5_lT8_i,@function
_ZL26rocblas_hemvn_kernel_lowerILb1ELi64ELi4ELi33ELi32ELi16ElPK19rocblas_complex_numIdES3_PS1_EviT6_lT7_lT5_lS6_lS7_lS5_lT8_i: ; @_ZL26rocblas_hemvn_kernel_lowerILb1ELi64ELi4ELi33ELi32ELi16ElPK19rocblas_complex_numIdES3_PS1_EviT6_lT7_lT5_lS6_lS7_lS5_lT8_i
; %bb.0:
	s_load_b64 s[4:5], s[0:1], 0x84
	s_add_u32 s2, s0, 0x78
	s_addc_u32 s3, s1, 0
	s_waitcnt lgkmcnt(0)
	s_lshr_b32 s6, s4, 16
	s_and_b32 s4, s4, 0xffff
	s_and_b32 s5, s5, 0xffff
	s_mul_i32 s4, s6, s4
	s_delay_alu instid0(SALU_CYCLE_1) | instskip(NEXT) | instid1(SALU_CYCLE_1)
	s_mul_i32 s4, s4, s5
	s_cmpk_lg_i32 s4, 0x100
	s_cbranch_scc1 .LBB24_135
; %bb.1:
	s_load_b512 s[16:31], s[0:1], 0x8
	s_waitcnt lgkmcnt(0)
	s_mul_i32 s5, s15, s19
	s_mul_hi_u32 s6, s15, s18
	s_mul_i32 s4, s15, s18
	s_add_i32 s5, s6, s5
	s_delay_alu instid0(SALU_CYCLE_1) | instskip(NEXT) | instid1(SALU_CYCLE_1)
	s_lshl_b64 s[4:5], s[4:5], 4
	s_add_u32 s4, s16, s4
	s_addc_u32 s5, s17, s5
	s_load_b128 s[4:7], s[4:5], 0x0
	s_clause 0x1
	s_load_b64 s[8:9], s[0:1], 0x68
	s_load_b256 s[36:43], s[0:1], 0x48
	s_waitcnt lgkmcnt(0)
	v_cmp_neq_f64_e64 s4, s[4:5], 0
	v_cmp_neq_f64_e64 s5, s[6:7], 0
	s_delay_alu instid0(VALU_DEP_1)
	s_or_b32 s4, s4, s5
	s_mov_b32 s5, -1
	s_and_b32 vcc_lo, exec_lo, s4
	s_cbranch_vccnz .LBB24_3
; %bb.2:
	s_mul_i32 s5, s15, s43
	s_mul_hi_u32 s7, s15, s42
	s_mul_i32 s6, s15, s42
	s_add_i32 s7, s7, s5
	s_delay_alu instid0(SALU_CYCLE_1) | instskip(NEXT) | instid1(SALU_CYCLE_1)
	s_lshl_b64 s[6:7], s[6:7], 4
	s_add_u32 s6, s40, s6
	s_addc_u32 s7, s41, s7
	s_load_b128 s[16:19], s[6:7], 0x0
	s_waitcnt lgkmcnt(0)
	v_cmp_neq_f64_e64 s5, s[16:17], 1.0
	v_cmp_neq_f64_e64 s6, s[18:19], 0
	s_delay_alu instid0(VALU_DEP_1)
	s_or_b32 s5, s5, s6
.LBB24_3:
	s_delay_alu instid0(SALU_CYCLE_1)
	s_and_not1_b32 vcc_lo, exec_lo, s5
	s_cbranch_vccnz .LBB24_135
; %bb.4:
	s_and_not1_b32 vcc_lo, exec_lo, s4
	s_cbranch_vccnz .LBB24_135
; %bb.5:
	s_mul_i32 s5, s15, s39
	s_mul_hi_u32 s6, s15, s38
	s_mul_i32 s4, s15, s38
	s_add_i32 s5, s6, s5
	s_load_b32 s33, s[0:1], 0x0
	s_lshl_b64 s[4:5], s[4:5], 4
	v_and_b32_e32 v42, 0x3ff, v0
	s_add_u32 s4, s28, s4
	s_addc_u32 s5, s29, s5
	s_lshl_b64 s[0:1], s[30:31], 4
	s_load_b32 s28, s[2:3], 0x0
	s_add_u32 s4, s4, s0
	s_addc_u32 s1, s5, s1
	s_lshl_b32 s10, s14, 6
	v_bfe_u32 v138, v0, 10, 10
	v_add_nc_u32_e32 v132, s10, v42
	s_delay_alu instid0(VALU_DEP_1)
	v_ashrrev_i32_e32 v133, 31, v132
	v_mul_lo_u32 v3, v132, s37
	v_mad_u64_u32 v[1:2], null, v132, s36, 0
	s_waitcnt lgkmcnt(0)
	s_ashr_i32 s29, s33, 31
	v_mul_lo_u32 v4, v133, s36
	s_lshr_b32 s0, s29, 26
	s_delay_alu instid0(SALU_CYCLE_1) | instskip(SKIP_4) | instid1(VALU_DEP_2)
	s_add_i32 s2, s33, s0
	v_cmp_ne_u32_e64 s0, 0, v138
	s_and_not1_b32 s2, s2, 63
	s_add_i32 s3, s28, -1
	s_sub_i32 s5, s33, s2
	v_add3_u32 v2, v2, v3, v4
	s_cmp_eq_u32 s14, s3
	s_mov_b32 s2, -1
	s_cselect_b32 s12, s5, 0
	s_delay_alu instid0(VALU_DEP_1) | instskip(NEXT) | instid1(VALU_DEP_1)
	v_lshlrev_b64 v[0:1], 4, v[1:2]
	v_add_co_u32 v36, vcc_lo, s4, v0
	s_delay_alu instid0(VALU_DEP_2) | instskip(SKIP_1) | instid1(VALU_DEP_1)
	v_add_co_ci_u32_e32 v37, vcc_lo, s1, v1, vcc_lo
	v_cmp_eq_u32_e64 s1, 0, v138
	s_and_saveexec_b32 s3, s1
	s_cbranch_execz .LBB24_10
; %bb.6:
	v_cmp_le_i32_e32 vcc_lo, s12, v42
	s_cmp_lg_u32 s12, 0
	v_lshl_add_u32 v0, v42, 4, 0x4700
	s_cselect_b32 s4, -1, 0
	s_delay_alu instid0(SALU_CYCLE_1) | instskip(NEXT) | instid1(SALU_CYCLE_1)
	s_and_b32 s4, s4, vcc_lo
	s_and_saveexec_b32 s5, s4
	s_delay_alu instid0(SALU_CYCLE_1)
	s_xor_b32 s4, exec_lo, s5
	s_cbranch_execz .LBB24_8
; %bb.7:
	v_mov_b32_e32 v1, 0
	s_delay_alu instid0(VALU_DEP_1)
	v_mov_b32_e32 v2, v1
	v_mov_b32_e32 v3, v1
	;; [unrolled: 1-line block ×3, first 2 shown]
	ds_store_b128 v0, v[1:4]
                                        ; implicit-def: $vgpr0
.LBB24_8:
	s_and_not1_saveexec_b32 s4, s4
	s_cbranch_execz .LBB24_10
; %bb.9:
	global_load_b128 v[1:4], v[36:37], off
	s_waitcnt vmcnt(0)
	ds_store_2addr_b64 v0, v[1:2], v[3:4] offset1:1
.LBB24_10:
	s_or_b32 exec_lo, exec_lo, s3
	v_lshl_add_u32 v43, v138, 6, v42
	v_dual_mov_b32 v5, 0 :: v_dual_and_b32 v4, 31, v42
	s_mul_i32 s3, s15, s27
	s_mul_hi_u32 s5, s15, s26
	s_delay_alu instid0(VALU_DEP_2)
	v_lshrrev_b32_e32 v9, 5, v43
	s_mul_i32 s4, s15, s26
	s_add_i32 s5, s5, s3
	s_mul_i32 s7, s10, s25
	s_lshl_b64 s[4:5], s[4:5], 4
	v_mad_u64_u32 v[0:1], null, v9, s24, v[4:5]
	s_add_u32 s3, s20, s4
	s_addc_u32 s6, s21, s5
	s_lshl_b64 s[4:5], s[22:23], 4
	s_mul_hi_u32 s13, s10, s24
	s_add_u32 s3, s3, s4
	s_addc_u32 s6, s6, s5
	s_delay_alu instid0(VALU_DEP_1) | instskip(SKIP_1) | instid1(SALU_CYCLE_1)
	v_mad_u64_u32 v[2:3], null, v9, s25, v[1:2]
	s_ashr_i32 s11, s10, 31
	s_lshl_b64 s[4:5], s[10:11], 4
	s_mul_i32 s16, s11, s24
	s_add_u32 s3, s3, s4
	s_addc_u32 s6, s6, s5
	s_delay_alu instid0(VALU_DEP_1) | instskip(SKIP_3) | instid1(SALU_CYCLE_1)
	v_mov_b32_e32 v1, v2
	s_add_i32 s5, s13, s7
	s_mul_i32 s4, s10, s24
	s_add_i32 s5, s5, s16
	s_lshl_b64 s[16:17], s[4:5], 4
	v_lshlrev_b64 v[38:39], 4, v[0:1]
	s_add_u32 s3, s16, s3
	s_addc_u32 s4, s17, s6
	s_cmp_lg_u32 s12, 0
	s_cselect_b32 s20, -1, 0
	s_delay_alu instid0(VALU_DEP_1)
	v_add_co_u32 v5, vcc_lo, s3, v38
	v_add_co_ci_u32_e32 v6, vcc_lo, s4, v39, vcc_lo
	s_cmp_eq_u32 s12, 0
	s_cselect_b32 s7, -1, 0
	s_and_b32 vcc_lo, exec_lo, s20
	s_cbranch_vccnz .LBB24_12
; %bb.11:
	v_mad_u64_u32 v[7:8], null, 0x180, s24, v[5:6]
	s_lshl_b64 s[2:3], s[24:25], 7
	s_delay_alu instid0(SALU_CYCLE_1) | instskip(SKIP_1) | instid1(VALU_DEP_3)
	v_add_co_u32 v10, vcc_lo, v5, s2
	v_add_co_ci_u32_e32 v11, vcc_lo, s3, v6, vcc_lo
	v_mov_b32_e32 v0, v8
	s_delay_alu instid0(VALU_DEP_3) | instskip(NEXT) | instid1(VALU_DEP_3)
	v_add_co_u32 v14, vcc_lo, v10, s2
	v_add_co_ci_u32_e32 v15, vcc_lo, s3, v11, vcc_lo
	s_delay_alu instid0(VALU_DEP_3) | instskip(SKIP_1) | instid1(VALU_DEP_1)
	v_mad_u64_u32 v[1:2], null, 0x180, s25, v[0:1]
	s_mov_b32 s2, 0
	v_mov_b32_e32 v8, v1
	s_clause 0x1
	global_load_b128 v[0:3], v[5:6], off
	global_load_b128 v[10:13], v[10:11], off
	;; [unrolled: 1-line block ×4, first 2 shown]
	v_mul_u32_u24_e32 v7, 33, v9
	s_delay_alu instid0(VALU_DEP_1) | instskip(NEXT) | instid1(VALU_DEP_1)
	v_add_lshl_u32 v7, v7, v4, 4
	v_add_nc_u32_e32 v23, 0x3180, v7
	v_add_nc_u32_e32 v22, 0x2100, v7
	;; [unrolled: 1-line block ×3, first 2 shown]
	s_waitcnt vmcnt(3)
	ds_store_2addr_b64 v7, v[0:1], v[2:3] offset1:1
	s_waitcnt vmcnt(2)
	ds_store_2addr_b64 v8, v[10:11], v[12:13] offset1:1
	;; [unrolled: 2-line block ×4, first 2 shown]
.LBB24_12:
	s_and_not1_b32 vcc_lo, exec_lo, s2
	s_cbranch_vccnz .LBB24_30
; %bb.13:
	v_lshlrev_b32_e32 v2, 4, v4
	s_ashr_i32 s13, s12, 31
	v_mul_u32_u24_e32 v3, 33, v9
	s_lshl_b64 s[4:5], s[12:13], 4
	v_cmp_le_i32_e64 s2, s12, v9
	v_sub_co_u32 v0, vcc_lo, v5, v2
	v_subrev_co_ci_u32_e32 v1, vcc_lo, 0, v6, vcc_lo
	v_add_lshl_u32 v3, v3, v4, 4
	s_delay_alu instid0(VALU_DEP_3) | instskip(NEXT) | instid1(VALU_DEP_3)
	v_add_co_u32 v0, vcc_lo, v0, s4
	v_add_co_ci_u32_e32 v1, vcc_lo, s5, v1, vcc_lo
	s_delay_alu instid0(VALU_DEP_2) | instskip(NEXT) | instid1(VALU_DEP_2)
	v_add_co_u32 v0, vcc_lo, v0, -16
	v_add_co_ci_u32_e32 v1, vcc_lo, -1, v1, vcc_lo
	v_cmp_gt_i32_e32 vcc_lo, s12, v4
	s_delay_alu instid0(VALU_DEP_2) | instskip(SKIP_1) | instid1(SALU_CYCLE_1)
	v_dual_cndmask_b32 v1, v1, v6 :: v_dual_cndmask_b32 v0, v0, v5
	s_and_saveexec_b32 s3, s2
	s_xor_b32 s2, exec_lo, s3
	s_cbranch_execz .LBB24_15
; %bb.14:
	v_mov_b32_e32 v10, 0
	s_delay_alu instid0(VALU_DEP_1)
	v_mov_b32_e32 v11, v10
	v_mov_b32_e32 v12, v10
	;; [unrolled: 1-line block ×3, first 2 shown]
	ds_store_b128 v3, v[10:13]
.LBB24_15:
	s_and_not1_saveexec_b32 s2, s2
	s_cbranch_execz .LBB24_17
; %bb.16:
	global_load_b128 v[10:13], v[0:1], off
	s_waitcnt vmcnt(0)
	ds_store_2addr_b64 v3, v[10:11], v[12:13] offset1:1
.LBB24_17:
	s_or_b32 exec_lo, exec_lo, s2
	v_add_nc_u32_e32 v7, 8, v9
	s_delay_alu instid0(VALU_DEP_1) | instskip(NEXT) | instid1(VALU_DEP_1)
	v_cmp_le_i32_e64 s2, s12, v7
	s_and_saveexec_b32 s3, s2
	s_delay_alu instid0(SALU_CYCLE_1)
	s_xor_b32 s2, exec_lo, s3
	s_cbranch_execz .LBB24_19
; %bb.18:
	v_mul_u32_u24_e32 v7, 33, v7
	v_mov_b32_e32 v10, 0
	s_delay_alu instid0(VALU_DEP_2) | instskip(NEXT) | instid1(VALU_DEP_2)
	v_add_lshl_u32 v7, v7, v4, 4
	v_mov_b32_e32 v11, v10
	v_mov_b32_e32 v12, v10
	v_mov_b32_e32 v13, v10
	ds_store_b128 v7, v[10:13]
.LBB24_19:
	s_and_not1_saveexec_b32 s3, s2
	s_cbranch_execz .LBB24_21
; %bb.20:
	s_lshl_b64 s[18:19], s[24:25], 7
	s_delay_alu instid0(SALU_CYCLE_1) | instskip(NEXT) | instid1(VALU_DEP_1)
	v_add_co_u32 v7, s2, v0, s18
	v_add_co_ci_u32_e64 v8, s2, s19, v1, s2
	global_load_b128 v[10:13], v[7:8], off
	v_add_nc_u32_e32 v7, 0x1080, v3
	s_waitcnt vmcnt(0)
	ds_store_2addr_b64 v7, v[10:11], v[12:13] offset1:1
.LBB24_21:
	s_or_b32 exec_lo, exec_lo, s3
	v_add_nc_u32_e32 v7, 16, v9
	s_delay_alu instid0(VALU_DEP_1) | instskip(NEXT) | instid1(VALU_DEP_1)
	v_cmp_le_i32_e64 s2, s12, v7
	s_and_saveexec_b32 s3, s2
	s_delay_alu instid0(SALU_CYCLE_1)
	s_xor_b32 s2, exec_lo, s3
	s_cbranch_execz .LBB24_23
; %bb.22:
	v_mov_b32_e32 v10, 0
	s_delay_alu instid0(VALU_DEP_1)
	v_mov_b32_e32 v11, v10
	v_mov_b32_e32 v12, v10
	;; [unrolled: 1-line block ×3, first 2 shown]
	ds_store_b128 v3, v[10:13] offset:8448
.LBB24_23:
	s_and_not1_saveexec_b32 s3, s2
	s_cbranch_execz .LBB24_25
; %bb.24:
	s_lshl_b64 s[18:19], s[24:25], 8
	s_delay_alu instid0(SALU_CYCLE_1) | instskip(NEXT) | instid1(VALU_DEP_1)
	v_add_co_u32 v7, s2, v0, s18
	v_add_co_ci_u32_e64 v8, s2, s19, v1, s2
	global_load_b128 v[10:13], v[7:8], off
	v_add_nc_u32_e32 v7, 0x2100, v3
	s_waitcnt vmcnt(0)
	ds_store_2addr_b64 v7, v[10:11], v[12:13] offset1:1
.LBB24_25:
	s_or_b32 exec_lo, exec_lo, s3
	v_add_nc_u32_e32 v7, 24, v9
	s_delay_alu instid0(VALU_DEP_1) | instskip(NEXT) | instid1(VALU_DEP_1)
	v_cmp_le_i32_e64 s2, s12, v7
	s_and_saveexec_b32 s3, s2
	s_delay_alu instid0(SALU_CYCLE_1)
	s_xor_b32 s2, exec_lo, s3
	s_cbranch_execz .LBB24_27
; %bb.26:
	v_mov_b32_e32 v10, 0
	s_delay_alu instid0(VALU_DEP_1)
	v_mov_b32_e32 v11, v10
	v_mov_b32_e32 v12, v10
	;; [unrolled: 1-line block ×3, first 2 shown]
	ds_store_b128 v3, v[10:13] offset:12672
                                        ; implicit-def: $vgpr3
.LBB24_27:
	s_and_not1_saveexec_b32 s2, s2
	s_cbranch_execz .LBB24_29
; %bb.28:
	v_mad_u64_u32 v[7:8], null, 0x180, s24, v[0:1]
	v_add_nc_u32_e32 v3, 0x3180, v3
	s_delay_alu instid0(VALU_DEP_2) | instskip(NEXT) | instid1(VALU_DEP_1)
	v_mad_u64_u32 v[10:11], null, 0x180, s25, v[8:9]
	v_mov_b32_e32 v8, v10
	global_load_b128 v[10:13], v[7:8], off
	s_waitcnt vmcnt(0)
	ds_store_2addr_b64 v3, v[10:11], v[12:13] offset1:1
.LBB24_29:
	s_or_b32 exec_lo, exec_lo, s2
	v_add_co_u32 v0, s2, v0, v2
	s_delay_alu instid0(VALU_DEP_1) | instskip(NEXT) | instid1(VALU_DEP_2)
	v_add_co_ci_u32_e64 v1, s2, 0, v1, s2
	v_sub_co_u32 v0, s2, v0, s4
	s_delay_alu instid0(VALU_DEP_1) | instskip(NEXT) | instid1(VALU_DEP_2)
	v_subrev_co_ci_u32_e64 v1, s2, s5, v1, s2
	v_add_co_u32 v0, s2, v0, 16
	s_delay_alu instid0(VALU_DEP_1) | instskip(NEXT) | instid1(VALU_DEP_1)
	v_add_co_ci_u32_e64 v1, s2, 0, v1, s2
	v_dual_cndmask_b32 v5, v0, v5 :: v_dual_cndmask_b32 v6, v1, v6
.LBB24_30:
	v_lshlrev_b32_e32 v11, 2, v9
	s_waitcnt lgkmcnt(0)
	s_barrier
	buffer_gl0_inv
	v_cmp_ge_u32_e64 s3, v11, v4
	s_delay_alu instid0(VALU_DEP_1) | instskip(NEXT) | instid1(SALU_CYCLE_1)
	s_and_saveexec_b32 s2, s3
	s_xor_b32 s2, exec_lo, s2
	s_cbranch_execz .LBB24_34
; %bb.31:
	s_mov_b32 s4, exec_lo
	v_cmpx_eq_u32_e64 v11, v4
	s_cbranch_execz .LBB24_33
; %bb.32:
	v_mul_u32_u24_e32 v1, 34, v4
	v_mov_b32_e32 v0, 0
	s_delay_alu instid0(VALU_DEP_1)
	v_dual_mov_b32 v1, v0 :: v_dual_lshlrev_b32 v2, 4, v1
	ds_store_b64 v2, v[0:1] offset:8
.LBB24_33:
	s_or_b32 exec_lo, exec_lo, s4
.LBB24_34:
	s_or_saveexec_b32 s2, s2
	v_mul_u32_u24_e32 v44, 33, v4
	v_mul_u32_u24_e32 v0, 0x84, v9
	s_delay_alu instid0(VALU_DEP_2)
	v_add_lshl_u32 v12, v11, v44, 4
	s_xor_b32 exec_lo, exec_lo, s2
	s_cbranch_execz .LBB24_36
; %bb.35:
	s_delay_alu instid0(VALU_DEP_2)
	v_add_lshl_u32 v1, v0, v4, 4
	ds_load_b128 v[13:16], v1
	s_waitcnt lgkmcnt(0)
	v_xor_b32_e32 v16, 0x80000000, v16
	ds_store_b128 v12, v[13:16]
.LBB24_36:
	s_or_b32 exec_lo, exec_lo, s2
	v_or_b32_e32 v14, 1, v11
	s_delay_alu instid0(VALU_DEP_1) | instskip(NEXT) | instid1(VALU_DEP_1)
	v_cmp_ge_u32_e64 s4, v14, v4
	s_and_saveexec_b32 s2, s4
	s_delay_alu instid0(SALU_CYCLE_1)
	s_xor_b32 s2, exec_lo, s2
	s_cbranch_execz .LBB24_40
; %bb.37:
	s_mov_b32 s5, exec_lo
	v_cmpx_eq_u32_e64 v14, v4
	s_cbranch_execz .LBB24_39
; %bb.38:
	v_mul_u32_u24_e32 v2, 34, v4
	v_mov_b32_e32 v1, 0
	s_delay_alu instid0(VALU_DEP_1)
	v_dual_mov_b32 v2, v1 :: v_dual_lshlrev_b32 v3, 4, v2
	ds_store_b64 v3, v[1:2] offset:8
.LBB24_39:
	s_or_b32 exec_lo, exec_lo, s5
.LBB24_40:
	s_or_saveexec_b32 s2, s2
	v_mul_u32_u24_e32 v1, 33, v14
	s_xor_b32 exec_lo, exec_lo, s2
	s_cbranch_execz .LBB24_42
; %bb.41:
	s_delay_alu instid0(VALU_DEP_1)
	v_add_lshl_u32 v2, v1, v4, 4
	ds_load_b128 v[15:18], v2
	s_waitcnt lgkmcnt(0)
	v_xor_b32_e32 v18, 0x80000000, v18
	ds_store_b128 v12, v[15:18] offset:16
.LBB24_42:
	s_or_b32 exec_lo, exec_lo, s2
	v_or_b32_e32 v15, 2, v11
	s_delay_alu instid0(VALU_DEP_1) | instskip(NEXT) | instid1(VALU_DEP_1)
	v_cmp_ge_u32_e64 s5, v15, v4
	s_and_saveexec_b32 s2, s5
	s_delay_alu instid0(SALU_CYCLE_1)
	s_xor_b32 s2, exec_lo, s2
	s_cbranch_execz .LBB24_46
; %bb.43:
	s_mov_b32 s6, exec_lo
	v_cmpx_eq_u32_e64 v15, v4
	s_cbranch_execz .LBB24_45
; %bb.44:
	v_mul_u32_u24_e32 v3, 34, v4
	s_delay_alu instid0(VALU_DEP_1) | instskip(NEXT) | instid1(VALU_DEP_1)
	v_dual_mov_b32 v2, 0 :: v_dual_lshlrev_b32 v7, 4, v3
	v_mov_b32_e32 v3, v2
	ds_store_b64 v7, v[2:3] offset:8
.LBB24_45:
	s_or_b32 exec_lo, exec_lo, s6
.LBB24_46:
	s_and_not1_saveexec_b32 s2, s2
	s_cbranch_execz .LBB24_48
; %bb.47:
	v_mul_u32_u24_e32 v2, 33, v15
	s_delay_alu instid0(VALU_DEP_1)
	v_add_lshl_u32 v2, v2, v4, 4
	ds_load_b128 v[16:19], v2
	s_waitcnt lgkmcnt(0)
	v_xor_b32_e32 v19, 0x80000000, v19
	ds_store_b128 v12, v[16:19] offset:32
.LBB24_48:
	s_or_b32 exec_lo, exec_lo, s2
	v_or_b32_e32 v17, 3, v11
	s_delay_alu instid0(VALU_DEP_1) | instskip(NEXT) | instid1(VALU_DEP_1)
	v_cmp_ge_u32_e64 s6, v17, v4
	s_and_saveexec_b32 s2, s6
	s_delay_alu instid0(SALU_CYCLE_1)
	s_xor_b32 s2, exec_lo, s2
	s_cbranch_execz .LBB24_52
; %bb.49:
	s_mov_b32 s13, exec_lo
	v_cmpx_eq_u32_e64 v17, v4
	s_cbranch_execz .LBB24_51
; %bb.50:
	v_mul_u32_u24_e32 v3, 34, v4
	s_delay_alu instid0(VALU_DEP_1) | instskip(NEXT) | instid1(VALU_DEP_1)
	v_dual_mov_b32 v2, 0 :: v_dual_lshlrev_b32 v7, 4, v3
	v_mov_b32_e32 v3, v2
	ds_store_b64 v7, v[2:3] offset:8
.LBB24_51:
	s_or_b32 exec_lo, exec_lo, s13
.LBB24_52:
	s_and_not1_saveexec_b32 s2, s2
	s_cbranch_execz .LBB24_54
; %bb.53:
	v_mul_u32_u24_e32 v2, 33, v17
	s_delay_alu instid0(VALU_DEP_1)
	v_add_lshl_u32 v2, v2, v4, 4
	ds_load_b128 v[18:21], v2
	s_waitcnt lgkmcnt(0)
	v_xor_b32_e32 v21, 0x80000000, v21
	ds_store_b128 v12, v[18:21] offset:48
.LBB24_54:
	s_or_b32 exec_lo, exec_lo, s2
	v_add_lshl_u32 v16, v0, v4, 4
	v_lshlrev_b32_e32 v13, 4, v11
	s_waitcnt lgkmcnt(0)
	s_barrier
	buffer_gl0_inv
	ds_load_b128 v[18:21], v16
	ds_load_b128 v[22:25], v13 offset:18176
	v_add_lshl_u32 v10, v1, v4, 4
	ds_load_b128 v[0:3], v13 offset:18192
	ds_load_b128 v[26:29], v10
	v_cmp_gt_u32_e64 s2, 32, v43
	s_waitcnt lgkmcnt(2)
	v_mul_f64 v[7:8], v[24:25], v[20:21]
	v_mul_f64 v[20:21], v[22:23], v[20:21]
	s_waitcnt lgkmcnt(0)
	v_mul_f64 v[40:41], v[2:3], v[28:29]
	v_mul_f64 v[45:46], v[0:1], v[28:29]
	s_delay_alu instid0(VALU_DEP_4) | instskip(NEXT) | instid1(VALU_DEP_4)
	v_fma_f64 v[7:8], v[22:23], v[18:19], -v[7:8]
	v_fma_f64 v[47:48], v[24:25], v[18:19], v[20:21]
	ds_load_b128 v[18:21], v10 offset:528
	ds_load_b128 v[22:25], v13 offset:18208
	;; [unrolled: 1-line block ×4, first 2 shown]
	s_waitcnt lgkmcnt(0)
	s_barrier
	v_fma_f64 v[0:1], v[0:1], v[26:27], -v[40:41]
	v_fma_f64 v[2:3], v[2:3], v[26:27], v[45:46]
	v_add_lshl_u32 v45, v9, v44, 4
	buffer_gl0_inv
	v_mul_f64 v[49:50], v[24:25], v[20:21]
	v_mul_f64 v[20:21], v[22:23], v[20:21]
	;; [unrolled: 1-line block ×4, first 2 shown]
	v_add_f64 v[7:8], v[7:8], 0
	v_add_f64 v[26:27], v[47:48], 0
	v_fma_f64 v[22:23], v[22:23], v[18:19], -v[49:50]
	v_fma_f64 v[18:19], v[24:25], v[18:19], v[20:21]
	v_fma_f64 v[20:21], v[30:31], v[32:33], v[34:35]
	v_add_f64 v[0:1], v[7:8], v[0:1]
	v_add_f64 v[2:3], v[26:27], v[2:3]
	v_fma_f64 v[7:8], v[28:29], v[32:33], -v[40:41]
	s_delay_alu instid0(VALU_DEP_3) | instskip(NEXT) | instid1(VALU_DEP_3)
	v_add_f64 v[0:1], v[0:1], v[22:23]
	v_add_f64 v[2:3], v[2:3], v[18:19]
	s_delay_alu instid0(VALU_DEP_2) | instskip(SKIP_1) | instid1(VALU_DEP_3)
	v_add_f64 v[18:19], v[0:1], v[7:8]
	v_mov_b32_e32 v0, 0
	v_add_f64 v[20:21], v[2:3], v[20:21]
	v_mov_b32_e32 v1, 0
	s_delay_alu instid0(VALU_DEP_1)
	v_dual_mov_b32 v3, v1 :: v_dual_mov_b32 v2, v0
	ds_store_b128 v45, v[18:21]
	s_waitcnt lgkmcnt(0)
	s_barrier
	buffer_gl0_inv
	s_and_saveexec_b32 s13, s2
	s_cbranch_execz .LBB24_56
; %bb.55:
	v_lshlrev_b32_e32 v24, 4, v44
	ds_load_b128 v[0:3], v24
	ds_load_b128 v[18:21], v24 offset:16
	s_waitcnt lgkmcnt(0)
	v_add_f64 v[7:8], v[18:19], v[0:1]
	v_add_f64 v[22:23], v[20:21], v[2:3]
	ds_load_b128 v[0:3], v24 offset:32
	ds_load_b128 v[18:21], v24 offset:48
	s_waitcnt lgkmcnt(1)
	v_add_f64 v[0:1], v[7:8], v[0:1]
	v_add_f64 v[2:3], v[22:23], v[2:3]
	s_waitcnt lgkmcnt(0)
	s_delay_alu instid0(VALU_DEP_2) | instskip(NEXT) | instid1(VALU_DEP_2)
	v_add_f64 v[7:8], v[0:1], v[18:19]
	v_add_f64 v[22:23], v[2:3], v[20:21]
	ds_load_b128 v[0:3], v24 offset:64
	ds_load_b128 v[18:21], v24 offset:80
	s_waitcnt lgkmcnt(1)
	v_add_f64 v[0:1], v[7:8], v[0:1]
	v_add_f64 v[2:3], v[22:23], v[2:3]
	s_waitcnt lgkmcnt(0)
	s_delay_alu instid0(VALU_DEP_2) | instskip(NEXT) | instid1(VALU_DEP_2)
	;; [unrolled: 9-line block ×3, first 2 shown]
	v_add_f64 v[0:1], v[0:1], v[18:19]
	v_add_f64 v[2:3], v[2:3], v[20:21]
.LBB24_56:
	s_or_b32 exec_lo, exec_lo, s13
	s_lshl_b64 s[18:19], s[24:25], 9
	v_cndmask_b32_e64 v18, 0, 1, s7
	v_add_co_u32 v7, vcc_lo, v5, s18
	v_add_co_ci_u32_e32 v8, vcc_lo, s19, v6, vcc_lo
	s_delay_alu instid0(VALU_DEP_2) | instskip(NEXT) | instid1(VALU_DEP_2)
	v_add_co_u32 v5, vcc_lo, 0x200, v7
	v_add_co_ci_u32_e32 v6, vcc_lo, 0, v8, vcc_lo
	s_and_not1_b32 vcc_lo, exec_lo, s7
	s_barrier
	buffer_gl0_inv
	s_cbranch_vccnz .LBB24_58
; %bb.57:
	v_mad_u64_u32 v[31:32], null, 0x180, s24, v[7:8]
	s_lshl_b64 s[18:19], s[24:25], 7
	s_delay_alu instid0(SALU_CYCLE_1) | instskip(SKIP_1) | instid1(VALU_DEP_3)
	v_add_co_u32 v7, vcc_lo, v7, s18
	v_add_co_ci_u32_e32 v8, vcc_lo, s19, v8, vcc_lo
	v_mov_b32_e32 v19, v32
	s_delay_alu instid0(VALU_DEP_3) | instskip(NEXT) | instid1(VALU_DEP_3)
	v_add_co_u32 v27, vcc_lo, v7, s18
	v_add_co_ci_u32_e32 v28, vcc_lo, s19, v8, vcc_lo
	s_delay_alu instid0(VALU_DEP_3) | instskip(NEXT) | instid1(VALU_DEP_1)
	v_mad_u64_u32 v[20:21], null, 0x180, s25, v[19:20]
	v_mov_b32_e32 v32, v20
	s_clause 0x3
	global_load_b128 v[19:22], v[5:6], off
	global_load_b128 v[23:26], v[7:8], off offset:512
	global_load_b128 v[27:30], v[27:28], off offset:512
	global_load_b128 v[31:34], v[31:32], off offset:512
	v_mul_u32_u24_e32 v7, 33, v9
	s_delay_alu instid0(VALU_DEP_1) | instskip(NEXT) | instid1(VALU_DEP_1)
	v_add_lshl_u32 v7, v7, v4, 4
	v_add_nc_u32_e32 v35, 0x2100, v7
	v_add_nc_u32_e32 v8, 0x1080, v7
	;; [unrolled: 1-line block ×3, first 2 shown]
	s_waitcnt vmcnt(3)
	ds_store_2addr_b64 v7, v[19:20], v[21:22] offset1:1
	s_waitcnt vmcnt(2)
	ds_store_2addr_b64 v8, v[23:24], v[25:26] offset1:1
	;; [unrolled: 2-line block ×4, first 2 shown]
	s_cbranch_execz .LBB24_59
	s_branch .LBB24_76
.LBB24_58:
.LBB24_59:
	v_lshlrev_b32_e32 v19, 4, v4
	s_ashr_i32 s13, s12, 31
	v_or_b32_e32 v20, 32, v4
	s_lshl_b64 s[18:19], s[12:13], 4
	s_sub_i32 s13, s12, 32
	v_sub_co_u32 v7, vcc_lo, v5, v19
	v_subrev_co_ci_u32_e32 v8, vcc_lo, 0, v6, vcc_lo
	v_cmp_le_i32_e64 s7, s13, v9
	s_delay_alu instid0(VALU_DEP_3) | instskip(NEXT) | instid1(VALU_DEP_3)
	v_add_co_u32 v7, vcc_lo, v7, s18
	v_add_co_ci_u32_e32 v8, vcc_lo, s19, v8, vcc_lo
	s_delay_alu instid0(VALU_DEP_2) | instskip(NEXT) | instid1(VALU_DEP_2)
	v_add_co_u32 v7, vcc_lo, 0xfffffdf0, v7
	v_add_co_ci_u32_e32 v8, vcc_lo, -1, v8, vcc_lo
	v_cmp_gt_i32_e32 vcc_lo, s12, v20
	v_mul_u32_u24_e32 v20, 33, v9
	s_delay_alu instid0(VALU_DEP_3) | instskip(NEXT) | instid1(VALU_DEP_2)
	v_dual_cndmask_b32 v8, v8, v6 :: v_dual_cndmask_b32 v7, v7, v5
	v_add_lshl_u32 v20, v20, v4, 4
	s_and_saveexec_b32 s21, s7
	s_delay_alu instid0(SALU_CYCLE_1)
	s_xor_b32 s7, exec_lo, s21
	s_cbranch_execz .LBB24_61
; %bb.60:
	v_mov_b32_e32 v21, 0
	s_delay_alu instid0(VALU_DEP_1)
	v_mov_b32_e32 v22, v21
	v_mov_b32_e32 v23, v21
	v_mov_b32_e32 v24, v21
	ds_store_b128 v20, v[21:24]
.LBB24_61:
	s_and_not1_saveexec_b32 s7, s7
	s_cbranch_execz .LBB24_63
; %bb.62:
	global_load_b128 v[21:24], v[7:8], off
	s_waitcnt vmcnt(0)
	ds_store_2addr_b64 v20, v[21:22], v[23:24] offset1:1
.LBB24_63:
	s_or_b32 exec_lo, exec_lo, s7
	v_add_nc_u32_e32 v21, 8, v9
	s_delay_alu instid0(VALU_DEP_1) | instskip(NEXT) | instid1(VALU_DEP_1)
	v_cmp_le_i32_e64 s7, s13, v21
	s_and_saveexec_b32 s21, s7
	s_delay_alu instid0(SALU_CYCLE_1)
	s_xor_b32 s7, exec_lo, s21
	s_cbranch_execz .LBB24_65
; %bb.64:
	v_mul_u32_u24_e32 v22, 33, v21
	v_mov_b32_e32 v21, 0
	s_delay_alu instid0(VALU_DEP_2) | instskip(NEXT) | instid1(VALU_DEP_2)
	v_add_lshl_u32 v25, v22, v4, 4
	v_mov_b32_e32 v22, v21
	v_mov_b32_e32 v23, v21
	;; [unrolled: 1-line block ×3, first 2 shown]
	ds_store_b128 v25, v[21:24]
.LBB24_65:
	s_and_not1_saveexec_b32 s21, s7
	s_cbranch_execz .LBB24_67
; %bb.66:
	s_lshl_b64 s[22:23], s[24:25], 7
	v_add_nc_u32_e32 v25, 0x1080, v20
	v_add_co_u32 v21, s7, v7, s22
	s_delay_alu instid0(VALU_DEP_1)
	v_add_co_ci_u32_e64 v22, s7, s23, v8, s7
	global_load_b128 v[21:24], v[21:22], off
	s_waitcnt vmcnt(0)
	ds_store_2addr_b64 v25, v[21:22], v[23:24] offset1:1
.LBB24_67:
	s_or_b32 exec_lo, exec_lo, s21
	v_add_nc_u32_e32 v21, 16, v9
	s_delay_alu instid0(VALU_DEP_1) | instskip(NEXT) | instid1(VALU_DEP_1)
	v_cmp_le_i32_e64 s7, s13, v21
	s_and_saveexec_b32 s21, s7
	s_delay_alu instid0(SALU_CYCLE_1)
	s_xor_b32 s7, exec_lo, s21
	s_cbranch_execz .LBB24_69
; %bb.68:
	v_mov_b32_e32 v21, 0
	s_delay_alu instid0(VALU_DEP_1)
	v_mov_b32_e32 v22, v21
	v_mov_b32_e32 v23, v21
	;; [unrolled: 1-line block ×3, first 2 shown]
	ds_store_b128 v20, v[21:24] offset:8448
.LBB24_69:
	s_and_not1_saveexec_b32 s21, s7
	s_cbranch_execz .LBB24_71
; %bb.70:
	s_lshl_b64 s[22:23], s[24:25], 8
	v_add_nc_u32_e32 v25, 0x2100, v20
	v_add_co_u32 v21, s7, v7, s22
	s_delay_alu instid0(VALU_DEP_1)
	v_add_co_ci_u32_e64 v22, s7, s23, v8, s7
	global_load_b128 v[21:24], v[21:22], off
	s_waitcnt vmcnt(0)
	ds_store_2addr_b64 v25, v[21:22], v[23:24] offset1:1
.LBB24_71:
	s_or_b32 exec_lo, exec_lo, s21
	v_add_nc_u32_e32 v21, 24, v9
	s_delay_alu instid0(VALU_DEP_1) | instskip(NEXT) | instid1(VALU_DEP_1)
	v_cmp_le_i32_e64 s7, s13, v21
	s_and_saveexec_b32 s13, s7
	s_delay_alu instid0(SALU_CYCLE_1)
	s_xor_b32 s7, exec_lo, s13
	s_cbranch_execz .LBB24_73
; %bb.72:
	v_mov_b32_e32 v21, 0
	s_delay_alu instid0(VALU_DEP_1)
	v_mov_b32_e32 v22, v21
	v_mov_b32_e32 v23, v21
	;; [unrolled: 1-line block ×3, first 2 shown]
	ds_store_b128 v20, v[21:24] offset:12672
                                        ; implicit-def: $vgpr20
.LBB24_73:
	s_and_not1_saveexec_b32 s7, s7
	s_cbranch_execz .LBB24_75
; %bb.74:
	v_mad_u64_u32 v[21:22], null, 0x180, s24, v[7:8]
	v_add_nc_u32_e32 v20, 0x3180, v20
	s_delay_alu instid0(VALU_DEP_2) | instskip(NEXT) | instid1(VALU_DEP_1)
	v_mad_u64_u32 v[23:24], null, 0x180, s25, v[22:23]
	v_mov_b32_e32 v22, v23
	global_load_b128 v[21:24], v[21:22], off
	s_waitcnt vmcnt(0)
	ds_store_2addr_b64 v20, v[21:22], v[23:24] offset1:1
.LBB24_75:
	s_or_b32 exec_lo, exec_lo, s7
	v_add_co_u32 v7, s7, v7, v19
	s_delay_alu instid0(VALU_DEP_1) | instskip(NEXT) | instid1(VALU_DEP_2)
	v_add_co_ci_u32_e64 v8, s7, 0, v8, s7
	v_sub_co_u32 v7, s7, v7, s18
	s_delay_alu instid0(VALU_DEP_1) | instskip(NEXT) | instid1(VALU_DEP_2)
	v_subrev_co_ci_u32_e64 v8, s7, s19, v8, s7
	v_add_co_u32 v7, s7, 0x210, v7
	s_delay_alu instid0(VALU_DEP_1) | instskip(NEXT) | instid1(VALU_DEP_1)
	v_add_co_ci_u32_e64 v8, s7, 0, v8, s7
	v_dual_cndmask_b32 v5, v7, v5 :: v_dual_cndmask_b32 v6, v8, v6
.LBB24_76:
	v_add_nc_u32_e32 v13, 0x4700, v13
	s_lshl_b64 s[18:19], s[24:25], 5
	s_waitcnt lgkmcnt(0)
	s_barrier
	buffer_gl0_inv
	s_and_saveexec_b32 s7, s3
	s_delay_alu instid0(SALU_CYCLE_1)
	s_xor_b32 s3, exec_lo, s7
	s_cbranch_execnz .LBB24_89
; %bb.77:
	s_and_not1_saveexec_b32 s3, s3
	s_cbranch_execnz .LBB24_92
.LBB24_78:
	s_or_b32 exec_lo, exec_lo, s3
	s_and_saveexec_b32 s3, s4
	s_delay_alu instid0(SALU_CYCLE_1)
	s_xor_b32 s3, exec_lo, s3
	s_cbranch_execnz .LBB24_93
.LBB24_79:
	s_and_not1_saveexec_b32 s3, s3
	s_cbranch_execnz .LBB24_96
.LBB24_80:
	s_or_b32 exec_lo, exec_lo, s3
	s_and_saveexec_b32 s3, s5
	s_delay_alu instid0(SALU_CYCLE_1)
	s_xor_b32 s3, exec_lo, s3
	s_cbranch_execnz .LBB24_97
.LBB24_81:
	s_and_not1_saveexec_b32 s3, s3
	s_cbranch_execnz .LBB24_100
.LBB24_82:
	s_or_b32 exec_lo, exec_lo, s3
	s_and_saveexec_b32 s3, s6
	s_delay_alu instid0(SALU_CYCLE_1)
	s_xor_b32 s3, exec_lo, s3
	s_cbranch_execnz .LBB24_101
.LBB24_83:
	s_and_not1_saveexec_b32 s3, s3
	s_cbranch_execz .LBB24_85
.LBB24_84:
	ds_load_b128 v[19:22], v10 offset:1056
	s_waitcnt lgkmcnt(0)
	v_xor_b32_e32 v22, 0x80000000, v22
	ds_store_b128 v12, v[19:22] offset:48
.LBB24_85:
	s_or_b32 exec_lo, exec_lo, s3
	s_waitcnt lgkmcnt(0)
	s_barrier
	buffer_gl0_inv
	ds_load_b128 v[19:22], v13 offset:512
	ds_load_b128 v[14:17], v16
	ds_load_b128 v[23:26], v10
	ds_load_b128 v[27:30], v13 offset:528
	ds_load_b128 v[31:34], v13 offset:544
	v_cmp_eq_u32_e64 s3, 1, v9
	s_waitcnt lgkmcnt(1)
	v_mul_f64 v[40:41], v[29:30], v[25:26]
	v_mul_f64 v[7:8], v[21:22], v[16:17]
	;; [unrolled: 1-line block ×4, first 2 shown]
	s_delay_alu instid0(VALU_DEP_4) | instskip(NEXT) | instid1(VALU_DEP_4)
	v_fma_f64 v[27:28], v[27:28], v[23:24], -v[40:41]
	v_fma_f64 v[7:8], v[19:20], v[14:15], -v[7:8]
	s_delay_alu instid0(VALU_DEP_4)
	v_fma_f64 v[46:47], v[21:22], v[14:15], v[16:17]
	ds_load_b128 v[14:17], v10 offset:528
	ds_load_b128 v[19:22], v10 offset:1056
	v_fma_f64 v[29:30], v[29:30], v[23:24], v[25:26]
	ds_load_b128 v[23:26], v13 offset:560
	s_waitcnt lgkmcnt(0)
	s_barrier
	buffer_gl0_inv
	v_mul_f64 v[10:11], v[33:34], v[16:17]
	v_mul_f64 v[16:17], v[31:32], v[16:17]
	v_add_f64 v[7:8], v[7:8], 0
	v_add_f64 v[40:41], v[46:47], 0
	v_mul_f64 v[46:47], v[25:26], v[21:22]
	v_mul_f64 v[21:22], v[23:24], v[21:22]
	v_fma_f64 v[10:11], v[31:32], v[14:15], -v[10:11]
	v_fma_f64 v[14:15], v[33:34], v[14:15], v[16:17]
	v_add_f64 v[7:8], v[7:8], v[27:28]
	v_add_f64 v[16:17], v[40:41], v[29:30]
	v_fma_f64 v[23:24], v[23:24], v[19:20], -v[46:47]
	v_fma_f64 v[19:20], v[25:26], v[19:20], v[21:22]
	s_delay_alu instid0(VALU_DEP_4) | instskip(NEXT) | instid1(VALU_DEP_4)
	v_add_f64 v[7:8], v[7:8], v[10:11]
	v_add_f64 v[10:11], v[16:17], v[14:15]
	s_delay_alu instid0(VALU_DEP_2) | instskip(NEXT) | instid1(VALU_DEP_2)
	v_add_f64 v[14:15], v[7:8], v[23:24]
	v_add_f64 v[16:17], v[10:11], v[19:20]
	ds_store_b128 v45, v[14:17]
	s_waitcnt lgkmcnt(0)
	s_barrier
	buffer_gl0_inv
	s_and_saveexec_b32 s4, s3
	s_cbranch_execz .LBB24_87
; %bb.86:
	v_lshlrev_b32_e32 v19, 4, v44
	ds_load_b128 v[0:3], v19
	ds_load_b128 v[14:17], v19 offset:16
	s_waitcnt lgkmcnt(0)
	v_add_f64 v[7:8], v[14:15], v[0:1]
	v_add_f64 v[10:11], v[16:17], v[2:3]
	ds_load_b128 v[0:3], v19 offset:32
	ds_load_b128 v[14:17], v19 offset:48
	s_waitcnt lgkmcnt(1)
	v_add_f64 v[0:1], v[7:8], v[0:1]
	v_add_f64 v[2:3], v[10:11], v[2:3]
	s_waitcnt lgkmcnt(0)
	s_delay_alu instid0(VALU_DEP_2) | instskip(NEXT) | instid1(VALU_DEP_2)
	v_add_f64 v[7:8], v[0:1], v[14:15]
	v_add_f64 v[10:11], v[2:3], v[16:17]
	ds_load_b128 v[0:3], v19 offset:64
	ds_load_b128 v[14:17], v19 offset:80
	s_waitcnt lgkmcnt(1)
	v_add_f64 v[0:1], v[7:8], v[0:1]
	v_add_f64 v[2:3], v[10:11], v[2:3]
	s_waitcnt lgkmcnt(0)
	s_delay_alu instid0(VALU_DEP_2) | instskip(NEXT) | instid1(VALU_DEP_2)
	;; [unrolled: 9-line block ×3, first 2 shown]
	v_add_f64 v[0:1], v[0:1], v[14:15]
	v_add_f64 v[2:3], v[2:3], v[16:17]
.LBB24_87:
	s_or_b32 exec_lo, exec_lo, s4
	s_lshl_b64 s[4:5], s[18:19], 4
	v_cmp_ne_u32_e32 vcc_lo, 1, v18
	v_sub_co_u32 v40, s4, v5, s4
	s_delay_alu instid0(VALU_DEP_1)
	v_subrev_co_ci_u32_e64 v41, s4, s5, v6, s4
	s_barrier
	buffer_gl0_inv
	s_cbranch_vccnz .LBB24_104
; %bb.88:
	v_mad_u64_u32 v[5:6], null, 0x180, s24, v[40:41]
	s_lshl_b64 s[4:5], s[24:25], 7
	s_delay_alu instid0(SALU_CYCLE_1) | instskip(SKIP_1) | instid1(VALU_DEP_3)
	v_add_co_u32 v10, vcc_lo, v40, s4
	v_add_co_ci_u32_e32 v11, vcc_lo, s5, v41, vcc_lo
	v_mad_u64_u32 v[7:8], null, 0x180, s25, v[6:7]
	s_delay_alu instid0(VALU_DEP_3) | instskip(NEXT) | instid1(VALU_DEP_3)
	v_add_co_u32 v23, vcc_lo, v10, s4
	v_add_co_ci_u32_e32 v24, vcc_lo, s5, v11, vcc_lo
	v_add_nc_u32_e32 v8, 16, v9
	s_delay_alu instid0(VALU_DEP_4)
	v_dual_mov_b32 v6, v7 :: v_dual_add_nc_u32 v7, 8, v9
	s_clause 0x3
	global_load_b128 v[15:18], v[40:41], off
	global_load_b128 v[19:22], v[10:11], off
	;; [unrolled: 1-line block ×4, first 2 shown]
	v_mad_u32_u24 v11, v9, 33, v4
	v_add_nc_u32_e32 v10, 24, v9
	s_delay_alu instid0(VALU_DEP_2) | instskip(SKIP_3) | instid1(VALU_DEP_4)
	v_lshlrev_b32_e32 v31, 4, v11
	v_add_nc_u32_e32 v6, 0x108, v11
	v_add_nc_u32_e32 v5, 0x210, v11
	;; [unrolled: 1-line block ×6, first 2 shown]
	s_waitcnt vmcnt(3)
	ds_store_2addr_b64 v31, v[15:16], v[17:18] offset1:1
	s_waitcnt vmcnt(2)
	ds_store_2addr_b64 v32, v[19:20], v[21:22] offset1:1
	;; [unrolled: 2-line block ×4, first 2 shown]
	s_cbranch_execz .LBB24_105
	s_branch .LBB24_122
.LBB24_89:
	s_mov_b32 s7, exec_lo
	v_cmpx_eq_u32_e64 v11, v4
	s_cbranch_execz .LBB24_91
; %bb.90:
	v_mul_u32_u24_e32 v8, 34, v4
	v_mov_b32_e32 v7, 0
	s_delay_alu instid0(VALU_DEP_1)
	v_dual_mov_b32 v8, v7 :: v_dual_lshlrev_b32 v11, 4, v8
	ds_store_b64 v11, v[7:8] offset:8
.LBB24_91:
	s_or_b32 exec_lo, exec_lo, s7
	s_and_not1_saveexec_b32 s3, s3
	s_cbranch_execz .LBB24_78
.LBB24_92:
	ds_load_b128 v[19:22], v16
	s_waitcnt lgkmcnt(0)
	v_xor_b32_e32 v22, 0x80000000, v22
	ds_store_b128 v12, v[19:22]
	s_or_b32 exec_lo, exec_lo, s3
	s_and_saveexec_b32 s3, s4
	s_delay_alu instid0(SALU_CYCLE_1)
	s_xor_b32 s3, exec_lo, s3
	s_cbranch_execz .LBB24_79
.LBB24_93:
	s_mov_b32 s4, exec_lo
	v_cmpx_eq_u32_e64 v14, v4
	s_cbranch_execz .LBB24_95
; %bb.94:
	v_mul_u32_u24_e32 v8, 34, v4
	v_mov_b32_e32 v7, 0
	s_delay_alu instid0(VALU_DEP_1)
	v_dual_mov_b32 v8, v7 :: v_dual_lshlrev_b32 v11, 4, v8
	ds_store_b64 v11, v[7:8] offset:8
.LBB24_95:
	s_or_b32 exec_lo, exec_lo, s4
	s_and_not1_saveexec_b32 s3, s3
	s_cbranch_execz .LBB24_80
.LBB24_96:
	ds_load_b128 v[19:22], v10
	s_waitcnt lgkmcnt(0)
	v_xor_b32_e32 v22, 0x80000000, v22
	ds_store_b128 v12, v[19:22] offset:16
	s_or_b32 exec_lo, exec_lo, s3
	s_and_saveexec_b32 s3, s5
	s_delay_alu instid0(SALU_CYCLE_1)
	s_xor_b32 s3, exec_lo, s3
	s_cbranch_execz .LBB24_81
.LBB24_97:
	s_mov_b32 s4, exec_lo
	v_cmpx_eq_u32_e64 v15, v4
	s_cbranch_execz .LBB24_99
; %bb.98:
	v_mul_u32_u24_e32 v8, 34, v4
	v_mov_b32_e32 v7, 0
	s_delay_alu instid0(VALU_DEP_1)
	v_dual_mov_b32 v8, v7 :: v_dual_lshlrev_b32 v11, 4, v8
	ds_store_b64 v11, v[7:8] offset:8
.LBB24_99:
	s_or_b32 exec_lo, exec_lo, s4
	s_and_not1_saveexec_b32 s3, s3
	s_cbranch_execz .LBB24_82
.LBB24_100:
	ds_load_b128 v[19:22], v10 offset:528
	s_waitcnt lgkmcnt(0)
	v_xor_b32_e32 v22, 0x80000000, v22
	ds_store_b128 v12, v[19:22] offset:32
	s_or_b32 exec_lo, exec_lo, s3
	s_and_saveexec_b32 s3, s6
	s_delay_alu instid0(SALU_CYCLE_1)
	s_xor_b32 s3, exec_lo, s3
	s_cbranch_execz .LBB24_83
.LBB24_101:
	s_mov_b32 s4, exec_lo
	v_cmpx_eq_u32_e64 v17, v4
	s_cbranch_execz .LBB24_103
; %bb.102:
	v_mul_u32_u24_e32 v8, 34, v4
	v_mov_b32_e32 v7, 0
	s_delay_alu instid0(VALU_DEP_1)
	v_dual_mov_b32 v8, v7 :: v_dual_lshlrev_b32 v11, 4, v8
	ds_store_b64 v11, v[7:8] offset:8
.LBB24_103:
	s_or_b32 exec_lo, exec_lo, s4
	s_and_not1_saveexec_b32 s3, s3
	s_cbranch_execnz .LBB24_84
	s_branch .LBB24_85
.LBB24_104:
                                        ; implicit-def: $vgpr11
                                        ; implicit-def: $vgpr7
                                        ; implicit-def: $vgpr6
                                        ; implicit-def: $vgpr8
                                        ; implicit-def: $vgpr5
                                        ; implicit-def: $vgpr10
                                        ; implicit-def: $vgpr14
.LBB24_105:
	v_lshlrev_b32_e32 v15, 4, v4
	s_ashr_i32 s13, s12, 31
	v_or_b32_e32 v7, 32, v4
	s_lshl_b64 s[6:7], s[12:13], 4
	v_mad_u32_u24 v11, v9, 33, v4
	v_sub_co_u32 v5, vcc_lo, v40, v15
	v_subrev_co_ci_u32_e32 v6, vcc_lo, 0, v41, vcc_lo
	v_cmp_le_i32_e64 s4, s12, v9
	s_delay_alu instid0(VALU_DEP_3) | instskip(NEXT) | instid1(VALU_DEP_3)
	v_add_co_u32 v5, vcc_lo, v5, s6
	v_add_co_ci_u32_e32 v6, vcc_lo, s7, v6, vcc_lo
	v_lshlrev_b32_e32 v16, 4, v11
	s_delay_alu instid0(VALU_DEP_3) | instskip(NEXT) | instid1(VALU_DEP_3)
	v_add_co_u32 v5, vcc_lo, 0xfffffdf0, v5
	v_add_co_ci_u32_e32 v6, vcc_lo, -1, v6, vcc_lo
	v_cmp_gt_i32_e32 vcc_lo, s12, v7
	s_delay_alu instid0(VALU_DEP_2) | instskip(SKIP_1) | instid1(SALU_CYCLE_1)
	v_dual_cndmask_b32 v6, v6, v41 :: v_dual_cndmask_b32 v5, v5, v40
	s_and_saveexec_b32 s5, s4
	s_xor_b32 s4, exec_lo, s5
	s_cbranch_execz .LBB24_107
; %bb.106:
	v_mov_b32_e32 v17, 0
	s_delay_alu instid0(VALU_DEP_1)
	v_mov_b32_e32 v18, v17
	v_mov_b32_e32 v19, v17
	;; [unrolled: 1-line block ×3, first 2 shown]
	ds_store_b128 v16, v[17:20]
.LBB24_107:
	s_and_not1_saveexec_b32 s4, s4
	s_cbranch_execz .LBB24_109
; %bb.108:
	global_load_b128 v[17:20], v[5:6], off
	s_waitcnt vmcnt(0)
	ds_store_2addr_b64 v16, v[17:18], v[19:20] offset1:1
.LBB24_109:
	s_or_b32 exec_lo, exec_lo, s4
	v_add_nc_u32_e32 v7, 8, v9
	s_delay_alu instid0(VALU_DEP_1) | instskip(NEXT) | instid1(VALU_DEP_1)
	v_cmp_le_i32_e64 s4, s12, v7
	s_and_saveexec_b32 s5, s4
	s_delay_alu instid0(SALU_CYCLE_1)
	s_xor_b32 s4, exec_lo, s5
	s_cbranch_execz .LBB24_111
; %bb.110:
	v_mul_u32_u24_e32 v8, 33, v7
	v_mov_b32_e32 v17, 0
	s_delay_alu instid0(VALU_DEP_2) | instskip(NEXT) | instid1(VALU_DEP_2)
	v_add_lshl_u32 v8, v8, v4, 4
	v_mov_b32_e32 v18, v17
	v_mov_b32_e32 v19, v17
	;; [unrolled: 1-line block ×3, first 2 shown]
	ds_store_b128 v8, v[17:20]
.LBB24_111:
	s_and_not1_saveexec_b32 s5, s4
	s_cbranch_execz .LBB24_113
; %bb.112:
	s_lshl_b64 s[18:19], s[24:25], 7
	v_add_nc_u32_e32 v8, 0x1080, v16
	v_add_co_u32 v17, s4, v5, s18
	s_delay_alu instid0(VALU_DEP_1)
	v_add_co_ci_u32_e64 v18, s4, s19, v6, s4
	global_load_b128 v[17:20], v[17:18], off
	s_waitcnt vmcnt(0)
	ds_store_2addr_b64 v8, v[17:18], v[19:20] offset1:1
.LBB24_113:
	s_or_b32 exec_lo, exec_lo, s5
	v_add_nc_u32_e32 v8, 16, v9
	s_delay_alu instid0(VALU_DEP_1) | instskip(NEXT) | instid1(VALU_DEP_1)
	v_cmp_le_i32_e64 s4, s12, v8
	s_and_saveexec_b32 s5, s4
	s_delay_alu instid0(SALU_CYCLE_1)
	s_xor_b32 s4, exec_lo, s5
	s_cbranch_execz .LBB24_115
; %bb.114:
	v_mul_u32_u24_e32 v10, 33, v8
	v_mov_b32_e32 v17, 0
	s_delay_alu instid0(VALU_DEP_2) | instskip(NEXT) | instid1(VALU_DEP_2)
	v_add_lshl_u32 v4, v10, v4, 4
	v_mov_b32_e32 v18, v17
	v_mov_b32_e32 v19, v17
	v_mov_b32_e32 v20, v17
	ds_store_b128 v4, v[17:20]
.LBB24_115:
	s_and_not1_saveexec_b32 s5, s4
	s_cbranch_execz .LBB24_117
; %bb.116:
	s_lshl_b64 s[18:19], s[24:25], 8
	v_add_nc_u32_e32 v4, 0x2100, v16
	v_add_co_u32 v17, s4, v5, s18
	s_delay_alu instid0(VALU_DEP_1)
	v_add_co_ci_u32_e64 v18, s4, s19, v6, s4
	global_load_b128 v[17:20], v[17:18], off
	s_waitcnt vmcnt(0)
	ds_store_2addr_b64 v4, v[17:18], v[19:20] offset1:1
.LBB24_117:
	s_or_b32 exec_lo, exec_lo, s5
	v_add_nc_u32_e32 v10, 24, v9
                                        ; implicit-def: $vgpr14
	s_delay_alu instid0(VALU_DEP_1) | instskip(NEXT) | instid1(VALU_DEP_1)
	v_cmp_le_i32_e64 s4, s12, v10
	s_and_saveexec_b32 s5, s4
	s_delay_alu instid0(SALU_CYCLE_1)
	s_xor_b32 s4, exec_lo, s5
	s_cbranch_execz .LBB24_119
; %bb.118:
	v_dual_mov_b32 v17, 0 :: v_dual_add_nc_u32 v14, 0x318, v11
	s_delay_alu instid0(VALU_DEP_1)
	v_mov_b32_e32 v18, v17
	v_mov_b32_e32 v19, v17
	;; [unrolled: 1-line block ×3, first 2 shown]
	ds_store_b128 v16, v[17:20] offset:12672
                                        ; implicit-def: $vgpr16
.LBB24_119:
	s_and_not1_saveexec_b32 s4, s4
	s_cbranch_execz .LBB24_121
; %bb.120:
	v_mad_u64_u32 v[17:18], null, 0x180, s24, v[5:6]
	v_add_nc_u32_e32 v14, 0x318, v11
	s_delay_alu instid0(VALU_DEP_2) | instskip(NEXT) | instid1(VALU_DEP_1)
	v_mov_b32_e32 v4, v18
	v_mad_u64_u32 v[18:19], null, 0x180, s25, v[4:5]
	v_add_nc_u32_e32 v4, 0x3180, v16
	global_load_b128 v[17:20], v[17:18], off
	s_waitcnt vmcnt(0)
	ds_store_2addr_b64 v4, v[17:18], v[19:20] offset1:1
.LBB24_121:
	s_or_b32 exec_lo, exec_lo, s4
	v_add_co_u32 v4, s4, v5, v15
	s_delay_alu instid0(VALU_DEP_1) | instskip(NEXT) | instid1(VALU_DEP_2)
	v_add_co_ci_u32_e64 v5, s4, 0, v6, s4
	v_sub_co_u32 v4, s4, v4, s6
	s_delay_alu instid0(VALU_DEP_1) | instskip(NEXT) | instid1(VALU_DEP_2)
	v_subrev_co_ci_u32_e64 v5, s4, s7, v5, s4
	v_add_co_u32 v4, s4, 0x210, v4
	s_delay_alu instid0(VALU_DEP_1) | instskip(SKIP_1) | instid1(VALU_DEP_2)
	v_add_co_ci_u32_e64 v5, s4, 0, v5, s4
	v_add_nc_u32_e32 v6, 0x108, v11
	v_dual_cndmask_b32 v40, v4, v40 :: v_dual_cndmask_b32 v41, v5, v41
	v_add_nc_u32_e32 v5, 0x210, v11
.LBB24_122:
	v_lshlrev_b32_e32 v4, 4, v9
	v_lshlrev_b32_e32 v9, 4, v11
	s_waitcnt lgkmcnt(0)
	s_barrier
	buffer_gl0_inv
	ds_load_b128 v[15:18], v4 offset:18176
	ds_load_b128 v[19:22], v9
	v_lshlrev_b32_e32 v4, 4, v7
	v_lshlrev_b32_e32 v6, 4, v6
	;; [unrolled: 1-line block ×3, first 2 shown]
	s_waitcnt lgkmcnt(0)
	v_mul_f64 v[29:30], v[17:18], v[21:22]
	v_mul_f64 v[31:32], v[15:16], v[21:22]
	ds_load_b128 v[21:24], v4 offset:18176
	ds_load_b128 v[25:28], v6
	v_lshlrev_b32_e32 v4, 4, v8
	v_lshlrev_b32_e32 v8, 4, v5
	s_waitcnt lgkmcnt(0)
	v_mul_f64 v[33:34], v[23:24], v[27:28]
	v_mul_f64 v[27:28], v[21:22], v[27:28]
	v_fma_f64 v[29:30], v[15:16], v[19:20], -v[29:30]
	v_fma_f64 v[19:20], v[17:18], v[19:20], v[31:32]
	ds_load_b128 v[4:7], v4 offset:18176
	ds_load_b128 v[15:18], v8
	v_lshlrev_b32_e32 v8, 4, v10
	s_waitcnt lgkmcnt(0)
	v_mul_f64 v[31:32], v[6:7], v[17:18]
	v_mul_f64 v[46:47], v[4:5], v[17:18]
	v_fma_f64 v[21:22], v[21:22], v[25:26], -v[33:34]
	v_fma_f64 v[23:24], v[23:24], v[25:26], v[27:28]
	v_add_f64 v[25:26], v[29:30], 0
	v_add_f64 v[27:28], v[19:20], 0
	ds_load_b128 v[8:11], v8 offset:18176
	ds_load_b128 v[17:20], v14
	s_waitcnt lgkmcnt(0)
	v_mul_f64 v[29:30], v[10:11], v[19:20]
	v_mul_f64 v[19:20], v[8:9], v[19:20]
	v_fma_f64 v[4:5], v[4:5], v[15:16], -v[31:32]
	v_fma_f64 v[6:7], v[6:7], v[15:16], v[46:47]
	v_add_f64 v[14:15], v[25:26], v[21:22]
	v_add_f64 v[21:22], v[27:28], v[23:24]
	v_fma_f64 v[8:9], v[8:9], v[17:18], -v[29:30]
	v_fma_f64 v[10:11], v[10:11], v[17:18], v[19:20]
	s_delay_alu instid0(VALU_DEP_4) | instskip(NEXT) | instid1(VALU_DEP_4)
	v_add_f64 v[4:5], v[14:15], v[4:5]
	v_add_f64 v[6:7], v[21:22], v[6:7]
	s_delay_alu instid0(VALU_DEP_2) | instskip(NEXT) | instid1(VALU_DEP_2)
	v_add_f64 v[46:47], v[4:5], v[8:9]
	v_add_f64 v[48:49], v[6:7], v[10:11]
	ds_load_b128 v[28:31], v12
	ds_load_b128 v[20:23], v12 offset:16
	ds_load_b128 v[8:11], v12 offset:32
	;; [unrolled: 1-line block ×7, first 2 shown]
	s_waitcnt lgkmcnt(0)
	s_barrier
	buffer_gl0_inv
	ds_store_b128 v45, v[46:49]
	s_waitcnt lgkmcnt(0)
	s_barrier
	buffer_gl0_inv
	s_and_saveexec_b32 s4, s3
	s_cbranch_execz .LBB24_124
; %bb.123:
	v_lshlrev_b32_e32 v54, 4, v44
	ds_load_b128 v[46:49], v54
	ds_load_b128 v[50:53], v54 offset:16
	s_waitcnt lgkmcnt(1)
	v_add_f64 v[0:1], v[0:1], v[46:47]
	v_add_f64 v[2:3], v[2:3], v[48:49]
	s_waitcnt lgkmcnt(0)
	s_delay_alu instid0(VALU_DEP_2) | instskip(NEXT) | instid1(VALU_DEP_2)
	v_add_f64 v[50:51], v[0:1], v[50:51]
	v_add_f64 v[52:53], v[2:3], v[52:53]
	ds_load_b128 v[0:3], v54 offset:32
	ds_load_b128 v[46:49], v54 offset:48
	s_waitcnt lgkmcnt(1)
	v_add_f64 v[0:1], v[50:51], v[0:1]
	v_add_f64 v[2:3], v[52:53], v[2:3]
	s_waitcnt lgkmcnt(0)
	s_delay_alu instid0(VALU_DEP_2) | instskip(NEXT) | instid1(VALU_DEP_2)
	v_add_f64 v[50:51], v[0:1], v[46:47]
	v_add_f64 v[52:53], v[2:3], v[48:49]
	ds_load_b128 v[0:3], v54 offset:64
	;; [unrolled: 9-line block ×3, first 2 shown]
	ds_load_b128 v[46:49], v54 offset:112
	s_waitcnt lgkmcnt(1)
	v_add_f64 v[0:1], v[50:51], v[0:1]
	v_add_f64 v[2:3], v[52:53], v[2:3]
	s_waitcnt lgkmcnt(0)
	s_delay_alu instid0(VALU_DEP_2) | instskip(NEXT) | instid1(VALU_DEP_2)
	v_add_f64 v[0:1], v[0:1], v[46:47]
	v_add_f64 v[2:3], v[2:3], v[48:49]
.LBB24_124:
	s_or_b32 exec_lo, exec_lo, s4
	v_mul_f64 v[46:47], v[30:31], v[34:35]
	v_mul_f64 v[30:31], v[30:31], v[32:33]
	;; [unrolled: 1-line block ×4, first 2 shown]
	s_barrier
	buffer_gl0_inv
	v_fma_f64 v[32:33], v[28:29], v[32:33], v[46:47]
	v_fma_f64 v[28:29], v[28:29], v[34:35], -v[30:31]
	v_mul_f64 v[30:31], v[10:11], v[18:19]
	v_mul_f64 v[10:11], v[10:11], v[16:17]
	v_fma_f64 v[24:25], v[20:21], v[24:25], v[48:49]
	v_fma_f64 v[20:21], v[20:21], v[26:27], -v[22:23]
	v_add_f64 v[22:23], v[32:33], 0
	v_add_f64 v[26:27], v[28:29], 0
	v_mul_f64 v[28:29], v[6:7], v[14:15]
	v_mul_f64 v[6:7], v[6:7], v[12:13]
	v_fma_f64 v[16:17], v[8:9], v[16:17], v[30:31]
	v_fma_f64 v[8:9], v[8:9], v[18:19], -v[10:11]
	v_add_f64 v[10:11], v[22:23], v[24:25]
	v_add_f64 v[18:19], v[26:27], v[20:21]
	v_fma_f64 v[12:13], v[4:5], v[12:13], v[28:29]
	v_fma_f64 v[6:7], v[4:5], v[14:15], -v[6:7]
	s_delay_alu instid0(VALU_DEP_4) | instskip(NEXT) | instid1(VALU_DEP_4)
	v_add_f64 v[4:5], v[10:11], v[16:17]
	v_add_f64 v[8:9], v[18:19], v[8:9]
	s_delay_alu instid0(VALU_DEP_2) | instskip(NEXT) | instid1(VALU_DEP_2)
	v_add_f64 v[4:5], v[4:5], v[12:13]
	v_add_f64 v[6:7], v[8:9], v[6:7]
	ds_store_b128 v45, v[4:7]
	s_waitcnt lgkmcnt(0)
	s_barrier
	buffer_gl0_inv
	s_and_saveexec_b32 s3, s2
	s_cbranch_execz .LBB24_126
; %bb.125:
	v_lshlrev_b32_e32 v12, 4, v44
	ds_load_b128 v[4:7], v12
	ds_load_b128 v[8:11], v12 offset:16
	s_waitcnt lgkmcnt(1)
	v_add_f64 v[0:1], v[0:1], v[4:5]
	v_add_f64 v[2:3], v[2:3], v[6:7]
	s_waitcnt lgkmcnt(0)
	s_delay_alu instid0(VALU_DEP_2) | instskip(NEXT) | instid1(VALU_DEP_2)
	v_add_f64 v[8:9], v[0:1], v[8:9]
	v_add_f64 v[10:11], v[2:3], v[10:11]
	ds_load_b128 v[0:3], v12 offset:32
	ds_load_b128 v[4:7], v12 offset:48
	s_waitcnt lgkmcnt(1)
	v_add_f64 v[0:1], v[8:9], v[0:1]
	v_add_f64 v[2:3], v[10:11], v[2:3]
	s_waitcnt lgkmcnt(0)
	s_delay_alu instid0(VALU_DEP_2) | instskip(NEXT) | instid1(VALU_DEP_2)
	v_add_f64 v[8:9], v[0:1], v[4:5]
	v_add_f64 v[10:11], v[2:3], v[6:7]
	ds_load_b128 v[0:3], v12 offset:64
	;; [unrolled: 9-line block ×3, first 2 shown]
	ds_load_b128 v[4:7], v12 offset:112
	s_waitcnt lgkmcnt(1)
	v_add_f64 v[0:1], v[8:9], v[0:1]
	v_add_f64 v[2:3], v[10:11], v[2:3]
	s_waitcnt lgkmcnt(0)
	s_delay_alu instid0(VALU_DEP_2) | instskip(NEXT) | instid1(VALU_DEP_2)
	v_add_f64 v[0:1], v[0:1], v[4:5]
	v_add_f64 v[2:3], v[2:3], v[6:7]
.LBB24_126:
	s_or_b32 exec_lo, exec_lo, s3
	s_mul_hi_u32 s2, s33, s15
	s_mul_i32 s29, s29, s15
	s_mul_i32 s3, s33, s15
	s_add_i32 s2, s2, s29
	s_mul_hi_u32 s5, s3, s28
	s_mul_i32 s4, s2, s28
	s_mul_i32 s2, s3, s28
	s_add_i32 s3, s5, s4
	s_mul_i32 s4, s14, s33
	s_lshl_b64 s[2:3], s[2:3], 4
	v_cmp_le_i32_e32 vcc_lo, s12, v42
	s_add_u32 s6, s8, s2
	s_addc_u32 s7, s9, s3
	s_ashr_i32 s5, s4, 31
	v_lshlrev_b32_e32 v139, 4, v42
	s_lshl_b64 s[2:3], s[4:5], 4
	s_delay_alu instid0(SALU_CYCLE_1)
	s_add_u32 s6, s6, s2
	s_addc_u32 s7, s7, s3
	s_and_b32 vcc_lo, s20, vcc_lo
	s_cmp_lt_i32 s14, 1
	s_barrier
	buffer_gl0_inv
	s_cbranch_scc1 .LBB24_133
; %bb.127:
	v_lshlrev_b32_e32 v8, 2, v138
	s_ashr_i32 s13, s12, 31
	v_mov_b32_e32 v135, 0
	s_lshl_b64 s[8:9], s[12:13], 4
	s_mul_i32 s3, s10, s37
	v_mad_u64_u32 v[4:5], null, v8, s24, 0
	s_mul_hi_u32 s5, s10, s36
	s_mul_i32 s11, s11, s36
	s_add_i32 s3, s5, s3
	s_mul_i32 s4, s10, s36
	s_add_i32 s5, s3, s11
	v_or_b32_e32 v10, 0xf0, v139
	s_delay_alu instid0(VALU_DEP_2) | instskip(SKIP_1) | instid1(VALU_DEP_1)
	v_mad_u64_u32 v[6:7], null, v8, s25, v[5:6]
	v_sub_co_u32 v8, s2, v40, s16
	v_subrev_co_ci_u32_e64 v9, s2, s17, v41, s2
	s_lshl_b64 s[4:5], s[4:5], 4
	s_delay_alu instid0(VALU_DEP_2) | instskip(NEXT) | instid1(VALU_DEP_4)
	v_sub_co_u32 v8, s2, v8, v38
	v_dual_mov_b32 v5, v6 :: v_dual_and_b32 v6, 48, v42
	s_delay_alu instid0(VALU_DEP_3) | instskip(SKIP_1) | instid1(VALU_DEP_3)
	v_sub_co_ci_u32_e64 v9, s2, v9, v39, s2
	v_add_nc_u32_e32 v142, 0x4300, v139
	v_lshlrev_b64 v[4:5], 4, v[4:5]
	v_add_nc_u32_e32 v143, 0x4700, v139
	v_lshl_add_u32 v147, v138, 6, 0x4300
	v_mad_u32_u24 v148, 0x10c0, v138, v139
	s_mul_i32 s3, s25, 0xd0
	s_mov_b32 s10, 0
	v_add_co_u32 v4, s2, v8, v4
	s_delay_alu instid0(VALU_DEP_1) | instskip(NEXT) | instid1(VALU_DEP_2)
	v_add_co_ci_u32_e64 v5, s2, v9, v5, s2
	v_add_co_u32 v8, s2, v4, s8
	s_delay_alu instid0(VALU_DEP_1) | instskip(SKIP_1) | instid1(VALU_DEP_1)
	v_add_co_ci_u32_e64 v9, s2, s9, v5, s2
	v_add_co_u32 v4, s2, v4, v139
	v_add_co_ci_u32_e64 v5, s2, 0, v5, s2
	s_delay_alu instid0(VALU_DEP_4) | instskip(NEXT) | instid1(VALU_DEP_1)
	v_add_co_u32 v8, s2, 0xfffffdf0, v8
	v_add_co_ci_u32_e64 v9, s2, -1, v9, s2
	s_delay_alu instid0(VALU_DEP_4) | instskip(NEXT) | instid1(VALU_DEP_1)
	v_add_co_u32 v4, s2, 0xfffffe00, v4
	v_add_co_ci_u32_e64 v5, s2, -1, v5, s2
	s_delay_alu instid0(VALU_DEP_2) | instskip(NEXT) | instid1(VALU_DEP_2)
	v_dual_cndmask_b32 v4, v4, v8 :: v_dual_and_b32 v7, 15, v42
	v_dual_cndmask_b32 v5, v5, v9 :: v_dual_lshlrev_b32 v8, 2, v43
	v_lshlrev_b32_e32 v9, 4, v6
	v_sub_co_u32 v140, s2, v36, s4
	s_delay_alu instid0(VALU_DEP_3) | instskip(SKIP_1) | instid1(VALU_DEP_4)
	v_and_b32_e32 v8, 0x7ffc0, v8
	v_subrev_co_ci_u32_e64 v141, s2, s5, v37, s2
	v_mad_u32_u24 v144, 0x430, v7, v9
	v_and_b32_e32 v9, 0x1fff0, v43
	v_cmp_gt_u32_e64 s2, 64, v43
	v_mad_u32_u24 v145, 0x430, v7, v10
	v_mad_u32_u24 v146, 0x430, v7, v8
	v_or_b32_e32 v150, v6, v7
	v_mad_u32_u24 v149, 0x430, v7, v9
	s_mul_hi_u32 s8, s24, 0xd0
	s_lshl_b64 s[4:5], s[24:25], 4
	s_add_i32 s8, s8, s3
	s_mul_i32 s9, s24, 0xd0
	s_branch .LBB24_129
.LBB24_128:                             ;   in Loop: Header=BB24_129 Depth=1
	s_or_b32 exec_lo, exec_lo, s11
	v_mul_f64 v[151:152], v[10:11], v[38:39]
	v_mul_f64 v[38:39], v[8:9], v[38:39]
	;; [unrolled: 1-line block ×4, first 2 shown]
	s_add_i32 s14, s14, -1
	s_add_i32 s10, s10, 64
	s_cmp_eq_u32 s14, 0
	s_waitcnt_vscnt null, 0x0
	s_barrier
	buffer_gl0_inv
	v_fma_f64 v[8:9], v[8:9], v[36:37], -v[151:152]
	v_fma_f64 v[10:11], v[10:11], v[36:37], v[38:39]
	v_mul_f64 v[36:37], v[14:15], v[46:47]
	v_mul_f64 v[38:39], v[12:13], v[46:47]
	v_fma_f64 v[16:17], v[16:17], v[48:49], -v[153:154]
	v_fma_f64 v[18:19], v[18:19], v[48:49], v[50:51]
	v_add_f64 v[0:1], v[0:1], v[8:9]
	v_add_f64 v[2:3], v[2:3], v[10:11]
	v_mul_f64 v[8:9], v[6:7], v[42:43]
	v_mul_f64 v[10:11], v[4:5], v[42:43]
	v_fma_f64 v[12:13], v[12:13], v[44:45], -v[36:37]
	v_fma_f64 v[14:15], v[14:15], v[44:45], v[38:39]
	v_add_f64 v[0:1], v[0:1], v[16:17]
	v_add_f64 v[2:3], v[2:3], v[18:19]
	v_mul_f64 v[16:17], v[34:35], v[74:75]
	v_mul_f64 v[18:19], v[32:33], v[74:75]
	v_fma_f64 v[4:5], v[4:5], v[40:41], -v[8:9]
	v_fma_f64 v[6:7], v[6:7], v[40:41], v[10:11]
	v_mul_f64 v[8:9], v[30:31], v[82:83]
	v_mul_f64 v[10:11], v[28:29], v[82:83]
	v_add_f64 v[0:1], v[0:1], v[12:13]
	v_add_f64 v[2:3], v[2:3], v[14:15]
	v_fma_f64 v[12:13], v[32:33], v[72:73], -v[16:17]
	v_fma_f64 v[14:15], v[34:35], v[72:73], v[18:19]
	v_fma_f64 v[8:9], v[28:29], v[80:81], -v[8:9]
	v_fma_f64 v[10:11], v[30:31], v[80:81], v[10:11]
	v_add_f64 v[0:1], v[0:1], v[4:5]
	v_add_f64 v[2:3], v[2:3], v[6:7]
	v_mul_f64 v[4:5], v[26:27], v[78:79]
	v_mul_f64 v[6:7], v[24:25], v[78:79]
	s_delay_alu instid0(VALU_DEP_4) | instskip(NEXT) | instid1(VALU_DEP_4)
	v_add_f64 v[0:1], v[0:1], v[12:13]
	v_add_f64 v[2:3], v[2:3], v[14:15]
	v_mul_f64 v[12:13], v[22:23], v[70:71]
	v_mul_f64 v[14:15], v[20:21], v[70:71]
	v_fma_f64 v[4:5], v[24:25], v[76:77], -v[4:5]
	v_fma_f64 v[6:7], v[26:27], v[76:77], v[6:7]
	v_add_f64 v[0:1], v[0:1], v[8:9]
	v_add_f64 v[2:3], v[2:3], v[10:11]
	v_mul_f64 v[8:9], v[66:67], v[102:103]
	v_mul_f64 v[10:11], v[64:65], v[102:103]
	v_fma_f64 v[12:13], v[20:21], v[68:69], -v[12:13]
	v_fma_f64 v[14:15], v[22:23], v[68:69], v[14:15]
	;; [unrolled: 6-line block ×9, first 2 shown]
	v_add_f64 v[0:1], v[0:1], v[12:13]
	v_add_f64 v[2:3], v[2:3], v[14:15]
	v_fma_f64 v[4:5], v[104:105], v[120:121], -v[4:5]
	v_fma_f64 v[6:7], v[106:107], v[120:121], v[6:7]
	s_delay_alu instid0(VALU_DEP_4) | instskip(NEXT) | instid1(VALU_DEP_4)
	v_add_f64 v[0:1], v[0:1], v[8:9]
	v_add_f64 v[2:3], v[2:3], v[10:11]
	s_delay_alu instid0(VALU_DEP_2) | instskip(NEXT) | instid1(VALU_DEP_2)
	v_add_f64 v[0:1], v[0:1], v[4:5]
	v_add_f64 v[2:3], v[2:3], v[6:7]
	v_add_co_u32 v4, s3, v136, s9
	s_delay_alu instid0(VALU_DEP_1)
	v_add_co_ci_u32_e64 v5, s3, s8, v137, s3
	s_cbranch_scc1 .LBB24_133
.LBB24_129:                             ; =>This Inner Loop Header: Depth=1
	s_and_saveexec_b32 s11, s1
	s_cbranch_execz .LBB24_131
; %bb.130:                              ;   in Loop: Header=BB24_129 Depth=1
	s_mul_i32 s3, s10, s37
	s_mul_hi_u32 s13, s10, s36
	s_mul_i32 s12, s10, s36
	s_add_i32 s13, s13, s3
	s_delay_alu instid0(SALU_CYCLE_1) | instskip(NEXT) | instid1(SALU_CYCLE_1)
	s_lshl_b64 s[12:13], s[12:13], 4
	v_add_co_u32 v6, s3, v140, s12
	s_delay_alu instid0(VALU_DEP_1)
	v_add_co_ci_u32_e64 v7, s3, s13, v141, s3
	global_load_b128 v[6:9], v[6:7], off
	s_waitcnt vmcnt(0)
	ds_store_2addr_b64 v142, v[6:7], v[8:9] offset1:1
.LBB24_131:                             ;   in Loop: Header=BB24_129 Depth=1
	s_or_b32 exec_lo, exec_lo, s11
	v_add_co_u32 v6, s3, v4, s4
	s_delay_alu instid0(VALU_DEP_1) | instskip(SKIP_1) | instid1(VALU_DEP_2)
	v_add_co_ci_u32_e64 v7, s3, s5, v5, s3
	s_waitcnt lgkmcnt(0)
	v_add_co_u32 v12, s3, v6, s4
	s_delay_alu instid0(VALU_DEP_1) | instskip(SKIP_1) | instid1(VALU_DEP_2)
	v_add_co_ci_u32_e64 v13, s3, s5, v7, s3
	s_barrier
	v_add_co_u32 v36, s3, v12, s4
	buffer_gl0_inv
	global_load_b128 v[8:11], v[4:5], off
	v_add_co_ci_u32_e64 v37, s3, s5, v13, s3
	s_clause 0x2
	global_load_b128 v[16:19], v[6:7], off
	global_load_b128 v[12:15], v[12:13], off
	;; [unrolled: 1-line block ×3, first 2 shown]
	ds_load_b128 v[20:23], v143
	v_add_co_u32 v52, s3, v36, s9
	s_delay_alu instid0(VALU_DEP_1) | instskip(NEXT) | instid1(VALU_DEP_2)
	v_add_co_ci_u32_e64 v53, s3, s8, v37, s3
	v_add_co_u32 v54, s3, v52, s4
	s_delay_alu instid0(VALU_DEP_1) | instskip(NEXT) | instid1(VALU_DEP_2)
	v_add_co_ci_u32_e64 v55, s3, s5, v53, s3
	;; [unrolled: 3-line block ×7, first 2 shown]
	v_add_co_u32 v102, s3, v100, s4
	s_delay_alu instid0(VALU_DEP_1)
	v_add_co_ci_u32_e64 v103, s3, s5, v101, s3
	s_waitcnt vmcnt(3) lgkmcnt(0)
	v_mul_f64 v[24:25], v[10:11], v[22:23]
	v_mul_f64 v[26:27], v[10:11], v[20:21]
	s_waitcnt vmcnt(2)
	v_mul_f64 v[28:29], v[18:19], v[22:23]
	v_mul_f64 v[30:31], v[18:19], v[20:21]
	s_waitcnt vmcnt(1)
	;; [unrolled: 3-line block ×3, first 2 shown]
	v_mul_f64 v[38:39], v[6:7], v[22:23]
	v_mul_f64 v[40:41], v[6:7], v[20:21]
	v_fma_f64 v[24:25], v[8:9], v[20:21], v[24:25]
	v_fma_f64 v[26:27], v[8:9], v[22:23], -v[26:27]
	v_fma_f64 v[28:29], v[16:17], v[20:21], v[28:29]
	v_fma_f64 v[30:31], v[16:17], v[22:23], -v[30:31]
	;; [unrolled: 2-line block ×4, first 2 shown]
	ds_load_b128 v[36:39], v147
	ds_store_b128 v148, v[24:27]
	ds_load_b128 v[48:51], v147 offset:16
	ds_store_b128 v148, v[28:31] offset:1072
	ds_load_b128 v[44:47], v147 offset:32
	ds_store_b128 v148, v[32:35] offset:2144
	;; [unrolled: 2-line block ×3, first 2 shown]
	s_waitcnt lgkmcnt(0)
	s_barrier
	buffer_gl0_inv
	ds_load_b128 v[84:87], v146
	ds_load_b128 v[88:91], v146 offset:16
	ds_load_b128 v[116:119], v146 offset:32
	;; [unrolled: 1-line block ×3, first 2 shown]
	s_waitcnt lgkmcnt(0)
	s_barrier
	buffer_gl0_inv
	s_clause 0x2
	global_load_b128 v[32:35], v[52:53], off
	global_load_b128 v[28:31], v[54:55], off
	;; [unrolled: 1-line block ×4, first 2 shown]
	ds_load_b128 v[52:55], v143
	v_add_f64 v[159:160], v[84:85], 0
	v_add_f64 v[161:162], v[86:87], 0
	s_delay_alu instid0(VALU_DEP_2) | instskip(NEXT) | instid1(VALU_DEP_2)
	v_add_f64 v[169:170], v[159:160], v[88:89]
	v_add_f64 v[171:172], v[161:162], v[90:91]
	s_waitcnt vmcnt(2) lgkmcnt(0)
	v_mul_f64 v[60:61], v[30:31], v[54:55]
	v_mul_f64 v[56:57], v[34:35], v[54:55]
	;; [unrolled: 1-line block ×4, first 2 shown]
	s_waitcnt vmcnt(1)
	v_mul_f64 v[64:65], v[26:27], v[54:55]
	v_mul_f64 v[66:67], v[26:27], v[52:53]
	s_waitcnt vmcnt(0)
	v_mul_f64 v[70:71], v[22:23], v[54:55]
	v_mul_f64 v[72:73], v[22:23], v[52:53]
	v_fma_f64 v[60:61], v[28:29], v[52:53], v[60:61]
	v_fma_f64 v[56:57], v[32:33], v[52:53], v[56:57]
	v_fma_f64 v[58:59], v[32:33], v[54:55], -v[58:59]
	v_fma_f64 v[62:63], v[28:29], v[54:55], -v[62:63]
	v_fma_f64 v[64:65], v[24:25], v[52:53], v[64:65]
	v_fma_f64 v[66:67], v[24:25], v[54:55], -v[66:67]
	v_fma_f64 v[52:53], v[20:21], v[52:53], v[70:71]
	v_fma_f64 v[54:55], v[20:21], v[54:55], -v[72:73]
	ds_load_b128 v[72:75], v147 offset:256
	ds_store_b128 v148, v[56:59]
	ds_load_b128 v[80:83], v147 offset:272
	ds_store_b128 v148, v[60:63] offset:1072
	ds_load_b128 v[76:79], v147 offset:288
	ds_store_b128 v148, v[64:67] offset:2144
	ds_load_b128 v[68:71], v147 offset:304
	ds_store_b128 v148, v[52:55] offset:3216
	s_waitcnt lgkmcnt(0)
	s_barrier
	buffer_gl0_inv
	ds_load_b128 v[92:95], v146
	ds_load_b128 v[120:123], v146 offset:16
	ds_load_b128 v[124:127], v146 offset:32
	;; [unrolled: 1-line block ×3, first 2 shown]
	s_waitcnt lgkmcnt(0)
	s_barrier
	buffer_gl0_inv
	global_load_b128 v[64:67], v[96:97], off
	global_load_b128 v[60:63], v[98:99], off
	;; [unrolled: 1-line block ×4, first 2 shown]
	ds_load_b128 v[96:99], v143
	v_add_f64 v[92:93], v[92:93], 0
	v_add_f64 v[94:95], v[94:95], 0
	s_delay_alu instid0(VALU_DEP_2) | instskip(NEXT) | instid1(VALU_DEP_2)
	v_add_f64 v[120:121], v[92:93], v[120:121]
	v_add_f64 v[122:123], v[94:95], v[122:123]
	s_delay_alu instid0(VALU_DEP_2) | instskip(NEXT) | instid1(VALU_DEP_2)
	v_add_f64 v[120:121], v[120:121], v[124:125]
	v_add_f64 v[122:123], v[122:123], v[126:127]
	s_delay_alu instid0(VALU_DEP_1)
	v_add_f64 v[173:174], v[122:123], v[130:131]
	s_waitcnt vmcnt(2) lgkmcnt(0)
	v_mul_f64 v[110:111], v[62:63], v[98:99]
	v_mul_f64 v[100:101], v[66:67], v[98:99]
	;; [unrolled: 1-line block ×4, first 2 shown]
	s_waitcnt vmcnt(1)
	v_mul_f64 v[114:115], v[58:59], v[98:99]
	v_mul_f64 v[136:137], v[58:59], v[96:97]
	s_waitcnt vmcnt(0)
	v_mul_f64 v[155:156], v[54:55], v[98:99]
	v_mul_f64 v[157:158], v[54:55], v[96:97]
	v_fma_f64 v[84:85], v[64:65], v[96:97], v[100:101]
	v_fma_f64 v[86:87], v[64:65], v[98:99], -v[108:109]
	v_fma_f64 v[108:109], v[60:61], v[96:97], v[110:111]
	v_fma_f64 v[110:111], v[60:61], v[98:99], -v[112:113]
	;; [unrolled: 2-line block ×4, first 2 shown]
	v_add_co_u32 v136, s3, v102, s9
	s_delay_alu instid0(VALU_DEP_1) | instskip(SKIP_2) | instid1(VALU_DEP_1)
	v_add_co_ci_u32_e64 v137, s3, s8, v103, s3
	ds_load_b128 v[100:103], v147 offset:512
	v_add_co_u32 v167, s3, v136, s4
	v_add_co_ci_u32_e64 v168, s3, s5, v137, s3
	s_delay_alu instid0(VALU_DEP_2) | instskip(NEXT) | instid1(VALU_DEP_1)
	v_add_co_u32 v175, s3, v167, s4
	v_add_co_ci_u32_e64 v176, s3, s5, v168, s3
	ds_store_b128 v148, v[84:87]
	ds_load_b128 v[112:115], v147 offset:528
	ds_store_b128 v148, v[108:111] offset:1072
	ds_load_b128 v[108:111], v147 offset:544
	ds_store_b128 v148, v[151:154] offset:2144
	;; [unrolled: 2-line block ×3, first 2 shown]
	s_waitcnt lgkmcnt(0)
	s_barrier
	buffer_gl0_inv
	ds_load_b128 v[151:154], v146
	ds_load_b128 v[155:158], v146 offset:16
	ds_load_b128 v[159:162], v146 offset:32
	;; [unrolled: 1-line block ×3, first 2 shown]
	s_waitcnt lgkmcnt(0)
	s_barrier
	buffer_gl0_inv
	global_load_b128 v[88:91], v[136:137], off
	v_add_f64 v[136:137], v[169:170], v[116:117]
	v_add_f64 v[169:170], v[171:172], v[118:119]
	ds_load_b128 v[116:119], v143
	global_load_b128 v[84:87], v[167:168], off
	global_load_b128 v[92:95], v[175:176], off
	v_add_f64 v[171:172], v[120:121], v[128:129]
	v_add_f64 v[167:168], v[136:137], v[104:105]
	;; [unrolled: 1-line block ×3, first 2 shown]
	v_add_co_u32 v136, s3, v175, s4
	s_delay_alu instid0(VALU_DEP_1)
	v_add_co_ci_u32_e64 v137, s3, s5, v176, s3
	s_waitcnt vmcnt(2) lgkmcnt(0)
	v_mul_f64 v[104:105], v[90:91], v[118:119]
	v_mul_f64 v[106:107], v[90:91], v[116:117]
	s_waitcnt vmcnt(1)
	v_mul_f64 v[124:125], v[86:87], v[118:119]
	s_waitcnt vmcnt(0)
	v_mul_f64 v[128:129], v[94:95], v[118:119]
	v_mul_f64 v[130:131], v[94:95], v[116:117]
	;; [unrolled: 1-line block ×3, first 2 shown]
	v_fma_f64 v[120:121], v[88:89], v[116:117], v[104:105]
	v_fma_f64 v[122:123], v[88:89], v[118:119], -v[106:107]
	global_load_b128 v[104:107], v[136:137], off
	v_fma_f64 v[124:125], v[84:85], v[116:117], v[124:125]
	v_fma_f64 v[175:176], v[92:93], v[116:117], v[128:129]
	v_fma_f64 v[177:178], v[92:93], v[118:119], -v[130:131]
	v_fma_f64 v[126:127], v[84:85], v[118:119], -v[126:127]
	s_waitcnt vmcnt(0)
	v_mul_f64 v[128:129], v[106:107], v[118:119]
	v_mul_f64 v[130:131], v[106:107], v[116:117]
	s_delay_alu instid0(VALU_DEP_2) | instskip(NEXT) | instid1(VALU_DEP_2)
	v_fma_f64 v[179:180], v[104:105], v[116:117], v[128:129]
	v_fma_f64 v[181:182], v[104:105], v[118:119], -v[130:131]
	v_add_f64 v[116:117], v[151:152], 0
	v_add_f64 v[118:119], v[153:154], 0
	s_delay_alu instid0(VALU_DEP_2) | instskip(NEXT) | instid1(VALU_DEP_2)
	v_add_f64 v[155:156], v[116:117], v[155:156]
	v_add_f64 v[157:158], v[118:119], v[157:158]
	ds_load_b128 v[116:119], v147 offset:768
	ds_store_b128 v148, v[120:123]
	ds_load_b128 v[128:131], v147 offset:784
	ds_store_b128 v148, v[124:127] offset:1072
	ds_load_b128 v[124:127], v147 offset:800
	ds_store_b128 v148, v[175:178] offset:2144
	;; [unrolled: 2-line block ×3, first 2 shown]
	s_waitcnt lgkmcnt(0)
	s_barrier
	buffer_gl0_inv
	ds_load_b128 v[151:154], v146
	s_waitcnt lgkmcnt(0)
	v_add_f64 v[175:176], v[151:152], 0
	v_add_f64 v[177:178], v[153:154], 0
	ds_load_b128 v[151:154], v146 offset:16
	v_add_f64 v[155:156], v[155:156], v[159:160]
	v_add_f64 v[157:158], v[157:158], v[161:162]
	s_waitcnt lgkmcnt(0)
	v_add_f64 v[175:176], v[175:176], v[151:152]
	v_add_f64 v[177:178], v[177:178], v[153:154]
	ds_load_b128 v[151:154], v146 offset:32
	s_waitcnt lgkmcnt(0)
	v_add_f64 v[159:160], v[175:176], v[151:152]
	v_add_f64 v[161:162], v[177:178], v[153:154]
	;; [unrolled: 1-line block ×4, first 2 shown]
	ds_load_b128 v[155:158], v146 offset:48
	s_waitcnt lgkmcnt(0)
	s_barrier
	buffer_gl0_inv
	v_add_f64 v[155:156], v[159:160], v[155:156]
	v_add_f64 v[157:158], v[161:162], v[157:158]
	ds_store_b128 v149, v[167:170]
	ds_store_b128 v149, v[171:174] offset:256
	ds_store_b128 v149, v[151:154] offset:512
	;; [unrolled: 1-line block ×3, first 2 shown]
	s_waitcnt lgkmcnt(0)
	s_barrier
	buffer_gl0_inv
	s_and_saveexec_b32 s11, s2
	s_cbranch_execz .LBB24_128
; %bb.132:                              ;   in Loop: Header=BB24_129 Depth=1
	ds_load_b128 v[151:154], v144
	ds_load_b128 v[155:158], v144 offset:16
	v_add_nc_u32_e32 v134, s10, v150
	s_waitcnt lgkmcnt(0)
	v_add_f64 v[159:160], v[155:156], v[151:152]
	v_add_f64 v[161:162], v[157:158], v[153:154]
	ds_load_b128 v[151:154], v144 offset:32
	ds_load_b128 v[155:158], v144 offset:48
	s_waitcnt lgkmcnt(1)
	v_add_f64 v[151:152], v[159:160], v[151:152]
	v_add_f64 v[153:154], v[161:162], v[153:154]
	s_waitcnt lgkmcnt(0)
	s_delay_alu instid0(VALU_DEP_2) | instskip(NEXT) | instid1(VALU_DEP_2)
	v_add_f64 v[159:160], v[151:152], v[155:156]
	v_add_f64 v[161:162], v[153:154], v[157:158]
	ds_load_b128 v[151:154], v144 offset:64
	ds_load_b128 v[155:158], v144 offset:80
	s_waitcnt lgkmcnt(1)
	v_add_f64 v[151:152], v[159:160], v[151:152]
	v_add_f64 v[153:154], v[161:162], v[153:154]
	s_waitcnt lgkmcnt(0)
	s_delay_alu instid0(VALU_DEP_2) | instskip(NEXT) | instid1(VALU_DEP_2)
	v_add_f64 v[159:160], v[151:152], v[155:156]
	v_add_f64 v[161:162], v[153:154], v[157:158]
	ds_load_b128 v[151:154], v144 offset:96
	ds_load_b128 v[155:158], v144 offset:112
	s_waitcnt lgkmcnt(1)
	v_add_f64 v[151:152], v[159:160], v[151:152]
	v_add_f64 v[153:154], v[161:162], v[153:154]
	s_waitcnt lgkmcnt(0)
	s_delay_alu instid0(VALU_DEP_2) | instskip(NEXT) | instid1(VALU_DEP_2)
	v_add_f64 v[159:160], v[151:152], v[155:156]
	v_add_f64 v[161:162], v[153:154], v[157:158]
	ds_load_b128 v[151:154], v144 offset:128
	ds_load_b128 v[155:158], v144 offset:144
	s_waitcnt lgkmcnt(1)
	v_add_f64 v[151:152], v[159:160], v[151:152]
	v_add_f64 v[153:154], v[161:162], v[153:154]
	s_waitcnt lgkmcnt(0)
	s_delay_alu instid0(VALU_DEP_2) | instskip(NEXT) | instid1(VALU_DEP_2)
	v_add_f64 v[159:160], v[151:152], v[155:156]
	v_add_f64 v[161:162], v[153:154], v[157:158]
	ds_load_b128 v[151:154], v144 offset:160
	ds_load_b128 v[155:158], v144 offset:176
	s_waitcnt lgkmcnt(1)
	v_add_f64 v[151:152], v[159:160], v[151:152]
	v_add_f64 v[153:154], v[161:162], v[153:154]
	s_waitcnt lgkmcnt(0)
	s_delay_alu instid0(VALU_DEP_2) | instskip(NEXT) | instid1(VALU_DEP_2)
	v_add_f64 v[159:160], v[151:152], v[155:156]
	v_add_f64 v[161:162], v[153:154], v[157:158]
	ds_load_b128 v[151:154], v144 offset:192
	ds_load_b128 v[155:158], v144 offset:208
	s_waitcnt lgkmcnt(1)
	v_add_f64 v[151:152], v[159:160], v[151:152]
	v_add_f64 v[153:154], v[161:162], v[153:154]
	s_waitcnt lgkmcnt(0)
	s_delay_alu instid0(VALU_DEP_2) | instskip(NEXT) | instid1(VALU_DEP_2)
	v_add_f64 v[159:160], v[151:152], v[155:156]
	v_add_f64 v[161:162], v[153:154], v[157:158]
	ds_load_b128 v[151:154], v144 offset:224
	ds_load_b128 v[155:158], v145
	s_waitcnt lgkmcnt(1)
	v_add_f64 v[151:152], v[159:160], v[151:152]
	v_add_f64 v[153:154], v[161:162], v[153:154]
	s_waitcnt lgkmcnt(0)
	s_delay_alu instid0(VALU_DEP_2) | instskip(NEXT) | instid1(VALU_DEP_2)
	v_add_f64 v[151:152], v[151:152], v[155:156]
	v_add_f64 v[153:154], v[153:154], v[157:158]
	v_lshlrev_b64 v[155:156], 4, v[134:135]
	s_delay_alu instid0(VALU_DEP_1) | instskip(NEXT) | instid1(VALU_DEP_1)
	v_add_co_u32 v155, s3, s6, v155
	v_add_co_ci_u32_e64 v156, s3, s7, v156, s3
	global_store_b128 v[155:156], v[151:154], off
	s_branch .LBB24_128
.LBB24_133:
	v_mad_u32_u24 v4, 0x430, v138, v139
	s_or_b32 s0, s0, vcc_lo
	s_delay_alu instid0(SALU_CYCLE_1)
	s_xor_b32 s0, s0, -1
	ds_store_b128 v4, v[0:3]
	s_waitcnt lgkmcnt(0)
	s_barrier
	buffer_gl0_inv
	s_and_saveexec_b32 s1, s0
	s_cbranch_execz .LBB24_135
; %bb.134:
	ds_load_b128 v[0:3], v139 offset:1072
	ds_load_b128 v[4:7], v139
	s_waitcnt lgkmcnt(0)
	v_add_f64 v[8:9], v[0:1], v[4:5]
	v_add_f64 v[10:11], v[2:3], v[6:7]
	ds_load_b128 v[0:3], v139 offset:2144
	ds_load_b128 v[4:7], v139 offset:3216
	s_waitcnt lgkmcnt(1)
	v_add_f64 v[0:1], v[8:9], v[0:1]
	v_add_f64 v[2:3], v[10:11], v[2:3]
	s_waitcnt lgkmcnt(0)
	s_delay_alu instid0(VALU_DEP_2) | instskip(NEXT) | instid1(VALU_DEP_2)
	v_add_f64 v[0:1], v[0:1], v[4:5]
	v_add_f64 v[2:3], v[2:3], v[6:7]
	v_lshlrev_b64 v[4:5], 4, v[132:133]
	s_delay_alu instid0(VALU_DEP_1) | instskip(NEXT) | instid1(VALU_DEP_2)
	v_add_co_u32 v4, vcc_lo, s6, v4
	v_add_co_ci_u32_e32 v5, vcc_lo, s7, v5, vcc_lo
	global_store_b128 v[4:5], v[0:3], off
.LBB24_135:
	s_nop 0
	s_sendmsg sendmsg(MSG_DEALLOC_VGPRS)
	s_endpgm
	.section	.rodata,"a",@progbits
	.p2align	6, 0x0
	.amdhsa_kernel _ZL26rocblas_hemvn_kernel_lowerILb1ELi64ELi4ELi33ELi32ELi16ElPK19rocblas_complex_numIdES3_PS1_EviT6_lT7_lT5_lS6_lS7_lS5_lT8_i
		.amdhsa_group_segment_fixed_size 19200
		.amdhsa_private_segment_fixed_size 0
		.amdhsa_kernarg_size 376
		.amdhsa_user_sgpr_count 14
		.amdhsa_user_sgpr_dispatch_ptr 0
		.amdhsa_user_sgpr_queue_ptr 0
		.amdhsa_user_sgpr_kernarg_segment_ptr 1
		.amdhsa_user_sgpr_dispatch_id 0
		.amdhsa_user_sgpr_private_segment_size 0
		.amdhsa_wavefront_size32 1
		.amdhsa_uses_dynamic_stack 0
		.amdhsa_enable_private_segment 0
		.amdhsa_system_sgpr_workgroup_id_x 1
		.amdhsa_system_sgpr_workgroup_id_y 0
		.amdhsa_system_sgpr_workgroup_id_z 1
		.amdhsa_system_sgpr_workgroup_info 0
		.amdhsa_system_vgpr_workitem_id 1
		.amdhsa_next_free_vgpr 183
		.amdhsa_next_free_sgpr 44
		.amdhsa_reserve_vcc 1
		.amdhsa_float_round_mode_32 0
		.amdhsa_float_round_mode_16_64 0
		.amdhsa_float_denorm_mode_32 3
		.amdhsa_float_denorm_mode_16_64 3
		.amdhsa_dx10_clamp 1
		.amdhsa_ieee_mode 1
		.amdhsa_fp16_overflow 0
		.amdhsa_workgroup_processor_mode 1
		.amdhsa_memory_ordered 1
		.amdhsa_forward_progress 0
		.amdhsa_shared_vgpr_count 0
		.amdhsa_exception_fp_ieee_invalid_op 0
		.amdhsa_exception_fp_denorm_src 0
		.amdhsa_exception_fp_ieee_div_zero 0
		.amdhsa_exception_fp_ieee_overflow 0
		.amdhsa_exception_fp_ieee_underflow 0
		.amdhsa_exception_fp_ieee_inexact 0
		.amdhsa_exception_int_div_zero 0
	.end_amdhsa_kernel
	.section	.text._ZL26rocblas_hemvn_kernel_lowerILb1ELi64ELi4ELi33ELi32ELi16ElPK19rocblas_complex_numIdES3_PS1_EviT6_lT7_lT5_lS6_lS7_lS5_lT8_i,"axG",@progbits,_ZL26rocblas_hemvn_kernel_lowerILb1ELi64ELi4ELi33ELi32ELi16ElPK19rocblas_complex_numIdES3_PS1_EviT6_lT7_lT5_lS6_lS7_lS5_lT8_i,comdat
.Lfunc_end24:
	.size	_ZL26rocblas_hemvn_kernel_lowerILb1ELi64ELi4ELi33ELi32ELi16ElPK19rocblas_complex_numIdES3_PS1_EviT6_lT7_lT5_lS6_lS7_lS5_lT8_i, .Lfunc_end24-_ZL26rocblas_hemvn_kernel_lowerILb1ELi64ELi4ELi33ELi32ELi16ElPK19rocblas_complex_numIdES3_PS1_EviT6_lT7_lT5_lS6_lS7_lS5_lT8_i
                                        ; -- End function
	.section	.AMDGPU.csdata,"",@progbits
; Kernel info:
; codeLenInByte = 11024
; NumSgprs: 46
; NumVgprs: 183
; ScratchSize: 0
; MemoryBound: 0
; FloatMode: 240
; IeeeMode: 1
; LDSByteSize: 19200 bytes/workgroup (compile time only)
; SGPRBlocks: 5
; VGPRBlocks: 22
; NumSGPRsForWavesPerEU: 46
; NumVGPRsForWavesPerEU: 183
; Occupancy: 8
; WaveLimiterHint : 0
; COMPUTE_PGM_RSRC2:SCRATCH_EN: 0
; COMPUTE_PGM_RSRC2:USER_SGPR: 14
; COMPUTE_PGM_RSRC2:TRAP_HANDLER: 0
; COMPUTE_PGM_RSRC2:TGID_X_EN: 1
; COMPUTE_PGM_RSRC2:TGID_Y_EN: 0
; COMPUTE_PGM_RSRC2:TGID_Z_EN: 1
; COMPUTE_PGM_RSRC2:TIDIG_COMP_CNT: 1
	.section	.text._ZL36rocblas_hemvn_kernel_lower_block_sumILi64ElPK19rocblas_complex_numIdEPS1_S1_EviT1_lS5_lT2_lT0_lPT3_i,"axG",@progbits,_ZL36rocblas_hemvn_kernel_lower_block_sumILi64ElPK19rocblas_complex_numIdEPS1_S1_EviT1_lS5_lT2_lT0_lPT3_i,comdat
	.globl	_ZL36rocblas_hemvn_kernel_lower_block_sumILi64ElPK19rocblas_complex_numIdEPS1_S1_EviT1_lS5_lT2_lT0_lPT3_i ; -- Begin function _ZL36rocblas_hemvn_kernel_lower_block_sumILi64ElPK19rocblas_complex_numIdEPS1_S1_EviT1_lS5_lT2_lT0_lPT3_i
	.p2align	8
	.type	_ZL36rocblas_hemvn_kernel_lower_block_sumILi64ElPK19rocblas_complex_numIdEPS1_S1_EviT1_lS5_lT2_lT0_lPT3_i,@function
_ZL36rocblas_hemvn_kernel_lower_block_sumILi64ElPK19rocblas_complex_numIdEPS1_S1_EviT1_lS5_lT2_lT0_lPT3_i: ; @_ZL36rocblas_hemvn_kernel_lower_block_sumILi64ElPK19rocblas_complex_numIdEPS1_S1_EviT1_lS5_lT2_lT0_lPT3_i
; %bb.0:
	s_load_b256 s[4:11], s[0:1], 0x8
	s_waitcnt lgkmcnt(0)
	s_mul_i32 s3, s15, s7
	s_mul_hi_u32 s7, s15, s6
	s_mul_i32 s2, s15, s6
	s_add_i32 s3, s7, s3
	s_delay_alu instid0(SALU_CYCLE_1) | instskip(NEXT) | instid1(SALU_CYCLE_1)
	s_lshl_b64 s[2:3], s[2:3], 4
	s_add_u32 s2, s4, s2
	s_addc_u32 s3, s5, s3
	s_load_b128 s[16:19], s[2:3], 0x0
	s_mul_i32 s2, s15, s11
	s_mul_hi_u32 s3, s15, s10
	s_delay_alu instid0(SALU_CYCLE_1) | instskip(SKIP_1) | instid1(SALU_CYCLE_1)
	s_add_i32 s3, s3, s2
	s_mul_i32 s2, s15, s10
	s_lshl_b64 s[2:3], s[2:3], 4
	s_delay_alu instid0(SALU_CYCLE_1)
	s_add_u32 s2, s8, s2
	s_addc_u32 s3, s9, s3
	s_load_b128 s[4:7], s[2:3], 0x0
	s_mov_b32 s3, -1
	s_waitcnt lgkmcnt(0)
	v_cmp_neq_f64_e64 s12, s[16:17], 0
	v_cmp_neq_f64_e64 s13, s[18:19], 0
	s_delay_alu instid0(VALU_DEP_1) | instskip(NEXT) | instid1(SALU_CYCLE_1)
	s_or_b32 s2, s12, s13
	s_and_b32 vcc_lo, exec_lo, s2
	s_cbranch_vccnz .LBB25_2
; %bb.1:
	v_cmp_neq_f64_e64 s3, s[4:5], 1.0
	v_cmp_neq_f64_e64 s8, s[6:7], 0
	s_delay_alu instid0(VALU_DEP_1)
	s_or_b32 s3, s3, s8
.LBB25_2:
	s_delay_alu instid0(SALU_CYCLE_1)
	s_and_not1_b32 vcc_lo, exec_lo, s3
	s_cbranch_vccnz .LBB25_22
; %bb.3:
	s_clause 0x3
	s_load_b64 s[20:21], s[0:1], 0x40
	s_load_b64 s[22:23], s[0:1], 0x28
	s_load_b128 s[8:11], s[0:1], 0x30
	s_load_b32 s12, s[0:1], 0x0
	s_xor_b32 s13, s2, -1
	v_lshl_or_b32 v4, s14, 6, v0
	s_waitcnt lgkmcnt(0)
	s_mul_i32 s3, s15, s21
	s_mul_hi_u32 s21, s15, s20
	s_mul_i32 s2, s15, s20
	s_add_i32 s3, s21, s3
	s_delay_alu instid0(SALU_CYCLE_1) | instskip(NEXT) | instid1(SALU_CYCLE_1)
	s_lshl_b64 s[2:3], s[2:3], 4
	s_add_u32 s20, s22, s2
	s_addc_u32 s21, s23, s3
	s_lshl_b64 s[8:9], s[8:9], 4
	v_cmp_gt_i32_e64 s2, s12, v4
	s_add_u32 s3, s20, s8
	s_addc_u32 s8, s21, s9
	s_and_not1_b32 vcc_lo, exec_lo, s13
	s_mov_b32 s9, 0
	s_cbranch_vccnz .LBB25_8
; %bb.4:
	s_mov_b32 s13, 0
                                        ; implicit-def: $vgpr2_vgpr3
                                        ; implicit-def: $vgpr5_vgpr6
	s_and_saveexec_b32 s20, s2
	s_cbranch_execz .LBB25_9
; %bb.5:
	v_cmp_neq_f64_e64 s2, s[4:5], 0
	v_cmp_neq_f64_e64 s9, s[6:7], 0
	v_ashrrev_i32_e32 v0, 31, v4
	v_mul_lo_u32 v1, v4, s11
	v_mad_u64_u32 v[5:6], null, v4, s10, 0
	v_mov_b32_e32 v2, 0
	s_delay_alu instid0(VALU_DEP_4) | instskip(SKIP_1) | instid1(VALU_DEP_2)
	v_mul_lo_u32 v0, v0, s10
	v_mov_b32_e32 v3, 0
	v_add3_u32 v6, v6, v1, v0
	s_delay_alu instid0(VALU_DEP_2) | instskip(SKIP_1) | instid1(SALU_CYCLE_1)
	v_dual_mov_b32 v0, v2 :: v_dual_mov_b32 v1, v3
	s_or_b32 s2, s2, s9
	s_and_not1_b32 vcc_lo, exec_lo, s2
	s_cbranch_vccnz .LBB25_7
; %bb.6:
	v_lshlrev_b64 v[0:1], 4, v[5:6]
	s_delay_alu instid0(VALU_DEP_1) | instskip(NEXT) | instid1(VALU_DEP_2)
	v_add_co_u32 v0, vcc_lo, s3, v0
	v_add_co_ci_u32_e32 v1, vcc_lo, s8, v1, vcc_lo
	global_load_b128 v[7:10], v[0:1], off
	s_waitcnt vmcnt(0)
	v_mul_f64 v[0:1], s[6:7], v[9:10]
	v_mul_f64 v[2:3], s[4:5], v[9:10]
	s_delay_alu instid0(VALU_DEP_2) | instskip(NEXT) | instid1(VALU_DEP_2)
	v_fma_f64 v[0:1], s[4:5], v[7:8], -v[0:1]
	v_fma_f64 v[2:3], s[6:7], v[7:8], v[2:3]
.LBB25_7:
	s_mov_b32 s9, exec_lo
	s_or_b32 exec_lo, exec_lo, s20
	s_delay_alu instid0(SALU_CYCLE_1)
	s_and_b32 vcc_lo, exec_lo, s13
	s_cbranch_vccnz .LBB25_10
	s_branch .LBB25_20
.LBB25_8:
                                        ; implicit-def: $vgpr2_vgpr3
                                        ; implicit-def: $vgpr5_vgpr6
	s_cbranch_execnz .LBB25_10
	s_branch .LBB25_20
.LBB25_9:
	s_or_b32 exec_lo, exec_lo, s20
	s_delay_alu instid0(SALU_CYCLE_1)
	s_and_b32 vcc_lo, exec_lo, s13
	s_cbranch_vccz .LBB25_20
.LBB25_10:
	s_mov_b32 s2, exec_lo
                                        ; implicit-def: $vgpr2_vgpr3
                                        ; implicit-def: $vgpr5_vgpr6
	v_cmpx_gt_i32_e64 s12, v4
	s_cbranch_execz .LBB25_19
; %bb.11:
	s_load_b32 s20, s[0:1], 0x58
	v_mov_b32_e32 v0, 0
	v_mov_b32_e32 v1, 0
	s_delay_alu instid0(VALU_DEP_1)
	v_dual_mov_b32 v3, v1 :: v_dual_mov_b32 v2, v0
	s_waitcnt lgkmcnt(0)
	s_cmp_ge_i32 s14, s20
	s_cbranch_scc1 .LBB25_14
; %bb.12:
	s_load_b64 s[0:1], s[0:1], 0x48
	v_mad_u64_u32 v[0:1], null, s14, s12, v[4:5]
	s_ashr_i32 s13, s12, 31
	s_mul_hi_u32 s21, s12, s15
	s_mul_i32 s22, s13, s15
	s_mul_i32 s15, s12, s15
	s_add_i32 s21, s21, s22
	s_mul_hi_u32 s23, s15, s20
	s_delay_alu instid0(VALU_DEP_1) | instskip(SKIP_3) | instid1(VALU_DEP_1)
	v_ashrrev_i32_e32 v1, 31, v0
	s_mul_i32 s21, s21, s20
	s_mul_i32 s22, s15, s20
	s_add_i32 s23, s23, s21
	v_lshlrev_b64 v[2:3], 4, v[0:1]
	s_lshl_b64 s[22:23], s[22:23], 4
	v_mov_b32_e32 v0, 0
	v_mov_b32_e32 v1, 0
	s_waitcnt lgkmcnt(0)
	s_add_u32 s0, s0, s22
	s_addc_u32 s1, s1, s23
	v_add_co_u32 v2, vcc_lo, s0, v2
	v_add_co_ci_u32_e32 v3, vcc_lo, s1, v3, vcc_lo
	s_lshl_b64 s[0:1], s[12:13], 4
	s_delay_alu instid0(VALU_DEP_2) | instskip(NEXT) | instid1(VALU_DEP_2)
	v_add_co_u32 v5, vcc_lo, v2, 8
	v_add_co_ci_u32_e32 v6, vcc_lo, 0, v3, vcc_lo
	v_dual_mov_b32 v3, v1 :: v_dual_mov_b32 v2, v0
.LBB25_13:                              ; =>This Inner Loop Header: Depth=1
	global_load_b128 v[7:10], v[5:6], off offset:-8
	v_add_co_u32 v5, vcc_lo, v5, s0
	v_add_co_ci_u32_e32 v6, vcc_lo, s1, v6, vcc_lo
	s_add_i32 s14, s14, 1
	s_delay_alu instid0(SALU_CYCLE_1)
	s_cmp_ge_i32 s14, s20
	s_waitcnt vmcnt(0)
	v_add_f64 v[2:3], v[2:3], v[7:8]
	v_add_f64 v[0:1], v[0:1], v[9:10]
	s_cbranch_scc0 .LBB25_13
.LBB25_14:
	s_delay_alu instid0(VALU_DEP_1) | instskip(SKIP_3) | instid1(VALU_DEP_4)
	v_mul_f64 v[5:6], s[18:19], v[0:1]
	v_mul_f64 v[7:8], s[16:17], v[0:1]
	v_cmp_neq_f64_e64 s0, s[4:5], 0
	v_cmp_neq_f64_e64 s1, s[6:7], 0
	v_fma_f64 v[0:1], s[16:17], v[2:3], -v[5:6]
	s_delay_alu instid0(VALU_DEP_4) | instskip(SKIP_3) | instid1(SALU_CYCLE_1)
	v_fma_f64 v[2:3], s[18:19], v[2:3], v[7:8]
	v_ashrrev_i32_e32 v5, 31, v4
	v_mul_lo_u32 v7, v4, s11
	s_or_b32 s0, s0, s1
	s_and_not1_b32 vcc_lo, exec_lo, s0
	s_delay_alu instid0(VALU_DEP_2)
	v_mul_lo_u32 v8, v5, s10
	s_cbranch_vccz .LBB25_16
; %bb.15:
	v_mad_u64_u32 v[5:6], null, v4, s10, 0
	s_delay_alu instid0(VALU_DEP_1)
	v_add3_u32 v6, v6, v7, v8
	s_cbranch_execz .LBB25_17
	s_branch .LBB25_18
.LBB25_16:
                                        ; implicit-def: $vgpr5_vgpr6
.LBB25_17:
	v_mad_u64_u32 v[5:6], null, v4, s10, 0
	s_delay_alu instid0(VALU_DEP_1) | instskip(NEXT) | instid1(VALU_DEP_1)
	v_add3_u32 v6, v6, v7, v8
	v_lshlrev_b64 v[7:8], 4, v[5:6]
	s_delay_alu instid0(VALU_DEP_1) | instskip(NEXT) | instid1(VALU_DEP_2)
	v_add_co_u32 v7, vcc_lo, s3, v7
	v_add_co_ci_u32_e32 v8, vcc_lo, s8, v8, vcc_lo
	global_load_b128 v[7:10], v[7:8], off
	s_waitcnt vmcnt(0)
	v_mul_f64 v[11:12], s[6:7], v[9:10]
	v_mul_f64 v[9:10], s[4:5], v[9:10]
	s_delay_alu instid0(VALU_DEP_2) | instskip(NEXT) | instid1(VALU_DEP_2)
	v_fma_f64 v[11:12], s[4:5], v[7:8], -v[11:12]
	v_fma_f64 v[7:8], s[6:7], v[7:8], v[9:10]
	s_delay_alu instid0(VALU_DEP_2) | instskip(NEXT) | instid1(VALU_DEP_2)
	v_add_f64 v[0:1], v[0:1], v[11:12]
	v_add_f64 v[2:3], v[2:3], v[7:8]
.LBB25_18:
	s_or_b32 s9, s9, exec_lo
.LBB25_19:
	s_or_b32 exec_lo, exec_lo, s2
.LBB25_20:
	s_and_saveexec_b32 s0, s9
	s_cbranch_execz .LBB25_22
; %bb.21:
	v_lshlrev_b64 v[4:5], 4, v[5:6]
	s_delay_alu instid0(VALU_DEP_1) | instskip(NEXT) | instid1(VALU_DEP_2)
	v_add_co_u32 v4, vcc_lo, s3, v4
	v_add_co_ci_u32_e32 v5, vcc_lo, s8, v5, vcc_lo
	global_store_b128 v[4:5], v[0:3], off
.LBB25_22:
	s_nop 0
	s_sendmsg sendmsg(MSG_DEALLOC_VGPRS)
	s_endpgm
	.section	.rodata,"a",@progbits
	.p2align	6, 0x0
	.amdhsa_kernel _ZL36rocblas_hemvn_kernel_lower_block_sumILi64ElPK19rocblas_complex_numIdEPS1_S1_EviT1_lS5_lT2_lT0_lPT3_i
		.amdhsa_group_segment_fixed_size 0
		.amdhsa_private_segment_fixed_size 0
		.amdhsa_kernarg_size 344
		.amdhsa_user_sgpr_count 14
		.amdhsa_user_sgpr_dispatch_ptr 0
		.amdhsa_user_sgpr_queue_ptr 0
		.amdhsa_user_sgpr_kernarg_segment_ptr 1
		.amdhsa_user_sgpr_dispatch_id 0
		.amdhsa_user_sgpr_private_segment_size 0
		.amdhsa_wavefront_size32 1
		.amdhsa_uses_dynamic_stack 0
		.amdhsa_enable_private_segment 0
		.amdhsa_system_sgpr_workgroup_id_x 1
		.amdhsa_system_sgpr_workgroup_id_y 0
		.amdhsa_system_sgpr_workgroup_id_z 1
		.amdhsa_system_sgpr_workgroup_info 0
		.amdhsa_system_vgpr_workitem_id 0
		.amdhsa_next_free_vgpr 13
		.amdhsa_next_free_sgpr 24
		.amdhsa_reserve_vcc 1
		.amdhsa_float_round_mode_32 0
		.amdhsa_float_round_mode_16_64 0
		.amdhsa_float_denorm_mode_32 3
		.amdhsa_float_denorm_mode_16_64 3
		.amdhsa_dx10_clamp 1
		.amdhsa_ieee_mode 1
		.amdhsa_fp16_overflow 0
		.amdhsa_workgroup_processor_mode 1
		.amdhsa_memory_ordered 1
		.amdhsa_forward_progress 0
		.amdhsa_shared_vgpr_count 0
		.amdhsa_exception_fp_ieee_invalid_op 0
		.amdhsa_exception_fp_denorm_src 0
		.amdhsa_exception_fp_ieee_div_zero 0
		.amdhsa_exception_fp_ieee_overflow 0
		.amdhsa_exception_fp_ieee_underflow 0
		.amdhsa_exception_fp_ieee_inexact 0
		.amdhsa_exception_int_div_zero 0
	.end_amdhsa_kernel
	.section	.text._ZL36rocblas_hemvn_kernel_lower_block_sumILi64ElPK19rocblas_complex_numIdEPS1_S1_EviT1_lS5_lT2_lT0_lPT3_i,"axG",@progbits,_ZL36rocblas_hemvn_kernel_lower_block_sumILi64ElPK19rocblas_complex_numIdEPS1_S1_EviT1_lS5_lT2_lT0_lPT3_i,comdat
.Lfunc_end25:
	.size	_ZL36rocblas_hemvn_kernel_lower_block_sumILi64ElPK19rocblas_complex_numIdEPS1_S1_EviT1_lS5_lT2_lT0_lPT3_i, .Lfunc_end25-_ZL36rocblas_hemvn_kernel_lower_block_sumILi64ElPK19rocblas_complex_numIdEPS1_S1_EviT1_lS5_lT2_lT0_lPT3_i
                                        ; -- End function
	.section	.AMDGPU.csdata,"",@progbits
; Kernel info:
; codeLenInByte = 1044
; NumSgprs: 26
; NumVgprs: 13
; ScratchSize: 0
; MemoryBound: 0
; FloatMode: 240
; IeeeMode: 1
; LDSByteSize: 0 bytes/workgroup (compile time only)
; SGPRBlocks: 3
; VGPRBlocks: 1
; NumSGPRsForWavesPerEU: 26
; NumVGPRsForWavesPerEU: 13
; Occupancy: 16
; WaveLimiterHint : 0
; COMPUTE_PGM_RSRC2:SCRATCH_EN: 0
; COMPUTE_PGM_RSRC2:USER_SGPR: 14
; COMPUTE_PGM_RSRC2:TRAP_HANDLER: 0
; COMPUTE_PGM_RSRC2:TGID_X_EN: 1
; COMPUTE_PGM_RSRC2:TGID_Y_EN: 0
; COMPUTE_PGM_RSRC2:TGID_Z_EN: 1
; COMPUTE_PGM_RSRC2:TIDIG_COMP_CNT: 0
	.section	.text._ZL26rocblas_hemvn_kernel_lowerILb1ELi64ELi4ELi33ELi32ELi16EiPK19rocblas_complex_numIdES3_PS1_EviT6_lT7_lT5_lS6_lS7_lS5_lT8_i,"axG",@progbits,_ZL26rocblas_hemvn_kernel_lowerILb1ELi64ELi4ELi33ELi32ELi16EiPK19rocblas_complex_numIdES3_PS1_EviT6_lT7_lT5_lS6_lS7_lS5_lT8_i,comdat
	.globl	_ZL26rocblas_hemvn_kernel_lowerILb1ELi64ELi4ELi33ELi32ELi16EiPK19rocblas_complex_numIdES3_PS1_EviT6_lT7_lT5_lS6_lS7_lS5_lT8_i ; -- Begin function _ZL26rocblas_hemvn_kernel_lowerILb1ELi64ELi4ELi33ELi32ELi16EiPK19rocblas_complex_numIdES3_PS1_EviT6_lT7_lT5_lS6_lS7_lS5_lT8_i
	.p2align	8
	.type	_ZL26rocblas_hemvn_kernel_lowerILb1ELi64ELi4ELi33ELi32ELi16EiPK19rocblas_complex_numIdES3_PS1_EviT6_lT7_lT5_lS6_lS7_lS5_lT8_i,@function
_ZL26rocblas_hemvn_kernel_lowerILb1ELi64ELi4ELi33ELi32ELi16EiPK19rocblas_complex_numIdES3_PS1_EviT6_lT7_lT5_lS6_lS7_lS5_lT8_i: ; @_ZL26rocblas_hemvn_kernel_lowerILb1ELi64ELi4ELi33ELi32ELi16EiPK19rocblas_complex_numIdES3_PS1_EviT6_lT7_lT5_lS6_lS7_lS5_lT8_i
; %bb.0:
	s_load_b64 s[4:5], s[0:1], 0x84
	s_add_u32 s2, s0, 0x78
	s_addc_u32 s3, s1, 0
	s_waitcnt lgkmcnt(0)
	s_lshr_b32 s6, s4, 16
	s_and_b32 s4, s4, 0xffff
	s_and_b32 s5, s5, 0xffff
	s_mul_i32 s4, s6, s4
	s_delay_alu instid0(SALU_CYCLE_1) | instskip(NEXT) | instid1(SALU_CYCLE_1)
	s_mul_i32 s4, s4, s5
	s_cmpk_lg_i32 s4, 0x100
	s_cbranch_scc1 .LBB26_135
; %bb.1:
	s_load_b256 s[16:23], s[0:1], 0x8
	s_waitcnt lgkmcnt(0)
	s_mul_i32 s5, s15, s19
	s_mul_hi_u32 s6, s15, s18
	s_mul_i32 s4, s15, s18
	s_add_i32 s5, s6, s5
	s_delay_alu instid0(SALU_CYCLE_1) | instskip(NEXT) | instid1(SALU_CYCLE_1)
	s_lshl_b64 s[4:5], s[4:5], 4
	s_add_u32 s4, s16, s4
	s_addc_u32 s5, s17, s5
	s_load_b128 s[4:7], s[4:5], 0x0
	s_waitcnt lgkmcnt(0)
	v_cmp_neq_f64_e64 s12, s[4:5], 0
	v_cmp_neq_f64_e64 s13, s[6:7], 0
	s_load_b256 s[4:11], s[0:1], 0x50
	s_delay_alu instid0(VALU_DEP_1)
	s_or_b32 s12, s12, s13
	s_mov_b32 s13, -1
	s_and_b32 vcc_lo, exec_lo, s12
	s_cbranch_vccnz .LBB26_3
; %bb.2:
	s_waitcnt lgkmcnt(0)
	s_mul_i32 s9, s15, s9
	s_mul_hi_u32 s13, s15, s8
	s_mul_i32 s8, s15, s8
	s_add_i32 s9, s13, s9
	s_delay_alu instid0(SALU_CYCLE_1) | instskip(NEXT) | instid1(SALU_CYCLE_1)
	s_lshl_b64 s[8:9], s[8:9], 4
	s_add_u32 s6, s6, s8
	s_addc_u32 s7, s7, s9
	s_load_b128 s[16:19], s[6:7], 0x0
	s_waitcnt lgkmcnt(0)
	v_cmp_neq_f64_e64 s6, s[16:17], 1.0
	v_cmp_neq_f64_e64 s7, s[18:19], 0
	s_delay_alu instid0(VALU_DEP_1)
	s_or_b32 s13, s6, s7
.LBB26_3:
	s_delay_alu instid0(SALU_CYCLE_1)
	s_and_not1_b32 vcc_lo, exec_lo, s13
	s_cbranch_vccnz .LBB26_135
; %bb.4:
	s_and_not1_b32 vcc_lo, exec_lo, s12
	s_cbranch_vccnz .LBB26_135
; %bb.5:
	s_load_b128 s[16:19], s[0:1], 0x30
	s_waitcnt lgkmcnt(0)
	s_clause 0x1
	s_load_b64 s[6:7], s[0:1], 0x40
	s_load_b32 s24, s[0:1], 0x48
	s_mul_i32 s5, s15, s5
	s_mul_hi_u32 s8, s15, s4
	s_mul_i32 s4, s15, s4
	s_add_i32 s5, s8, s5
	v_and_b32_e32 v42, 0x3ff, v0
	s_lshl_b64 s[4:5], s[4:5], 4
	s_load_b32 s25, s[0:1], 0x0
	s_load_b32 s26, s[2:3], 0x0
	v_bfe_u32 v149, v0, 10, 10
	s_add_u32 s8, s18, s4
	s_addc_u32 s9, s19, s5
	s_waitcnt lgkmcnt(0)
	s_lshl_b64 s[4:5], s[6:7], 4
	s_delay_alu instid0(SALU_CYCLE_1) | instskip(SKIP_2) | instid1(SALU_CYCLE_1)
	s_add_u32 s4, s8, s4
	s_addc_u32 s5, s9, s5
	s_lshl_b32 s12, s14, 6
	v_add_nc_u32_e32 v144, s12, v42
	s_ashr_i32 s27, s25, 31
	s_add_i32 s6, s26, -1
	s_lshr_b32 s2, s27, 26
	s_delay_alu instid0(VALU_DEP_1) | instskip(SKIP_3) | instid1(SALU_CYCLE_1)
	v_mul_lo_u32 v1, v144, s24
	s_add_i32 s3, s25, s2
	v_cmp_ne_u32_e64 s2, 0, v149
	s_and_not1_b32 s3, s3, 63
	s_sub_i32 s7, s25, s3
	v_cmp_eq_u32_e64 s3, 0, v149
	s_cmp_eq_u32 s14, s6
	s_delay_alu instid0(VALU_DEP_3) | instskip(SKIP_1) | instid1(VALU_DEP_1)
	v_ashrrev_i32_e32 v2, 31, v1
	s_cselect_b32 s8, s7, 0
	v_lshlrev_b64 v[0:1], 4, v[1:2]
	s_delay_alu instid0(VALU_DEP_1) | instskip(NEXT) | instid1(VALU_DEP_2)
	v_add_co_u32 v36, vcc_lo, s4, v0
	v_add_co_ci_u32_e32 v37, vcc_lo, s5, v1, vcc_lo
	s_mov_b32 s4, -1
	s_and_saveexec_b32 s5, s3
	s_cbranch_execz .LBB26_10
; %bb.6:
	v_cmp_le_i32_e32 vcc_lo, s8, v42
	s_cmp_lg_u32 s8, 0
	v_lshl_add_u32 v0, v42, 4, 0x4700
	s_cselect_b32 s6, -1, 0
	s_delay_alu instid0(SALU_CYCLE_1) | instskip(NEXT) | instid1(SALU_CYCLE_1)
	s_and_b32 s6, s6, vcc_lo
	s_and_saveexec_b32 s7, s6
	s_delay_alu instid0(SALU_CYCLE_1)
	s_xor_b32 s6, exec_lo, s7
	s_cbranch_execz .LBB26_8
; %bb.7:
	v_mov_b32_e32 v1, 0
	s_delay_alu instid0(VALU_DEP_1)
	v_mov_b32_e32 v2, v1
	v_mov_b32_e32 v3, v1
	;; [unrolled: 1-line block ×3, first 2 shown]
	ds_store_b128 v0, v[1:4]
                                        ; implicit-def: $vgpr0
.LBB26_8:
	s_and_not1_saveexec_b32 s6, s6
	s_cbranch_execz .LBB26_10
; %bb.9:
	global_load_b128 v[1:4], v[36:37], off
	s_waitcnt vmcnt(0)
	ds_store_2addr_b64 v0, v[1:2], v[3:4] offset1:1
.LBB26_10:
	s_or_b32 exec_lo, exec_lo, s5
	s_load_b32 s18, s[0:1], 0x28
	v_lshl_add_u32 v43, v149, 6, v42
	v_and_b32_e32 v4, 31, v42
	s_mul_i32 s1, s15, s17
	s_mul_hi_u32 s5, s15, s16
	s_mul_i32 s0, s15, s16
	v_lshrrev_b32_e32 v9, 5, v43
	s_add_i32 s1, s5, s1
	s_delay_alu instid0(SALU_CYCLE_1) | instskip(NEXT) | instid1(SALU_CYCLE_1)
	s_lshl_b64 s[0:1], s[0:1], 4
	s_add_u32 s5, s20, s0
	s_addc_u32 s6, s21, s1
	s_lshl_b64 s[0:1], s[22:23], 4
	s_delay_alu instid0(SALU_CYCLE_1) | instskip(SKIP_2) | instid1(SALU_CYCLE_1)
	s_add_u32 s5, s5, s0
	s_addc_u32 s6, s6, s1
	s_ashr_i32 s13, s12, 31
	s_lshl_b64 s[0:1], s[12:13], 4
	s_waitcnt lgkmcnt(0)
	v_mad_u64_u32 v[0:1], null, v9, s18, v[4:5]
	s_add_u32 s5, s5, s0
	s_mul_i32 s0, s12, s18
	s_addc_u32 s6, s6, s1
	s_ashr_i32 s1, s0, 31
	s_delay_alu instid0(SALU_CYCLE_1) | instskip(NEXT) | instid1(VALU_DEP_1)
	s_lshl_b64 s[16:17], s[0:1], 4
	v_ashrrev_i32_e32 v1, 31, v0
	s_add_u32 s0, s16, s5
	s_addc_u32 s1, s17, s6
	s_cmp_lg_u32 s8, 0
	s_cselect_b32 s13, -1, 0
	v_lshlrev_b64 v[38:39], 4, v[0:1]
	s_cmp_eq_u32 s8, 0
	s_cselect_b32 s7, -1, 0
	s_delay_alu instid0(VALU_DEP_1) | instskip(NEXT) | instid1(VALU_DEP_2)
	v_add_co_u32 v5, vcc_lo, s0, v38
	v_add_co_ci_u32_e32 v6, vcc_lo, s1, v39, vcc_lo
	s_and_b32 vcc_lo, exec_lo, s13
	s_cbranch_vccnz .LBB26_12
; %bb.11:
	s_lshl_b32 s0, s18, 3
	s_ashr_i32 s19, s18, 31
	s_ashr_i32 s1, s0, 31
	s_mov_b32 s4, 0
	s_lshl_b64 s[0:1], s[0:1], 4
	s_delay_alu instid0(SALU_CYCLE_1)
	v_add_co_u32 v7, vcc_lo, v5, s0
	v_add_co_ci_u32_e32 v8, vcc_lo, s1, v6, vcc_lo
	s_lshl_b64 s[0:1], s[18:19], 7
	s_delay_alu instid0(VALU_DEP_2) | instid1(SALU_CYCLE_1)
	v_add_co_u32 v14, vcc_lo, v7, s0
	s_delay_alu instid0(VALU_DEP_2) | instskip(NEXT) | instid1(VALU_DEP_2)
	v_add_co_ci_u32_e32 v15, vcc_lo, s1, v8, vcc_lo
	v_add_co_u32 v18, vcc_lo, v14, s0
	s_delay_alu instid0(VALU_DEP_2)
	v_add_co_ci_u32_e32 v19, vcc_lo, s1, v15, vcc_lo
	s_clause 0x1
	global_load_b128 v[0:3], v[5:6], off
	global_load_b128 v[10:13], v[7:8], off
	;; [unrolled: 1-line block ×4, first 2 shown]
	v_mul_u32_u24_e32 v7, 33, v9
	s_delay_alu instid0(VALU_DEP_1) | instskip(NEXT) | instid1(VALU_DEP_1)
	v_add_lshl_u32 v7, v7, v4, 4
	v_add_nc_u32_e32 v22, 0x2100, v7
	v_add_nc_u32_e32 v8, 0x1080, v7
	;; [unrolled: 1-line block ×3, first 2 shown]
	s_waitcnt vmcnt(3)
	ds_store_2addr_b64 v7, v[0:1], v[2:3] offset1:1
	s_waitcnt vmcnt(2)
	ds_store_2addr_b64 v8, v[10:11], v[12:13] offset1:1
	;; [unrolled: 2-line block ×4, first 2 shown]
.LBB26_12:
	s_and_not1_b32 vcc_lo, exec_lo, s4
	s_cbranch_vccnz .LBB26_30
; %bb.13:
	v_lshlrev_b32_e32 v2, 4, v4
	s_ashr_i32 s9, s8, 31
	v_mul_u32_u24_e32 v3, 33, v9
	s_lshl_b64 s[4:5], s[8:9], 4
	v_cmp_le_i32_e64 s0, s8, v9
	v_sub_co_u32 v0, vcc_lo, v5, v2
	v_subrev_co_ci_u32_e32 v1, vcc_lo, 0, v6, vcc_lo
	v_add_lshl_u32 v3, v3, v4, 4
	s_delay_alu instid0(VALU_DEP_3) | instskip(NEXT) | instid1(VALU_DEP_3)
	v_add_co_u32 v0, vcc_lo, v0, s4
	v_add_co_ci_u32_e32 v1, vcc_lo, s5, v1, vcc_lo
	s_delay_alu instid0(VALU_DEP_2) | instskip(NEXT) | instid1(VALU_DEP_2)
	v_add_co_u32 v0, vcc_lo, v0, -16
	v_add_co_ci_u32_e32 v1, vcc_lo, -1, v1, vcc_lo
	v_cmp_gt_i32_e32 vcc_lo, s8, v4
	s_delay_alu instid0(VALU_DEP_2) | instskip(SKIP_1) | instid1(SALU_CYCLE_1)
	v_dual_cndmask_b32 v1, v1, v6 :: v_dual_cndmask_b32 v0, v0, v5
	s_and_saveexec_b32 s1, s0
	s_xor_b32 s0, exec_lo, s1
	s_cbranch_execz .LBB26_15
; %bb.14:
	v_mov_b32_e32 v10, 0
	s_delay_alu instid0(VALU_DEP_1)
	v_mov_b32_e32 v11, v10
	v_mov_b32_e32 v12, v10
	;; [unrolled: 1-line block ×3, first 2 shown]
	ds_store_b128 v3, v[10:13]
.LBB26_15:
	s_and_not1_saveexec_b32 s0, s0
	s_cbranch_execz .LBB26_17
; %bb.16:
	global_load_b128 v[10:13], v[0:1], off
	s_waitcnt vmcnt(0)
	ds_store_2addr_b64 v3, v[10:11], v[12:13] offset1:1
.LBB26_17:
	s_or_b32 exec_lo, exec_lo, s0
	v_add_nc_u32_e32 v7, 8, v9
	s_delay_alu instid0(VALU_DEP_1) | instskip(NEXT) | instid1(VALU_DEP_1)
	v_cmp_le_i32_e64 s0, s8, v7
	s_and_saveexec_b32 s1, s0
	s_delay_alu instid0(SALU_CYCLE_1)
	s_xor_b32 s0, exec_lo, s1
	s_cbranch_execz .LBB26_19
; %bb.18:
	v_mul_u32_u24_e32 v7, 33, v7
	v_mov_b32_e32 v10, 0
	s_delay_alu instid0(VALU_DEP_2) | instskip(NEXT) | instid1(VALU_DEP_2)
	v_add_lshl_u32 v7, v7, v4, 4
	v_mov_b32_e32 v11, v10
	v_mov_b32_e32 v12, v10
	;; [unrolled: 1-line block ×3, first 2 shown]
	ds_store_b128 v7, v[10:13]
.LBB26_19:
	s_and_not1_saveexec_b32 s1, s0
	s_cbranch_execz .LBB26_21
; %bb.20:
	s_lshl_b32 s20, s18, 3
	s_delay_alu instid0(SALU_CYCLE_1) | instskip(NEXT) | instid1(SALU_CYCLE_1)
	s_ashr_i32 s21, s20, 31
	s_lshl_b64 s[20:21], s[20:21], 4
	s_delay_alu instid0(SALU_CYCLE_1) | instskip(NEXT) | instid1(VALU_DEP_1)
	v_add_co_u32 v7, s0, v0, s20
	v_add_co_ci_u32_e64 v8, s0, s21, v1, s0
	global_load_b128 v[10:13], v[7:8], off
	v_add_nc_u32_e32 v7, 0x1080, v3
	s_waitcnt vmcnt(0)
	ds_store_2addr_b64 v7, v[10:11], v[12:13] offset1:1
.LBB26_21:
	s_or_b32 exec_lo, exec_lo, s1
	v_add_nc_u32_e32 v7, 16, v9
	s_delay_alu instid0(VALU_DEP_1) | instskip(NEXT) | instid1(VALU_DEP_1)
	v_cmp_le_i32_e64 s0, s8, v7
	s_and_saveexec_b32 s1, s0
	s_delay_alu instid0(SALU_CYCLE_1)
	s_xor_b32 s0, exec_lo, s1
	s_cbranch_execz .LBB26_23
; %bb.22:
	v_mul_u32_u24_e32 v7, 33, v7
	v_mov_b32_e32 v10, 0
	s_delay_alu instid0(VALU_DEP_2) | instskip(NEXT) | instid1(VALU_DEP_2)
	v_add_lshl_u32 v7, v7, v4, 4
	v_mov_b32_e32 v11, v10
	v_mov_b32_e32 v12, v10
	;; [unrolled: 1-line block ×3, first 2 shown]
	ds_store_b128 v7, v[10:13]
.LBB26_23:
	s_and_not1_saveexec_b32 s1, s0
	s_cbranch_execz .LBB26_25
; %bb.24:
	s_lshl_b32 s20, s18, 4
	s_delay_alu instid0(SALU_CYCLE_1) | instskip(NEXT) | instid1(SALU_CYCLE_1)
	s_ashr_i32 s21, s20, 31
	s_lshl_b64 s[20:21], s[20:21], 4
	s_delay_alu instid0(SALU_CYCLE_1) | instskip(NEXT) | instid1(VALU_DEP_1)
	v_add_co_u32 v7, s0, v0, s20
	v_add_co_ci_u32_e64 v8, s0, s21, v1, s0
	global_load_b128 v[10:13], v[7:8], off
	v_add_nc_u32_e32 v7, 0x2100, v3
	s_waitcnt vmcnt(0)
	ds_store_2addr_b64 v7, v[10:11], v[12:13] offset1:1
.LBB26_25:
	s_or_b32 exec_lo, exec_lo, s1
	v_add_nc_u32_e32 v7, 24, v9
	s_delay_alu instid0(VALU_DEP_1) | instskip(NEXT) | instid1(VALU_DEP_1)
	v_cmp_le_i32_e64 s0, s8, v7
	s_and_saveexec_b32 s1, s0
	s_delay_alu instid0(SALU_CYCLE_1)
	s_xor_b32 s0, exec_lo, s1
	s_cbranch_execz .LBB26_27
; %bb.26:
	v_mov_b32_e32 v10, 0
	s_delay_alu instid0(VALU_DEP_1)
	v_mov_b32_e32 v11, v10
	v_mov_b32_e32 v12, v10
	;; [unrolled: 1-line block ×3, first 2 shown]
	ds_store_b128 v3, v[10:13] offset:12672
                                        ; implicit-def: $vgpr3
.LBB26_27:
	s_and_not1_saveexec_b32 s1, s0
	s_cbranch_execz .LBB26_29
; %bb.28:
	s_mul_i32 s20, s18, 24
	v_add_nc_u32_e32 v3, 0x3180, v3
	s_ashr_i32 s21, s20, 31
	s_delay_alu instid0(SALU_CYCLE_1) | instskip(NEXT) | instid1(SALU_CYCLE_1)
	s_lshl_b64 s[20:21], s[20:21], 4
	v_add_co_u32 v7, s0, v0, s20
	s_delay_alu instid0(VALU_DEP_1)
	v_add_co_ci_u32_e64 v8, s0, s21, v1, s0
	global_load_b128 v[10:13], v[7:8], off
	s_waitcnt vmcnt(0)
	ds_store_2addr_b64 v3, v[10:11], v[12:13] offset1:1
.LBB26_29:
	s_or_b32 exec_lo, exec_lo, s1
	v_add_co_u32 v0, s0, v0, v2
	s_delay_alu instid0(VALU_DEP_1) | instskip(NEXT) | instid1(VALU_DEP_2)
	v_add_co_ci_u32_e64 v1, s0, 0, v1, s0
	v_sub_co_u32 v0, s0, v0, s4
	s_delay_alu instid0(VALU_DEP_1) | instskip(NEXT) | instid1(VALU_DEP_2)
	v_subrev_co_ci_u32_e64 v1, s0, s5, v1, s0
	v_add_co_u32 v0, s0, v0, 16
	s_delay_alu instid0(VALU_DEP_1) | instskip(NEXT) | instid1(VALU_DEP_1)
	v_add_co_ci_u32_e64 v1, s0, 0, v1, s0
	v_dual_cndmask_b32 v5, v0, v5 :: v_dual_cndmask_b32 v6, v1, v6
.LBB26_30:
	v_lshlrev_b32_e32 v11, 2, v9
	s_waitcnt lgkmcnt(0)
	s_barrier
	buffer_gl0_inv
	v_cmp_ge_u32_e64 s1, v11, v4
	s_delay_alu instid0(VALU_DEP_1) | instskip(NEXT) | instid1(SALU_CYCLE_1)
	s_and_saveexec_b32 s0, s1
	s_xor_b32 s0, exec_lo, s0
	s_cbranch_execz .LBB26_34
; %bb.31:
	s_mov_b32 s4, exec_lo
	v_cmpx_eq_u32_e64 v11, v4
	s_cbranch_execz .LBB26_33
; %bb.32:
	v_mul_u32_u24_e32 v1, 34, v4
	v_mov_b32_e32 v0, 0
	s_delay_alu instid0(VALU_DEP_1)
	v_dual_mov_b32 v1, v0 :: v_dual_lshlrev_b32 v2, 4, v1
	ds_store_b64 v2, v[0:1] offset:8
.LBB26_33:
	s_or_b32 exec_lo, exec_lo, s4
.LBB26_34:
	s_or_saveexec_b32 s0, s0
	v_mul_u32_u24_e32 v44, 33, v4
	v_mul_u32_u24_e32 v0, 0x84, v9
	s_delay_alu instid0(VALU_DEP_2)
	v_add_lshl_u32 v12, v11, v44, 4
	s_xor_b32 exec_lo, exec_lo, s0
	s_cbranch_execz .LBB26_36
; %bb.35:
	s_delay_alu instid0(VALU_DEP_2)
	v_add_lshl_u32 v1, v0, v4, 4
	ds_load_b128 v[13:16], v1
	s_waitcnt lgkmcnt(0)
	v_xor_b32_e32 v16, 0x80000000, v16
	ds_store_b128 v12, v[13:16]
.LBB26_36:
	s_or_b32 exec_lo, exec_lo, s0
	v_or_b32_e32 v14, 1, v11
	s_delay_alu instid0(VALU_DEP_1) | instskip(NEXT) | instid1(VALU_DEP_1)
	v_cmp_ge_u32_e64 s4, v14, v4
	s_and_saveexec_b32 s0, s4
	s_delay_alu instid0(SALU_CYCLE_1)
	s_xor_b32 s0, exec_lo, s0
	s_cbranch_execz .LBB26_40
; %bb.37:
	s_mov_b32 s5, exec_lo
	v_cmpx_eq_u32_e64 v14, v4
	s_cbranch_execz .LBB26_39
; %bb.38:
	v_mul_u32_u24_e32 v2, 34, v4
	v_mov_b32_e32 v1, 0
	s_delay_alu instid0(VALU_DEP_1)
	v_dual_mov_b32 v2, v1 :: v_dual_lshlrev_b32 v3, 4, v2
	ds_store_b64 v3, v[1:2] offset:8
.LBB26_39:
	s_or_b32 exec_lo, exec_lo, s5
.LBB26_40:
	s_or_saveexec_b32 s0, s0
	v_mul_u32_u24_e32 v1, 33, v14
	s_xor_b32 exec_lo, exec_lo, s0
	s_cbranch_execz .LBB26_42
; %bb.41:
	s_delay_alu instid0(VALU_DEP_1)
	v_add_lshl_u32 v2, v1, v4, 4
	ds_load_b128 v[15:18], v2
	s_waitcnt lgkmcnt(0)
	v_xor_b32_e32 v18, 0x80000000, v18
	ds_store_b128 v12, v[15:18] offset:16
.LBB26_42:
	s_or_b32 exec_lo, exec_lo, s0
	v_or_b32_e32 v15, 2, v11
	s_delay_alu instid0(VALU_DEP_1) | instskip(NEXT) | instid1(VALU_DEP_1)
	v_cmp_ge_u32_e64 s5, v15, v4
	s_and_saveexec_b32 s0, s5
	s_delay_alu instid0(SALU_CYCLE_1)
	s_xor_b32 s0, exec_lo, s0
	s_cbranch_execz .LBB26_46
; %bb.43:
	s_mov_b32 s6, exec_lo
	v_cmpx_eq_u32_e64 v15, v4
	s_cbranch_execz .LBB26_45
; %bb.44:
	v_mul_u32_u24_e32 v3, 34, v4
	s_delay_alu instid0(VALU_DEP_1) | instskip(NEXT) | instid1(VALU_DEP_1)
	v_dual_mov_b32 v2, 0 :: v_dual_lshlrev_b32 v7, 4, v3
	v_mov_b32_e32 v3, v2
	ds_store_b64 v7, v[2:3] offset:8
.LBB26_45:
	s_or_b32 exec_lo, exec_lo, s6
.LBB26_46:
	s_and_not1_saveexec_b32 s0, s0
	s_cbranch_execz .LBB26_48
; %bb.47:
	v_mul_u32_u24_e32 v2, 33, v15
	s_delay_alu instid0(VALU_DEP_1)
	v_add_lshl_u32 v2, v2, v4, 4
	ds_load_b128 v[16:19], v2
	s_waitcnt lgkmcnt(0)
	v_xor_b32_e32 v19, 0x80000000, v19
	ds_store_b128 v12, v[16:19] offset:32
.LBB26_48:
	s_or_b32 exec_lo, exec_lo, s0
	v_or_b32_e32 v17, 3, v11
	s_delay_alu instid0(VALU_DEP_1) | instskip(NEXT) | instid1(VALU_DEP_1)
	v_cmp_ge_u32_e64 s6, v17, v4
	s_and_saveexec_b32 s0, s6
	s_delay_alu instid0(SALU_CYCLE_1)
	s_xor_b32 s0, exec_lo, s0
	s_cbranch_execz .LBB26_52
; %bb.49:
	s_mov_b32 s9, exec_lo
	v_cmpx_eq_u32_e64 v17, v4
	s_cbranch_execz .LBB26_51
; %bb.50:
	v_mul_u32_u24_e32 v3, 34, v4
	s_delay_alu instid0(VALU_DEP_1) | instskip(NEXT) | instid1(VALU_DEP_1)
	v_dual_mov_b32 v2, 0 :: v_dual_lshlrev_b32 v7, 4, v3
	v_mov_b32_e32 v3, v2
	ds_store_b64 v7, v[2:3] offset:8
.LBB26_51:
	s_or_b32 exec_lo, exec_lo, s9
.LBB26_52:
	s_and_not1_saveexec_b32 s0, s0
	s_cbranch_execz .LBB26_54
; %bb.53:
	v_mul_u32_u24_e32 v2, 33, v17
	s_delay_alu instid0(VALU_DEP_1)
	v_add_lshl_u32 v2, v2, v4, 4
	ds_load_b128 v[18:21], v2
	s_waitcnt lgkmcnt(0)
	v_xor_b32_e32 v21, 0x80000000, v21
	ds_store_b128 v12, v[18:21] offset:48
.LBB26_54:
	s_or_b32 exec_lo, exec_lo, s0
	v_add_lshl_u32 v16, v0, v4, 4
	v_lshlrev_b32_e32 v13, 4, v11
	s_waitcnt lgkmcnt(0)
	s_barrier
	buffer_gl0_inv
	ds_load_b128 v[18:21], v16
	ds_load_b128 v[22:25], v13 offset:18176
	v_add_lshl_u32 v10, v1, v4, 4
	ds_load_b128 v[0:3], v13 offset:18192
	ds_load_b128 v[26:29], v10
	v_cmp_gt_u32_e64 s0, 32, v43
	s_waitcnt lgkmcnt(2)
	v_mul_f64 v[7:8], v[24:25], v[20:21]
	v_mul_f64 v[20:21], v[22:23], v[20:21]
	s_waitcnt lgkmcnt(0)
	v_mul_f64 v[40:41], v[2:3], v[28:29]
	v_mul_f64 v[45:46], v[0:1], v[28:29]
	s_delay_alu instid0(VALU_DEP_4) | instskip(NEXT) | instid1(VALU_DEP_4)
	v_fma_f64 v[7:8], v[22:23], v[18:19], -v[7:8]
	v_fma_f64 v[47:48], v[24:25], v[18:19], v[20:21]
	ds_load_b128 v[18:21], v10 offset:528
	ds_load_b128 v[22:25], v13 offset:18208
	;; [unrolled: 1-line block ×4, first 2 shown]
	s_waitcnt lgkmcnt(0)
	s_barrier
	v_fma_f64 v[0:1], v[0:1], v[26:27], -v[40:41]
	v_fma_f64 v[2:3], v[2:3], v[26:27], v[45:46]
	v_add_lshl_u32 v45, v9, v44, 4
	buffer_gl0_inv
	v_mul_f64 v[49:50], v[24:25], v[20:21]
	v_mul_f64 v[20:21], v[22:23], v[20:21]
	;; [unrolled: 1-line block ×4, first 2 shown]
	v_add_f64 v[7:8], v[7:8], 0
	v_add_f64 v[26:27], v[47:48], 0
	v_fma_f64 v[22:23], v[22:23], v[18:19], -v[49:50]
	v_fma_f64 v[18:19], v[24:25], v[18:19], v[20:21]
	v_fma_f64 v[20:21], v[30:31], v[32:33], v[34:35]
	v_add_f64 v[0:1], v[7:8], v[0:1]
	v_add_f64 v[2:3], v[26:27], v[2:3]
	v_fma_f64 v[7:8], v[28:29], v[32:33], -v[40:41]
	s_delay_alu instid0(VALU_DEP_3) | instskip(NEXT) | instid1(VALU_DEP_3)
	v_add_f64 v[0:1], v[0:1], v[22:23]
	v_add_f64 v[2:3], v[2:3], v[18:19]
	s_delay_alu instid0(VALU_DEP_2) | instskip(SKIP_1) | instid1(VALU_DEP_3)
	v_add_f64 v[18:19], v[0:1], v[7:8]
	v_mov_b32_e32 v0, 0
	v_add_f64 v[20:21], v[2:3], v[20:21]
	v_mov_b32_e32 v1, 0
	s_delay_alu instid0(VALU_DEP_1)
	v_dual_mov_b32 v3, v1 :: v_dual_mov_b32 v2, v0
	ds_store_b128 v45, v[18:21]
	s_waitcnt lgkmcnt(0)
	s_barrier
	buffer_gl0_inv
	s_and_saveexec_b32 s9, s0
	s_cbranch_execz .LBB26_56
; %bb.55:
	v_lshlrev_b32_e32 v24, 4, v44
	ds_load_b128 v[0:3], v24
	ds_load_b128 v[18:21], v24 offset:16
	s_waitcnt lgkmcnt(0)
	v_add_f64 v[7:8], v[18:19], v[0:1]
	v_add_f64 v[22:23], v[20:21], v[2:3]
	ds_load_b128 v[0:3], v24 offset:32
	ds_load_b128 v[18:21], v24 offset:48
	s_waitcnt lgkmcnt(1)
	v_add_f64 v[0:1], v[7:8], v[0:1]
	v_add_f64 v[2:3], v[22:23], v[2:3]
	s_waitcnt lgkmcnt(0)
	s_delay_alu instid0(VALU_DEP_2) | instskip(NEXT) | instid1(VALU_DEP_2)
	v_add_f64 v[7:8], v[0:1], v[18:19]
	v_add_f64 v[22:23], v[2:3], v[20:21]
	ds_load_b128 v[0:3], v24 offset:64
	ds_load_b128 v[18:21], v24 offset:80
	s_waitcnt lgkmcnt(1)
	v_add_f64 v[0:1], v[7:8], v[0:1]
	v_add_f64 v[2:3], v[22:23], v[2:3]
	s_waitcnt lgkmcnt(0)
	s_delay_alu instid0(VALU_DEP_2) | instskip(NEXT) | instid1(VALU_DEP_2)
	v_add_f64 v[7:8], v[0:1], v[18:19]
	v_add_f64 v[22:23], v[2:3], v[20:21]
	ds_load_b128 v[0:3], v24 offset:96
	ds_load_b128 v[18:21], v24 offset:112
	s_waitcnt lgkmcnt(1)
	v_add_f64 v[0:1], v[7:8], v[0:1]
	v_add_f64 v[2:3], v[22:23], v[2:3]
	s_waitcnt lgkmcnt(0)
	s_delay_alu instid0(VALU_DEP_2) | instskip(NEXT) | instid1(VALU_DEP_2)
	v_add_f64 v[0:1], v[0:1], v[18:19]
	v_add_f64 v[2:3], v[2:3], v[20:21]
.LBB26_56:
	s_or_b32 exec_lo, exec_lo, s9
	s_lshl_b32 s20, s18, 5
	v_cndmask_b32_e64 v18, 0, 1, s7
	s_ashr_i32 s21, s20, 31
	s_delay_alu instid0(SALU_CYCLE_1)
	s_lshl_b64 s[20:21], s[20:21], 4
	s_barrier
	v_add_co_u32 v7, vcc_lo, v5, s20
	v_add_co_ci_u32_e32 v8, vcc_lo, s21, v6, vcc_lo
	buffer_gl0_inv
	v_add_co_u32 v5, vcc_lo, 0x200, v7
	v_add_co_ci_u32_e32 v6, vcc_lo, 0, v8, vcc_lo
	s_and_not1_b32 vcc_lo, exec_lo, s7
	s_cbranch_vccnz .LBB26_58
; %bb.57:
	s_lshl_b32 s22, s18, 3
	s_ashr_i32 s19, s18, 31
	s_ashr_i32 s23, s22, 31
	s_delay_alu instid0(SALU_CYCLE_1) | instskip(NEXT) | instid1(SALU_CYCLE_1)
	s_lshl_b64 s[22:23], s[22:23], 4
	v_add_co_u32 v7, vcc_lo, v7, s22
	v_add_co_ci_u32_e32 v8, vcc_lo, s23, v8, vcc_lo
	s_lshl_b64 s[22:23], s[18:19], 7
	s_delay_alu instid0(VALU_DEP_2) | instid1(SALU_CYCLE_1)
	v_add_co_u32 v27, vcc_lo, v7, s22
	s_delay_alu instid0(VALU_DEP_2) | instskip(NEXT) | instid1(VALU_DEP_2)
	v_add_co_ci_u32_e32 v28, vcc_lo, s23, v8, vcc_lo
	v_add_co_u32 v31, vcc_lo, v27, s22
	s_delay_alu instid0(VALU_DEP_2)
	v_add_co_ci_u32_e32 v32, vcc_lo, s23, v28, vcc_lo
	s_clause 0x3
	global_load_b128 v[19:22], v[5:6], off
	global_load_b128 v[23:26], v[7:8], off offset:512
	global_load_b128 v[27:30], v[27:28], off offset:512
	;; [unrolled: 1-line block ×3, first 2 shown]
	v_mul_u32_u24_e32 v7, 33, v9
	s_delay_alu instid0(VALU_DEP_1) | instskip(NEXT) | instid1(VALU_DEP_1)
	v_add_lshl_u32 v7, v7, v4, 4
	v_add_nc_u32_e32 v35, 0x2100, v7
	v_add_nc_u32_e32 v8, 0x1080, v7
	;; [unrolled: 1-line block ×3, first 2 shown]
	s_waitcnt vmcnt(3)
	ds_store_2addr_b64 v7, v[19:20], v[21:22] offset1:1
	s_waitcnt vmcnt(2)
	ds_store_2addr_b64 v8, v[23:24], v[25:26] offset1:1
	;; [unrolled: 2-line block ×4, first 2 shown]
	s_cbranch_execz .LBB26_59
	s_branch .LBB26_76
.LBB26_58:
.LBB26_59:
	v_lshlrev_b32_e32 v19, 4, v4
	s_ashr_i32 s9, s8, 31
	v_or_b32_e32 v20, 32, v4
	s_lshl_b64 s[22:23], s[8:9], 4
	s_sub_i32 s9, s8, 32
	v_sub_co_u32 v7, vcc_lo, v5, v19
	v_subrev_co_ci_u32_e32 v8, vcc_lo, 0, v6, vcc_lo
	v_cmp_le_i32_e64 s7, s9, v9
	s_delay_alu instid0(VALU_DEP_3) | instskip(NEXT) | instid1(VALU_DEP_3)
	v_add_co_u32 v7, vcc_lo, v7, s22
	v_add_co_ci_u32_e32 v8, vcc_lo, s23, v8, vcc_lo
	s_delay_alu instid0(VALU_DEP_2) | instskip(NEXT) | instid1(VALU_DEP_2)
	v_add_co_u32 v7, vcc_lo, 0xfffffdf0, v7
	v_add_co_ci_u32_e32 v8, vcc_lo, -1, v8, vcc_lo
	v_cmp_gt_i32_e32 vcc_lo, s8, v20
	v_mul_u32_u24_e32 v20, 33, v9
	s_delay_alu instid0(VALU_DEP_3) | instskip(NEXT) | instid1(VALU_DEP_2)
	v_dual_cndmask_b32 v8, v8, v6 :: v_dual_cndmask_b32 v7, v7, v5
	v_add_lshl_u32 v20, v20, v4, 4
	s_and_saveexec_b32 s19, s7
	s_delay_alu instid0(SALU_CYCLE_1)
	s_xor_b32 s7, exec_lo, s19
	s_cbranch_execz .LBB26_61
; %bb.60:
	v_mov_b32_e32 v21, 0
	s_delay_alu instid0(VALU_DEP_1)
	v_mov_b32_e32 v22, v21
	v_mov_b32_e32 v23, v21
	;; [unrolled: 1-line block ×3, first 2 shown]
	ds_store_b128 v20, v[21:24]
.LBB26_61:
	s_and_not1_saveexec_b32 s7, s7
	s_cbranch_execz .LBB26_63
; %bb.62:
	global_load_b128 v[21:24], v[7:8], off
	s_waitcnt vmcnt(0)
	ds_store_2addr_b64 v20, v[21:22], v[23:24] offset1:1
.LBB26_63:
	s_or_b32 exec_lo, exec_lo, s7
	v_add_nc_u32_e32 v21, 8, v9
	s_delay_alu instid0(VALU_DEP_1) | instskip(NEXT) | instid1(VALU_DEP_1)
	v_cmp_le_i32_e64 s7, s9, v21
	s_and_saveexec_b32 s19, s7
	s_delay_alu instid0(SALU_CYCLE_1)
	s_xor_b32 s7, exec_lo, s19
	s_cbranch_execz .LBB26_65
; %bb.64:
	v_mul_u32_u24_e32 v22, 33, v21
	v_mov_b32_e32 v21, 0
	s_delay_alu instid0(VALU_DEP_2) | instskip(NEXT) | instid1(VALU_DEP_2)
	v_add_lshl_u32 v25, v22, v4, 4
	v_mov_b32_e32 v22, v21
	v_mov_b32_e32 v23, v21
	;; [unrolled: 1-line block ×3, first 2 shown]
	ds_store_b128 v25, v[21:24]
.LBB26_65:
	s_and_not1_saveexec_b32 s19, s7
	s_cbranch_execz .LBB26_67
; %bb.66:
	s_lshl_b32 s28, s18, 3
	v_add_nc_u32_e32 v25, 0x1080, v20
	s_ashr_i32 s29, s28, 31
	s_delay_alu instid0(SALU_CYCLE_1) | instskip(NEXT) | instid1(SALU_CYCLE_1)
	s_lshl_b64 s[28:29], s[28:29], 4
	v_add_co_u32 v21, s7, v7, s28
	s_delay_alu instid0(VALU_DEP_1)
	v_add_co_ci_u32_e64 v22, s7, s29, v8, s7
	global_load_b128 v[21:24], v[21:22], off
	s_waitcnt vmcnt(0)
	ds_store_2addr_b64 v25, v[21:22], v[23:24] offset1:1
.LBB26_67:
	s_or_b32 exec_lo, exec_lo, s19
	v_add_nc_u32_e32 v21, 16, v9
	s_delay_alu instid0(VALU_DEP_1) | instskip(NEXT) | instid1(VALU_DEP_1)
	v_cmp_le_i32_e64 s7, s9, v21
	s_and_saveexec_b32 s19, s7
	s_delay_alu instid0(SALU_CYCLE_1)
	s_xor_b32 s7, exec_lo, s19
	s_cbranch_execz .LBB26_69
; %bb.68:
	v_mul_u32_u24_e32 v22, 33, v21
	v_mov_b32_e32 v21, 0
	s_delay_alu instid0(VALU_DEP_2) | instskip(NEXT) | instid1(VALU_DEP_2)
	v_add_lshl_u32 v25, v22, v4, 4
	v_mov_b32_e32 v22, v21
	v_mov_b32_e32 v23, v21
	;; [unrolled: 1-line block ×3, first 2 shown]
	ds_store_b128 v25, v[21:24]
.LBB26_69:
	s_and_not1_saveexec_b32 s19, s7
	s_cbranch_execz .LBB26_71
; %bb.70:
	s_lshl_b32 s28, s18, 4
	v_add_nc_u32_e32 v25, 0x2100, v20
	s_ashr_i32 s29, s28, 31
	s_delay_alu instid0(SALU_CYCLE_1) | instskip(NEXT) | instid1(SALU_CYCLE_1)
	s_lshl_b64 s[28:29], s[28:29], 4
	v_add_co_u32 v21, s7, v7, s28
	s_delay_alu instid0(VALU_DEP_1)
	v_add_co_ci_u32_e64 v22, s7, s29, v8, s7
	global_load_b128 v[21:24], v[21:22], off
	s_waitcnt vmcnt(0)
	ds_store_2addr_b64 v25, v[21:22], v[23:24] offset1:1
.LBB26_71:
	s_or_b32 exec_lo, exec_lo, s19
	v_add_nc_u32_e32 v21, 24, v9
	s_delay_alu instid0(VALU_DEP_1) | instskip(NEXT) | instid1(VALU_DEP_1)
	v_cmp_le_i32_e64 s7, s9, v21
	s_and_saveexec_b32 s9, s7
	s_delay_alu instid0(SALU_CYCLE_1)
	s_xor_b32 s7, exec_lo, s9
	s_cbranch_execz .LBB26_73
; %bb.72:
	v_mov_b32_e32 v21, 0
	s_delay_alu instid0(VALU_DEP_1)
	v_mov_b32_e32 v22, v21
	v_mov_b32_e32 v23, v21
	;; [unrolled: 1-line block ×3, first 2 shown]
	ds_store_b128 v20, v[21:24] offset:12672
                                        ; implicit-def: $vgpr20
.LBB26_73:
	s_and_not1_saveexec_b32 s9, s7
	s_cbranch_execz .LBB26_75
; %bb.74:
	s_mul_i32 s28, s18, 24
	v_add_nc_u32_e32 v20, 0x3180, v20
	s_ashr_i32 s29, s28, 31
	s_delay_alu instid0(SALU_CYCLE_1) | instskip(NEXT) | instid1(SALU_CYCLE_1)
	s_lshl_b64 s[28:29], s[28:29], 4
	v_add_co_u32 v21, s7, v7, s28
	s_delay_alu instid0(VALU_DEP_1)
	v_add_co_ci_u32_e64 v22, s7, s29, v8, s7
	global_load_b128 v[21:24], v[21:22], off
	s_waitcnt vmcnt(0)
	ds_store_2addr_b64 v20, v[21:22], v[23:24] offset1:1
.LBB26_75:
	s_or_b32 exec_lo, exec_lo, s9
	v_add_co_u32 v7, s7, v7, v19
	s_delay_alu instid0(VALU_DEP_1) | instskip(NEXT) | instid1(VALU_DEP_2)
	v_add_co_ci_u32_e64 v8, s7, 0, v8, s7
	v_sub_co_u32 v7, s7, v7, s22
	s_delay_alu instid0(VALU_DEP_1) | instskip(NEXT) | instid1(VALU_DEP_2)
	v_subrev_co_ci_u32_e64 v8, s7, s23, v8, s7
	v_add_co_u32 v7, s7, 0x210, v7
	s_delay_alu instid0(VALU_DEP_1) | instskip(NEXT) | instid1(VALU_DEP_1)
	v_add_co_ci_u32_e64 v8, s7, 0, v8, s7
	v_dual_cndmask_b32 v5, v7, v5 :: v_dual_cndmask_b32 v6, v8, v6
.LBB26_76:
	v_add_nc_u32_e32 v13, 0x4700, v13
	s_waitcnt lgkmcnt(0)
	s_barrier
	buffer_gl0_inv
	s_and_saveexec_b32 s7, s1
	s_delay_alu instid0(SALU_CYCLE_1)
	s_xor_b32 s1, exec_lo, s7
	s_cbranch_execnz .LBB26_89
; %bb.77:
	s_and_not1_saveexec_b32 s1, s1
	s_cbranch_execnz .LBB26_92
.LBB26_78:
	s_or_b32 exec_lo, exec_lo, s1
	s_and_saveexec_b32 s1, s4
	s_delay_alu instid0(SALU_CYCLE_1)
	s_xor_b32 s1, exec_lo, s1
	s_cbranch_execnz .LBB26_93
.LBB26_79:
	s_and_not1_saveexec_b32 s1, s1
	s_cbranch_execnz .LBB26_96
.LBB26_80:
	s_or_b32 exec_lo, exec_lo, s1
	s_and_saveexec_b32 s1, s5
	s_delay_alu instid0(SALU_CYCLE_1)
	s_xor_b32 s1, exec_lo, s1
	s_cbranch_execnz .LBB26_97
.LBB26_81:
	s_and_not1_saveexec_b32 s1, s1
	s_cbranch_execnz .LBB26_100
.LBB26_82:
	s_or_b32 exec_lo, exec_lo, s1
	s_and_saveexec_b32 s1, s6
	s_delay_alu instid0(SALU_CYCLE_1)
	s_xor_b32 s1, exec_lo, s1
	s_cbranch_execnz .LBB26_101
.LBB26_83:
	s_and_not1_saveexec_b32 s1, s1
	s_cbranch_execz .LBB26_85
.LBB26_84:
	ds_load_b128 v[19:22], v10 offset:1056
	s_waitcnt lgkmcnt(0)
	v_xor_b32_e32 v22, 0x80000000, v22
	ds_store_b128 v12, v[19:22] offset:48
.LBB26_85:
	s_or_b32 exec_lo, exec_lo, s1
	s_waitcnt lgkmcnt(0)
	s_barrier
	buffer_gl0_inv
	ds_load_b128 v[19:22], v13 offset:512
	ds_load_b128 v[14:17], v16
	ds_load_b128 v[23:26], v10
	ds_load_b128 v[27:30], v13 offset:528
	ds_load_b128 v[31:34], v13 offset:544
	v_cmp_eq_u32_e64 s1, 1, v9
	s_waitcnt lgkmcnt(1)
	v_mul_f64 v[40:41], v[29:30], v[25:26]
	v_mul_f64 v[7:8], v[21:22], v[16:17]
	;; [unrolled: 1-line block ×4, first 2 shown]
	s_delay_alu instid0(VALU_DEP_4) | instskip(NEXT) | instid1(VALU_DEP_4)
	v_fma_f64 v[27:28], v[27:28], v[23:24], -v[40:41]
	v_fma_f64 v[7:8], v[19:20], v[14:15], -v[7:8]
	s_delay_alu instid0(VALU_DEP_4)
	v_fma_f64 v[46:47], v[21:22], v[14:15], v[16:17]
	ds_load_b128 v[14:17], v10 offset:528
	ds_load_b128 v[19:22], v10 offset:1056
	v_fma_f64 v[29:30], v[29:30], v[23:24], v[25:26]
	ds_load_b128 v[23:26], v13 offset:560
	s_waitcnt lgkmcnt(0)
	s_barrier
	buffer_gl0_inv
	v_mul_f64 v[10:11], v[33:34], v[16:17]
	v_mul_f64 v[16:17], v[31:32], v[16:17]
	v_add_f64 v[7:8], v[7:8], 0
	v_add_f64 v[40:41], v[46:47], 0
	v_mul_f64 v[46:47], v[25:26], v[21:22]
	v_mul_f64 v[21:22], v[23:24], v[21:22]
	v_fma_f64 v[10:11], v[31:32], v[14:15], -v[10:11]
	v_fma_f64 v[14:15], v[33:34], v[14:15], v[16:17]
	v_add_f64 v[7:8], v[7:8], v[27:28]
	v_add_f64 v[16:17], v[40:41], v[29:30]
	v_fma_f64 v[23:24], v[23:24], v[19:20], -v[46:47]
	v_fma_f64 v[19:20], v[25:26], v[19:20], v[21:22]
	s_delay_alu instid0(VALU_DEP_4) | instskip(NEXT) | instid1(VALU_DEP_4)
	v_add_f64 v[7:8], v[7:8], v[10:11]
	v_add_f64 v[10:11], v[16:17], v[14:15]
	s_delay_alu instid0(VALU_DEP_2) | instskip(NEXT) | instid1(VALU_DEP_2)
	v_add_f64 v[14:15], v[7:8], v[23:24]
	v_add_f64 v[16:17], v[10:11], v[19:20]
	ds_store_b128 v45, v[14:17]
	s_waitcnt lgkmcnt(0)
	s_barrier
	buffer_gl0_inv
	s_and_saveexec_b32 s4, s1
	s_cbranch_execz .LBB26_87
; %bb.86:
	v_lshlrev_b32_e32 v19, 4, v44
	ds_load_b128 v[0:3], v19
	ds_load_b128 v[14:17], v19 offset:16
	s_waitcnt lgkmcnt(0)
	v_add_f64 v[7:8], v[14:15], v[0:1]
	v_add_f64 v[10:11], v[16:17], v[2:3]
	ds_load_b128 v[0:3], v19 offset:32
	ds_load_b128 v[14:17], v19 offset:48
	s_waitcnt lgkmcnt(1)
	v_add_f64 v[0:1], v[7:8], v[0:1]
	v_add_f64 v[2:3], v[10:11], v[2:3]
	s_waitcnt lgkmcnt(0)
	s_delay_alu instid0(VALU_DEP_2) | instskip(NEXT) | instid1(VALU_DEP_2)
	v_add_f64 v[7:8], v[0:1], v[14:15]
	v_add_f64 v[10:11], v[2:3], v[16:17]
	ds_load_b128 v[0:3], v19 offset:64
	ds_load_b128 v[14:17], v19 offset:80
	s_waitcnt lgkmcnt(1)
	v_add_f64 v[0:1], v[7:8], v[0:1]
	v_add_f64 v[2:3], v[10:11], v[2:3]
	s_waitcnt lgkmcnt(0)
	s_delay_alu instid0(VALU_DEP_2) | instskip(NEXT) | instid1(VALU_DEP_2)
	;; [unrolled: 9-line block ×3, first 2 shown]
	v_add_f64 v[0:1], v[0:1], v[14:15]
	v_add_f64 v[2:3], v[2:3], v[16:17]
.LBB26_87:
	s_or_b32 exec_lo, exec_lo, s4
	v_cmp_ne_u32_e32 vcc_lo, 1, v18
	v_sub_co_u32 v40, s4, v5, s20
	s_delay_alu instid0(VALU_DEP_1)
	v_subrev_co_ci_u32_e64 v41, s4, s21, v6, s4
	s_barrier
	buffer_gl0_inv
	s_cbranch_vccnz .LBB26_104
; %bb.88:
	s_lshl_b32 s4, s18, 3
	s_ashr_i32 s19, s18, 31
	s_ashr_i32 s5, s4, 31
	s_delay_alu instid0(SALU_CYCLE_1) | instskip(NEXT) | instid1(SALU_CYCLE_1)
	s_lshl_b64 s[4:5], s[4:5], 4
	v_add_co_u32 v5, vcc_lo, v40, s4
	v_add_co_ci_u32_e32 v6, vcc_lo, s5, v41, vcc_lo
	s_lshl_b64 s[4:5], s[18:19], 7
	s_delay_alu instid0(VALU_DEP_2) | instid1(SALU_CYCLE_1)
	v_add_co_u32 v7, vcc_lo, v5, s4
	s_delay_alu instid0(VALU_DEP_2) | instskip(NEXT) | instid1(VALU_DEP_2)
	v_add_co_ci_u32_e32 v8, vcc_lo, s5, v6, vcc_lo
	v_add_co_u32 v10, vcc_lo, v7, s4
	s_delay_alu instid0(VALU_DEP_2)
	v_add_co_ci_u32_e32 v11, vcc_lo, s5, v8, vcc_lo
	s_clause 0x3
	global_load_b128 v[15:18], v[40:41], off
	global_load_b128 v[19:22], v[5:6], off
	global_load_b128 v[23:26], v[7:8], off
	global_load_b128 v[27:30], v[10:11], off
	v_mad_u32_u24 v11, v9, 33, v4
	v_add_nc_u32_e32 v7, 8, v9
	v_add_nc_u32_e32 v8, 16, v9
	;; [unrolled: 1-line block ×3, first 2 shown]
	s_delay_alu instid0(VALU_DEP_4) | instskip(SKIP_3) | instid1(VALU_DEP_4)
	v_lshlrev_b32_e32 v31, 4, v11
	v_add_nc_u32_e32 v6, 0x108, v11
	v_add_nc_u32_e32 v5, 0x210, v11
	;; [unrolled: 1-line block ×6, first 2 shown]
	s_waitcnt vmcnt(3)
	ds_store_2addr_b64 v31, v[15:16], v[17:18] offset1:1
	s_waitcnt vmcnt(2)
	ds_store_2addr_b64 v32, v[19:20], v[21:22] offset1:1
	;; [unrolled: 2-line block ×4, first 2 shown]
	s_cbranch_execz .LBB26_105
	s_branch .LBB26_122
.LBB26_89:
	s_mov_b32 s7, exec_lo
	v_cmpx_eq_u32_e64 v11, v4
	s_cbranch_execz .LBB26_91
; %bb.90:
	v_mul_u32_u24_e32 v8, 34, v4
	v_mov_b32_e32 v7, 0
	s_delay_alu instid0(VALU_DEP_1)
	v_dual_mov_b32 v8, v7 :: v_dual_lshlrev_b32 v11, 4, v8
	ds_store_b64 v11, v[7:8] offset:8
.LBB26_91:
	s_or_b32 exec_lo, exec_lo, s7
	s_and_not1_saveexec_b32 s1, s1
	s_cbranch_execz .LBB26_78
.LBB26_92:
	ds_load_b128 v[19:22], v16
	s_waitcnt lgkmcnt(0)
	v_xor_b32_e32 v22, 0x80000000, v22
	ds_store_b128 v12, v[19:22]
	s_or_b32 exec_lo, exec_lo, s1
	s_and_saveexec_b32 s1, s4
	s_delay_alu instid0(SALU_CYCLE_1)
	s_xor_b32 s1, exec_lo, s1
	s_cbranch_execz .LBB26_79
.LBB26_93:
	s_mov_b32 s4, exec_lo
	v_cmpx_eq_u32_e64 v14, v4
	s_cbranch_execz .LBB26_95
; %bb.94:
	v_mul_u32_u24_e32 v8, 34, v4
	v_mov_b32_e32 v7, 0
	s_delay_alu instid0(VALU_DEP_1)
	v_dual_mov_b32 v8, v7 :: v_dual_lshlrev_b32 v11, 4, v8
	ds_store_b64 v11, v[7:8] offset:8
.LBB26_95:
	s_or_b32 exec_lo, exec_lo, s4
	s_and_not1_saveexec_b32 s1, s1
	s_cbranch_execz .LBB26_80
.LBB26_96:
	ds_load_b128 v[19:22], v10
	s_waitcnt lgkmcnt(0)
	v_xor_b32_e32 v22, 0x80000000, v22
	ds_store_b128 v12, v[19:22] offset:16
	s_or_b32 exec_lo, exec_lo, s1
	s_and_saveexec_b32 s1, s5
	s_delay_alu instid0(SALU_CYCLE_1)
	s_xor_b32 s1, exec_lo, s1
	s_cbranch_execz .LBB26_81
.LBB26_97:
	s_mov_b32 s4, exec_lo
	v_cmpx_eq_u32_e64 v15, v4
	s_cbranch_execz .LBB26_99
; %bb.98:
	v_mul_u32_u24_e32 v8, 34, v4
	v_mov_b32_e32 v7, 0
	s_delay_alu instid0(VALU_DEP_1)
	v_dual_mov_b32 v8, v7 :: v_dual_lshlrev_b32 v11, 4, v8
	ds_store_b64 v11, v[7:8] offset:8
.LBB26_99:
	s_or_b32 exec_lo, exec_lo, s4
	s_and_not1_saveexec_b32 s1, s1
	s_cbranch_execz .LBB26_82
.LBB26_100:
	ds_load_b128 v[19:22], v10 offset:528
	s_waitcnt lgkmcnt(0)
	v_xor_b32_e32 v22, 0x80000000, v22
	ds_store_b128 v12, v[19:22] offset:32
	s_or_b32 exec_lo, exec_lo, s1
	s_and_saveexec_b32 s1, s6
	s_delay_alu instid0(SALU_CYCLE_1)
	s_xor_b32 s1, exec_lo, s1
	s_cbranch_execz .LBB26_83
.LBB26_101:
	s_mov_b32 s4, exec_lo
	v_cmpx_eq_u32_e64 v17, v4
	s_cbranch_execz .LBB26_103
; %bb.102:
	v_mul_u32_u24_e32 v8, 34, v4
	v_mov_b32_e32 v7, 0
	s_delay_alu instid0(VALU_DEP_1)
	v_dual_mov_b32 v8, v7 :: v_dual_lshlrev_b32 v11, 4, v8
	ds_store_b64 v11, v[7:8] offset:8
.LBB26_103:
	s_or_b32 exec_lo, exec_lo, s4
	s_and_not1_saveexec_b32 s1, s1
	s_cbranch_execnz .LBB26_84
	s_branch .LBB26_85
.LBB26_104:
                                        ; implicit-def: $vgpr11
                                        ; implicit-def: $vgpr7
                                        ; implicit-def: $vgpr6
                                        ; implicit-def: $vgpr8
                                        ; implicit-def: $vgpr5
                                        ; implicit-def: $vgpr10
                                        ; implicit-def: $vgpr14
.LBB26_105:
	v_lshlrev_b32_e32 v15, 4, v4
	s_ashr_i32 s9, s8, 31
	v_or_b32_e32 v7, 32, v4
	s_lshl_b64 s[6:7], s[8:9], 4
	v_mad_u32_u24 v11, v9, 33, v4
	v_sub_co_u32 v5, vcc_lo, v40, v15
	v_subrev_co_ci_u32_e32 v6, vcc_lo, 0, v41, vcc_lo
	v_cmp_le_i32_e64 s4, s8, v9
	s_delay_alu instid0(VALU_DEP_3) | instskip(NEXT) | instid1(VALU_DEP_3)
	v_add_co_u32 v5, vcc_lo, v5, s6
	v_add_co_ci_u32_e32 v6, vcc_lo, s7, v6, vcc_lo
	v_lshlrev_b32_e32 v16, 4, v11
	s_delay_alu instid0(VALU_DEP_3) | instskip(NEXT) | instid1(VALU_DEP_3)
	v_add_co_u32 v5, vcc_lo, 0xfffffdf0, v5
	v_add_co_ci_u32_e32 v6, vcc_lo, -1, v6, vcc_lo
	v_cmp_gt_i32_e32 vcc_lo, s8, v7
	s_delay_alu instid0(VALU_DEP_2) | instskip(SKIP_1) | instid1(SALU_CYCLE_1)
	v_dual_cndmask_b32 v6, v6, v41 :: v_dual_cndmask_b32 v5, v5, v40
	s_and_saveexec_b32 s5, s4
	s_xor_b32 s4, exec_lo, s5
	s_cbranch_execz .LBB26_107
; %bb.106:
	v_mov_b32_e32 v17, 0
	s_delay_alu instid0(VALU_DEP_1)
	v_mov_b32_e32 v18, v17
	v_mov_b32_e32 v19, v17
	;; [unrolled: 1-line block ×3, first 2 shown]
	ds_store_b128 v16, v[17:20]
.LBB26_107:
	s_and_not1_saveexec_b32 s4, s4
	s_cbranch_execz .LBB26_109
; %bb.108:
	global_load_b128 v[17:20], v[5:6], off
	s_waitcnt vmcnt(0)
	ds_store_2addr_b64 v16, v[17:18], v[19:20] offset1:1
.LBB26_109:
	s_or_b32 exec_lo, exec_lo, s4
	v_add_nc_u32_e32 v7, 8, v9
	s_delay_alu instid0(VALU_DEP_1) | instskip(NEXT) | instid1(VALU_DEP_1)
	v_cmp_le_i32_e64 s4, s8, v7
	s_and_saveexec_b32 s5, s4
	s_delay_alu instid0(SALU_CYCLE_1)
	s_xor_b32 s4, exec_lo, s5
	s_cbranch_execz .LBB26_111
; %bb.110:
	v_mul_u32_u24_e32 v8, 33, v7
	v_mov_b32_e32 v17, 0
	s_delay_alu instid0(VALU_DEP_2) | instskip(NEXT) | instid1(VALU_DEP_2)
	v_add_lshl_u32 v8, v8, v4, 4
	v_mov_b32_e32 v18, v17
	v_mov_b32_e32 v19, v17
	;; [unrolled: 1-line block ×3, first 2 shown]
	ds_store_b128 v8, v[17:20]
.LBB26_111:
	s_and_not1_saveexec_b32 s5, s4
	s_cbranch_execz .LBB26_113
; %bb.112:
	s_lshl_b32 s20, s18, 3
	v_add_nc_u32_e32 v8, 0x1080, v16
	s_ashr_i32 s21, s20, 31
	s_delay_alu instid0(SALU_CYCLE_1) | instskip(NEXT) | instid1(SALU_CYCLE_1)
	s_lshl_b64 s[20:21], s[20:21], 4
	v_add_co_u32 v17, s4, v5, s20
	s_delay_alu instid0(VALU_DEP_1)
	v_add_co_ci_u32_e64 v18, s4, s21, v6, s4
	global_load_b128 v[17:20], v[17:18], off
	s_waitcnt vmcnt(0)
	ds_store_2addr_b64 v8, v[17:18], v[19:20] offset1:1
.LBB26_113:
	s_or_b32 exec_lo, exec_lo, s5
	v_add_nc_u32_e32 v8, 16, v9
	s_delay_alu instid0(VALU_DEP_1) | instskip(NEXT) | instid1(VALU_DEP_1)
	v_cmp_le_i32_e64 s4, s8, v8
	s_and_saveexec_b32 s5, s4
	s_delay_alu instid0(SALU_CYCLE_1)
	s_xor_b32 s4, exec_lo, s5
	s_cbranch_execz .LBB26_115
; %bb.114:
	v_mul_u32_u24_e32 v10, 33, v8
	v_mov_b32_e32 v17, 0
	s_delay_alu instid0(VALU_DEP_2) | instskip(NEXT) | instid1(VALU_DEP_2)
	v_add_lshl_u32 v10, v10, v4, 4
	v_mov_b32_e32 v18, v17
	v_mov_b32_e32 v19, v17
	v_mov_b32_e32 v20, v17
	ds_store_b128 v10, v[17:20]
.LBB26_115:
	s_and_not1_saveexec_b32 s5, s4
	s_cbranch_execz .LBB26_117
; %bb.116:
	s_lshl_b32 s20, s18, 4
	v_add_nc_u32_e32 v10, 0x2100, v16
	s_ashr_i32 s21, s20, 31
	s_delay_alu instid0(SALU_CYCLE_1) | instskip(NEXT) | instid1(SALU_CYCLE_1)
	s_lshl_b64 s[20:21], s[20:21], 4
	v_add_co_u32 v17, s4, v5, s20
	s_delay_alu instid0(VALU_DEP_1)
	v_add_co_ci_u32_e64 v18, s4, s21, v6, s4
	global_load_b128 v[17:20], v[17:18], off
	s_waitcnt vmcnt(0)
	ds_store_2addr_b64 v10, v[17:18], v[19:20] offset1:1
.LBB26_117:
	s_or_b32 exec_lo, exec_lo, s5
	v_add_nc_u32_e32 v10, 24, v9
                                        ; implicit-def: $vgpr14
	s_delay_alu instid0(VALU_DEP_1) | instskip(NEXT) | instid1(VALU_DEP_1)
	v_cmp_le_i32_e64 s4, s8, v10
	s_and_saveexec_b32 s5, s4
	s_delay_alu instid0(SALU_CYCLE_1)
	s_xor_b32 s4, exec_lo, s5
	s_cbranch_execz .LBB26_119
; %bb.118:
	v_mad_u32_u24 v14, v10, 33, v4
	v_mov_b32_e32 v16, 0
	s_delay_alu instid0(VALU_DEP_1)
	v_dual_mov_b32 v17, v16 :: v_dual_lshlrev_b32 v4, 4, v14
	v_mov_b32_e32 v18, v16
	v_mov_b32_e32 v19, v16
	ds_store_b128 v4, v[16:19]
                                        ; implicit-def: $vgpr16
.LBB26_119:
	s_and_not1_saveexec_b32 s5, s4
	s_cbranch_execz .LBB26_121
; %bb.120:
	s_mul_i32 s20, s18, 24
	v_add_nc_u32_e32 v4, 0x3180, v16
	s_ashr_i32 s21, s20, 31
	v_add_nc_u32_e32 v14, 0x318, v11
	s_lshl_b64 s[20:21], s[20:21], 4
	s_delay_alu instid0(SALU_CYCLE_1) | instskip(NEXT) | instid1(VALU_DEP_1)
	v_add_co_u32 v17, s4, v5, s20
	v_add_co_ci_u32_e64 v18, s4, s21, v6, s4
	global_load_b128 v[17:20], v[17:18], off
	s_waitcnt vmcnt(0)
	ds_store_2addr_b64 v4, v[17:18], v[19:20] offset1:1
.LBB26_121:
	s_or_b32 exec_lo, exec_lo, s5
	v_add_co_u32 v4, s4, v5, v15
	s_delay_alu instid0(VALU_DEP_1) | instskip(NEXT) | instid1(VALU_DEP_2)
	v_add_co_ci_u32_e64 v5, s4, 0, v6, s4
	v_sub_co_u32 v4, s4, v4, s6
	s_delay_alu instid0(VALU_DEP_1) | instskip(NEXT) | instid1(VALU_DEP_2)
	v_subrev_co_ci_u32_e64 v5, s4, s7, v5, s4
	v_add_co_u32 v4, s4, 0x210, v4
	s_delay_alu instid0(VALU_DEP_1) | instskip(SKIP_1) | instid1(VALU_DEP_2)
	v_add_co_ci_u32_e64 v5, s4, 0, v5, s4
	v_add_nc_u32_e32 v6, 0x108, v11
	v_dual_cndmask_b32 v40, v4, v40 :: v_dual_cndmask_b32 v41, v5, v41
	v_add_nc_u32_e32 v5, 0x210, v11
.LBB26_122:
	v_lshlrev_b32_e32 v4, 4, v9
	v_lshlrev_b32_e32 v9, 4, v11
	s_waitcnt lgkmcnt(0)
	s_barrier
	buffer_gl0_inv
	ds_load_b128 v[15:18], v4 offset:18176
	ds_load_b128 v[19:22], v9
	v_lshlrev_b32_e32 v4, 4, v7
	v_lshlrev_b32_e32 v6, 4, v6
	;; [unrolled: 1-line block ×3, first 2 shown]
	s_waitcnt lgkmcnt(0)
	v_mul_f64 v[29:30], v[17:18], v[21:22]
	v_mul_f64 v[31:32], v[15:16], v[21:22]
	ds_load_b128 v[21:24], v4 offset:18176
	ds_load_b128 v[25:28], v6
	v_lshlrev_b32_e32 v4, 4, v8
	v_lshlrev_b32_e32 v8, 4, v5
	s_waitcnt lgkmcnt(0)
	v_mul_f64 v[33:34], v[23:24], v[27:28]
	v_mul_f64 v[27:28], v[21:22], v[27:28]
	v_fma_f64 v[29:30], v[15:16], v[19:20], -v[29:30]
	v_fma_f64 v[19:20], v[17:18], v[19:20], v[31:32]
	ds_load_b128 v[4:7], v4 offset:18176
	ds_load_b128 v[15:18], v8
	v_lshlrev_b32_e32 v8, 4, v10
	s_waitcnt lgkmcnt(0)
	v_mul_f64 v[31:32], v[6:7], v[17:18]
	v_mul_f64 v[46:47], v[4:5], v[17:18]
	v_fma_f64 v[21:22], v[21:22], v[25:26], -v[33:34]
	v_fma_f64 v[23:24], v[23:24], v[25:26], v[27:28]
	v_add_f64 v[25:26], v[29:30], 0
	v_add_f64 v[27:28], v[19:20], 0
	ds_load_b128 v[8:11], v8 offset:18176
	ds_load_b128 v[17:20], v14
	s_waitcnt lgkmcnt(0)
	v_mul_f64 v[29:30], v[10:11], v[19:20]
	v_mul_f64 v[19:20], v[8:9], v[19:20]
	v_fma_f64 v[4:5], v[4:5], v[15:16], -v[31:32]
	v_fma_f64 v[6:7], v[6:7], v[15:16], v[46:47]
	v_add_f64 v[14:15], v[25:26], v[21:22]
	v_add_f64 v[21:22], v[27:28], v[23:24]
	v_fma_f64 v[8:9], v[8:9], v[17:18], -v[29:30]
	v_fma_f64 v[10:11], v[10:11], v[17:18], v[19:20]
	s_delay_alu instid0(VALU_DEP_4) | instskip(NEXT) | instid1(VALU_DEP_4)
	v_add_f64 v[4:5], v[14:15], v[4:5]
	v_add_f64 v[6:7], v[21:22], v[6:7]
	s_delay_alu instid0(VALU_DEP_2) | instskip(NEXT) | instid1(VALU_DEP_2)
	v_add_f64 v[46:47], v[4:5], v[8:9]
	v_add_f64 v[48:49], v[6:7], v[10:11]
	ds_load_b128 v[28:31], v12
	ds_load_b128 v[20:23], v12 offset:16
	ds_load_b128 v[8:11], v12 offset:32
	;; [unrolled: 1-line block ×7, first 2 shown]
	s_waitcnt lgkmcnt(0)
	s_barrier
	buffer_gl0_inv
	ds_store_b128 v45, v[46:49]
	s_waitcnt lgkmcnt(0)
	s_barrier
	buffer_gl0_inv
	s_and_saveexec_b32 s4, s1
	s_cbranch_execz .LBB26_124
; %bb.123:
	v_lshlrev_b32_e32 v54, 4, v44
	ds_load_b128 v[46:49], v54
	ds_load_b128 v[50:53], v54 offset:16
	s_waitcnt lgkmcnt(1)
	v_add_f64 v[0:1], v[0:1], v[46:47]
	v_add_f64 v[2:3], v[2:3], v[48:49]
	s_waitcnt lgkmcnt(0)
	s_delay_alu instid0(VALU_DEP_2) | instskip(NEXT) | instid1(VALU_DEP_2)
	v_add_f64 v[50:51], v[0:1], v[50:51]
	v_add_f64 v[52:53], v[2:3], v[52:53]
	ds_load_b128 v[0:3], v54 offset:32
	ds_load_b128 v[46:49], v54 offset:48
	s_waitcnt lgkmcnt(1)
	v_add_f64 v[0:1], v[50:51], v[0:1]
	v_add_f64 v[2:3], v[52:53], v[2:3]
	s_waitcnt lgkmcnt(0)
	s_delay_alu instid0(VALU_DEP_2) | instskip(NEXT) | instid1(VALU_DEP_2)
	v_add_f64 v[50:51], v[0:1], v[46:47]
	v_add_f64 v[52:53], v[2:3], v[48:49]
	ds_load_b128 v[0:3], v54 offset:64
	;; [unrolled: 9-line block ×3, first 2 shown]
	ds_load_b128 v[46:49], v54 offset:112
	s_waitcnt lgkmcnt(1)
	v_add_f64 v[0:1], v[50:51], v[0:1]
	v_add_f64 v[2:3], v[52:53], v[2:3]
	s_waitcnt lgkmcnt(0)
	s_delay_alu instid0(VALU_DEP_2) | instskip(NEXT) | instid1(VALU_DEP_2)
	v_add_f64 v[0:1], v[0:1], v[46:47]
	v_add_f64 v[2:3], v[2:3], v[48:49]
.LBB26_124:
	s_or_b32 exec_lo, exec_lo, s4
	v_mul_f64 v[46:47], v[30:31], v[34:35]
	v_mul_f64 v[30:31], v[30:31], v[32:33]
	;; [unrolled: 1-line block ×4, first 2 shown]
	s_barrier
	buffer_gl0_inv
	v_fma_f64 v[32:33], v[28:29], v[32:33], v[46:47]
	v_fma_f64 v[28:29], v[28:29], v[34:35], -v[30:31]
	v_mul_f64 v[30:31], v[10:11], v[18:19]
	v_mul_f64 v[10:11], v[10:11], v[16:17]
	v_fma_f64 v[24:25], v[20:21], v[24:25], v[48:49]
	v_fma_f64 v[20:21], v[20:21], v[26:27], -v[22:23]
	v_add_f64 v[22:23], v[32:33], 0
	v_add_f64 v[26:27], v[28:29], 0
	v_mul_f64 v[28:29], v[6:7], v[14:15]
	v_mul_f64 v[6:7], v[6:7], v[12:13]
	v_fma_f64 v[16:17], v[8:9], v[16:17], v[30:31]
	v_fma_f64 v[8:9], v[8:9], v[18:19], -v[10:11]
	v_add_f64 v[10:11], v[22:23], v[24:25]
	v_add_f64 v[18:19], v[26:27], v[20:21]
	v_fma_f64 v[12:13], v[4:5], v[12:13], v[28:29]
	v_fma_f64 v[6:7], v[4:5], v[14:15], -v[6:7]
	s_delay_alu instid0(VALU_DEP_4) | instskip(NEXT) | instid1(VALU_DEP_4)
	v_add_f64 v[4:5], v[10:11], v[16:17]
	v_add_f64 v[8:9], v[18:19], v[8:9]
	s_delay_alu instid0(VALU_DEP_2) | instskip(NEXT) | instid1(VALU_DEP_2)
	v_add_f64 v[4:5], v[4:5], v[12:13]
	v_add_f64 v[6:7], v[8:9], v[6:7]
	ds_store_b128 v45, v[4:7]
	s_waitcnt lgkmcnt(0)
	s_barrier
	buffer_gl0_inv
	s_and_saveexec_b32 s1, s0
	s_cbranch_execz .LBB26_126
; %bb.125:
	v_lshlrev_b32_e32 v12, 4, v44
	ds_load_b128 v[4:7], v12
	ds_load_b128 v[8:11], v12 offset:16
	s_waitcnt lgkmcnt(1)
	v_add_f64 v[0:1], v[0:1], v[4:5]
	v_add_f64 v[2:3], v[2:3], v[6:7]
	s_waitcnt lgkmcnt(0)
	s_delay_alu instid0(VALU_DEP_2) | instskip(NEXT) | instid1(VALU_DEP_2)
	v_add_f64 v[8:9], v[0:1], v[8:9]
	v_add_f64 v[10:11], v[2:3], v[10:11]
	ds_load_b128 v[0:3], v12 offset:32
	ds_load_b128 v[4:7], v12 offset:48
	s_waitcnt lgkmcnt(1)
	v_add_f64 v[0:1], v[8:9], v[0:1]
	v_add_f64 v[2:3], v[10:11], v[2:3]
	s_waitcnt lgkmcnt(0)
	s_delay_alu instid0(VALU_DEP_2) | instskip(NEXT) | instid1(VALU_DEP_2)
	v_add_f64 v[8:9], v[0:1], v[4:5]
	v_add_f64 v[10:11], v[2:3], v[6:7]
	ds_load_b128 v[0:3], v12 offset:64
	;; [unrolled: 9-line block ×3, first 2 shown]
	ds_load_b128 v[4:7], v12 offset:112
	s_waitcnt lgkmcnt(1)
	v_add_f64 v[0:1], v[8:9], v[0:1]
	v_add_f64 v[2:3], v[10:11], v[2:3]
	s_waitcnt lgkmcnt(0)
	s_delay_alu instid0(VALU_DEP_2) | instskip(NEXT) | instid1(VALU_DEP_2)
	v_add_f64 v[0:1], v[0:1], v[4:5]
	v_add_f64 v[2:3], v[2:3], v[6:7]
.LBB26_126:
	s_or_b32 exec_lo, exec_lo, s1
	s_mul_hi_u32 s0, s25, s15
	s_mul_i32 s27, s27, s15
	s_mul_i32 s1, s25, s15
	s_add_i32 s0, s0, s27
	s_mul_hi_u32 s5, s1, s26
	s_mul_i32 s4, s0, s26
	s_mul_i32 s0, s1, s26
	s_add_i32 s1, s5, s4
	s_mul_i32 s4, s14, s25
	s_lshl_b64 s[0:1], s[0:1], 4
	v_cmp_le_i32_e32 vcc_lo, s8, v42
	s_add_u32 s6, s10, s0
	s_addc_u32 s7, s11, s1
	s_ashr_i32 s5, s4, 31
	v_lshlrev_b32_e32 v150, 4, v42
	s_lshl_b64 s[0:1], s[4:5], 4
	s_delay_alu instid0(SALU_CYCLE_1)
	s_add_u32 s10, s6, s0
	s_addc_u32 s11, s7, s1
	s_and_b32 vcc_lo, s13, vcc_lo
	s_cmp_lt_i32 s14, 1
	s_barrier
	buffer_gl0_inv
	s_cbranch_scc1 .LBB26_133
; %bb.127:
	v_mul_lo_u32 v4, v149, s18
	v_sub_co_u32 v7, s0, v40, s16
	s_delay_alu instid0(VALU_DEP_1) | instskip(SKIP_1) | instid1(VALU_DEP_2)
	v_subrev_co_ci_u32_e64 v8, s0, s17, v41, s0
	s_ashr_i32 s9, s8, 31
	v_sub_co_u32 v7, s0, v7, v38
	s_delay_alu instid0(VALU_DEP_4) | instskip(NEXT) | instid1(VALU_DEP_3)
	v_lshl_add_u32 v4, v4, 2, v42
	v_sub_co_ci_u32_e64 v8, s0, v8, v39, s0
	s_lshl_b64 s[6:7], s[8:9], 4
	v_dual_mov_b32 v146, 0 :: v_dual_and_b32 v9, 48, v42
	s_delay_alu instid0(VALU_DEP_3)
	v_ashrrev_i32_e32 v5, 31, v4
	s_mul_i32 s4, s12, s24
	v_or_b32_e32 v10, 0xf0, v150
	s_ashr_i32 s5, s4, 31
	v_add_nc_u32_e32 v154, 0x4700, v150
	v_lshlrev_b64 v[4:5], 4, v[4:5]
	s_lshl_b64 s[4:5], s[4:5], 4
	v_lshl_add_u32 v158, v149, 6, 0x4300
	v_mad_u32_u24 v159, 0x10c0, v149, v150
	s_ashr_i32 s19, s18, 31
	s_lshl_b32 s8, s24, 6
	v_add_co_u32 v4, s0, v7, v4
	s_delay_alu instid0(VALU_DEP_1) | instskip(SKIP_1) | instid1(VALU_DEP_2)
	v_add_co_ci_u32_e64 v5, s0, v8, v5, s0
	s_mul_hi_i32 s9, s18, 0xd0
	v_sub_co_u32 v7, s0, v4, v150
	s_delay_alu instid0(VALU_DEP_1) | instskip(SKIP_1) | instid1(VALU_DEP_2)
	v_subrev_co_ci_u32_e64 v8, s0, 0, v5, s0
	s_mul_i32 s12, s18, 0xd0
	v_add_co_u32 v7, s0, v7, s6
	s_delay_alu instid0(VALU_DEP_1) | instskip(SKIP_1) | instid1(VALU_DEP_1)
	v_add_co_ci_u32_e64 v8, s0, s7, v8, s0
	v_add_co_u32 v4, s0, 0xfffffe00, v4
	v_add_co_ci_u32_e64 v5, s0, -1, v5, s0
	s_delay_alu instid0(VALU_DEP_4) | instskip(NEXT) | instid1(VALU_DEP_1)
	v_add_co_u32 v7, s0, 0xfffffdf0, v7
	v_add_co_ci_u32_e64 v8, s0, -1, v8, s0
	v_and_b32_e32 v6, 15, v42
	s_delay_alu instid0(VALU_DEP_3) | instskip(NEXT) | instid1(VALU_DEP_3)
	v_dual_cndmask_b32 v4, v4, v7 :: v_dual_add_nc_u32 v153, 0x4300, v150
	v_cndmask_b32_e32 v5, v5, v8, vcc_lo
	v_lshlrev_b32_e32 v7, 2, v43
	v_lshlrev_b32_e32 v8, 4, v9
	v_sub_co_u32 v151, s0, v36, s4
	s_delay_alu instid0(VALU_DEP_1) | instskip(NEXT) | instid1(VALU_DEP_4)
	v_subrev_co_ci_u32_e64 v152, s0, s5, v37, s0
	v_and_b32_e32 v7, 0x7ffc0, v7
	s_delay_alu instid0(VALU_DEP_4)
	v_mad_u32_u24 v155, 0x430, v6, v8
	v_and_b32_e32 v8, 0x1fff0, v43
	v_cmp_gt_u32_e64 s0, 64, v43
	v_mad_u32_u24 v156, 0x430, v6, v10
	v_mad_u32_u24 v157, 0x430, v6, v7
	v_or_b32_e32 v145, v9, v6
	v_mad_u32_u24 v160, 0x430, v6, v8
	s_lshl_b64 s[4:5], s[18:19], 4
	s_mov_b32 s6, 0
	s_branch .LBB26_129
.LBB26_128:                             ;   in Loop: Header=BB26_129 Depth=1
	s_or_b32 exec_lo, exec_lo, s7
	v_mul_f64 v[108:109], v[10:11], v[38:39]
	v_mul_f64 v[38:39], v[8:9], v[38:39]
	;; [unrolled: 1-line block ×4, first 2 shown]
	v_add_nc_u32_e32 v145, 64, v145
	s_add_i32 s14, s14, -1
	s_add_i32 s6, s6, s8
	s_cmp_eq_u32 s14, 0
	s_waitcnt_vscnt null, 0x0
	s_barrier
	buffer_gl0_inv
	v_fma_f64 v[8:9], v[8:9], v[36:37], -v[108:109]
	v_fma_f64 v[10:11], v[10:11], v[36:37], v[38:39]
	v_mul_f64 v[36:37], v[14:15], v[46:47]
	v_mul_f64 v[38:39], v[12:13], v[46:47]
	v_fma_f64 v[16:17], v[16:17], v[48:49], -v[110:111]
	v_fma_f64 v[18:19], v[18:19], v[48:49], v[50:51]
	v_add_f64 v[0:1], v[0:1], v[8:9]
	v_add_f64 v[2:3], v[2:3], v[10:11]
	v_mul_f64 v[8:9], v[6:7], v[42:43]
	v_mul_f64 v[10:11], v[4:5], v[42:43]
	v_fma_f64 v[12:13], v[12:13], v[44:45], -v[36:37]
	v_fma_f64 v[14:15], v[14:15], v[44:45], v[38:39]
	v_add_f64 v[0:1], v[0:1], v[16:17]
	v_add_f64 v[2:3], v[2:3], v[18:19]
	v_mul_f64 v[16:17], v[34:35], v[74:75]
	v_mul_f64 v[18:19], v[32:33], v[74:75]
	v_fma_f64 v[4:5], v[4:5], v[40:41], -v[8:9]
	v_fma_f64 v[6:7], v[6:7], v[40:41], v[10:11]
	v_mul_f64 v[8:9], v[30:31], v[82:83]
	v_mul_f64 v[10:11], v[28:29], v[82:83]
	v_add_f64 v[0:1], v[0:1], v[12:13]
	v_add_f64 v[2:3], v[2:3], v[14:15]
	v_fma_f64 v[12:13], v[32:33], v[72:73], -v[16:17]
	v_fma_f64 v[14:15], v[34:35], v[72:73], v[18:19]
	v_fma_f64 v[8:9], v[28:29], v[80:81], -v[8:9]
	v_fma_f64 v[10:11], v[30:31], v[80:81], v[10:11]
	v_add_f64 v[0:1], v[0:1], v[4:5]
	v_add_f64 v[2:3], v[2:3], v[6:7]
	v_mul_f64 v[4:5], v[26:27], v[78:79]
	v_mul_f64 v[6:7], v[24:25], v[78:79]
	s_delay_alu instid0(VALU_DEP_4) | instskip(NEXT) | instid1(VALU_DEP_4)
	v_add_f64 v[0:1], v[0:1], v[12:13]
	v_add_f64 v[2:3], v[2:3], v[14:15]
	v_mul_f64 v[12:13], v[22:23], v[70:71]
	v_mul_f64 v[14:15], v[20:21], v[70:71]
	v_fma_f64 v[4:5], v[24:25], v[76:77], -v[4:5]
	v_fma_f64 v[6:7], v[26:27], v[76:77], v[6:7]
	v_add_f64 v[0:1], v[0:1], v[8:9]
	v_add_f64 v[2:3], v[2:3], v[10:11]
	v_mul_f64 v[8:9], v[66:67], v[102:103]
	v_mul_f64 v[10:11], v[64:65], v[102:103]
	v_fma_f64 v[12:13], v[20:21], v[68:69], -v[12:13]
	v_fma_f64 v[14:15], v[22:23], v[68:69], v[14:15]
	;; [unrolled: 6-line block ×9, first 2 shown]
	v_add_f64 v[0:1], v[0:1], v[12:13]
	v_add_f64 v[2:3], v[2:3], v[14:15]
	v_fma_f64 v[4:5], v[120:121], v[128:129], -v[4:5]
	v_fma_f64 v[6:7], v[122:123], v[128:129], v[6:7]
	s_delay_alu instid0(VALU_DEP_4) | instskip(NEXT) | instid1(VALU_DEP_4)
	v_add_f64 v[0:1], v[0:1], v[8:9]
	v_add_f64 v[2:3], v[2:3], v[10:11]
	s_delay_alu instid0(VALU_DEP_2) | instskip(NEXT) | instid1(VALU_DEP_2)
	v_add_f64 v[0:1], v[0:1], v[4:5]
	v_add_f64 v[2:3], v[2:3], v[6:7]
	v_add_co_u32 v4, s1, v147, s12
	s_delay_alu instid0(VALU_DEP_1)
	v_add_co_ci_u32_e64 v5, s1, s9, v148, s1
	s_cbranch_scc1 .LBB26_133
.LBB26_129:                             ; =>This Inner Loop Header: Depth=1
	s_and_saveexec_b32 s13, s3
	s_cbranch_execz .LBB26_131
; %bb.130:                              ;   in Loop: Header=BB26_129 Depth=1
	s_ashr_i32 s7, s6, 31
	s_delay_alu instid0(SALU_CYCLE_1) | instskip(NEXT) | instid1(SALU_CYCLE_1)
	s_lshl_b64 s[16:17], s[6:7], 4
	v_add_co_u32 v6, s1, v151, s16
	s_delay_alu instid0(VALU_DEP_1)
	v_add_co_ci_u32_e64 v7, s1, s17, v152, s1
	global_load_b128 v[6:9], v[6:7], off
	s_waitcnt vmcnt(0)
	ds_store_2addr_b64 v153, v[6:7], v[8:9] offset1:1
.LBB26_131:                             ;   in Loop: Header=BB26_129 Depth=1
	s_or_b32 exec_lo, exec_lo, s13
	v_add_co_u32 v6, s1, v4, s4
	s_delay_alu instid0(VALU_DEP_1) | instskip(SKIP_1) | instid1(VALU_DEP_2)
	v_add_co_ci_u32_e64 v7, s1, s5, v5, s1
	s_waitcnt lgkmcnt(0)
	v_add_co_u32 v12, s1, v6, s4
	s_delay_alu instid0(VALU_DEP_1) | instskip(SKIP_1) | instid1(VALU_DEP_2)
	v_add_co_ci_u32_e64 v13, s1, s5, v7, s1
	s_barrier
	v_add_co_u32 v40, s1, v12, s4
	buffer_gl0_inv
	global_load_b128 v[8:11], v[4:5], off
	v_add_co_ci_u32_e64 v41, s1, s5, v13, s1
	s_clause 0x2
	global_load_b128 v[16:19], v[6:7], off
	global_load_b128 v[12:15], v[12:13], off
	global_load_b128 v[4:7], v[40:41], off
	ds_load_b128 v[20:23], v154
	ds_load_b128 v[36:39], v158
	v_add_co_u32 v52, s1, v40, s12
	s_delay_alu instid0(VALU_DEP_1) | instskip(NEXT) | instid1(VALU_DEP_2)
	v_add_co_ci_u32_e64 v53, s1, s9, v41, s1
	v_add_co_u32 v54, s1, v52, s4
	s_delay_alu instid0(VALU_DEP_1) | instskip(NEXT) | instid1(VALU_DEP_2)
	v_add_co_ci_u32_e64 v55, s1, s5, v53, s1
	;; [unrolled: 3-line block ×11, first 2 shown]
	v_add_co_u32 v147, s1, v136, s4
	s_delay_alu instid0(VALU_DEP_1)
	v_add_co_ci_u32_e64 v148, s1, s5, v137, s1
	s_waitcnt vmcnt(3) lgkmcnt(1)
	v_mul_f64 v[24:25], v[10:11], v[22:23]
	v_mul_f64 v[26:27], v[10:11], v[20:21]
	s_waitcnt vmcnt(2)
	v_mul_f64 v[28:29], v[18:19], v[22:23]
	v_mul_f64 v[30:31], v[18:19], v[20:21]
	s_waitcnt vmcnt(1)
	;; [unrolled: 3-line block ×3, first 2 shown]
	v_mul_f64 v[42:43], v[6:7], v[22:23]
	v_mul_f64 v[44:45], v[6:7], v[20:21]
	v_fma_f64 v[24:25], v[8:9], v[20:21], v[24:25]
	v_fma_f64 v[26:27], v[8:9], v[22:23], -v[26:27]
	v_fma_f64 v[28:29], v[16:17], v[20:21], v[28:29]
	v_fma_f64 v[30:31], v[16:17], v[22:23], -v[30:31]
	;; [unrolled: 2-line block ×4, first 2 shown]
	ds_store_b128 v159, v[24:27]
	ds_load_b128 v[48:51], v158 offset:16
	ds_store_b128 v159, v[28:31] offset:1072
	ds_load_b128 v[44:47], v158 offset:32
	ds_store_b128 v159, v[32:35] offset:2144
	ds_load_b128 v[40:43], v158 offset:48
	ds_store_b128 v159, v[20:23] offset:3216
	s_waitcnt lgkmcnt(0)
	s_barrier
	buffer_gl0_inv
	ds_load_b128 v[128:131], v157
	ds_load_b128 v[140:143], v157 offset:16
	ds_load_b128 v[116:119], v157 offset:32
	;; [unrolled: 1-line block ×3, first 2 shown]
	s_waitcnt lgkmcnt(0)
	s_barrier
	buffer_gl0_inv
	s_clause 0x2
	global_load_b128 v[32:35], v[52:53], off
	global_load_b128 v[28:31], v[54:55], off
	;; [unrolled: 1-line block ×4, first 2 shown]
	ds_load_b128 v[52:55], v154
	ds_load_b128 v[72:75], v158 offset:256
	v_add_f64 v[205:206], v[128:129], 0
	v_add_f64 v[207:208], v[130:131], 0
	s_waitcnt vmcnt(2) lgkmcnt(1)
	v_mul_f64 v[60:61], v[30:31], v[54:55]
	v_mul_f64 v[56:57], v[34:35], v[54:55]
	;; [unrolled: 1-line block ×4, first 2 shown]
	s_waitcnt vmcnt(1)
	v_mul_f64 v[64:65], v[26:27], v[54:55]
	v_mul_f64 v[66:67], v[26:27], v[52:53]
	s_waitcnt vmcnt(0)
	v_mul_f64 v[70:71], v[22:23], v[54:55]
	v_mul_f64 v[76:77], v[22:23], v[52:53]
	v_fma_f64 v[60:61], v[28:29], v[52:53], v[60:61]
	v_fma_f64 v[56:57], v[32:33], v[52:53], v[56:57]
	v_fma_f64 v[58:59], v[32:33], v[54:55], -v[58:59]
	v_fma_f64 v[62:63], v[28:29], v[54:55], -v[62:63]
	v_fma_f64 v[64:65], v[24:25], v[52:53], v[64:65]
	v_fma_f64 v[66:67], v[24:25], v[54:55], -v[66:67]
	v_fma_f64 v[52:53], v[20:21], v[52:53], v[70:71]
	v_fma_f64 v[54:55], v[20:21], v[54:55], -v[76:77]
	ds_store_b128 v159, v[56:59]
	ds_load_b128 v[80:83], v158 offset:272
	ds_store_b128 v159, v[60:63] offset:1072
	ds_load_b128 v[76:79], v158 offset:288
	ds_store_b128 v159, v[64:67] offset:2144
	;; [unrolled: 2-line block ×3, first 2 shown]
	s_waitcnt lgkmcnt(0)
	s_barrier
	buffer_gl0_inv
	ds_load_b128 v[161:164], v157
	ds_load_b128 v[165:168], v157 offset:16
	ds_load_b128 v[169:172], v157 offset:32
	;; [unrolled: 1-line block ×3, first 2 shown]
	s_waitcnt lgkmcnt(0)
	s_barrier
	buffer_gl0_inv
	global_load_b128 v[64:67], v[84:85], off
	global_load_b128 v[60:63], v[86:87], off
	;; [unrolled: 1-line block ×4, first 2 shown]
	ds_load_b128 v[84:87], v154
	ds_load_b128 v[100:103], v158 offset:512
	v_add_f64 v[161:162], v[161:162], 0
	v_add_f64 v[163:164], v[163:164], 0
	s_delay_alu instid0(VALU_DEP_2) | instskip(NEXT) | instid1(VALU_DEP_2)
	v_add_f64 v[161:162], v[161:162], v[165:166]
	v_add_f64 v[163:164], v[163:164], v[167:168]
	s_delay_alu instid0(VALU_DEP_2) | instskip(NEXT) | instid1(VALU_DEP_2)
	v_add_f64 v[161:162], v[161:162], v[169:170]
	v_add_f64 v[163:164], v[163:164], v[171:172]
	s_waitcnt vmcnt(2) lgkmcnt(1)
	v_mul_f64 v[92:93], v[62:63], v[86:87]
	v_mul_f64 v[88:89], v[66:67], v[86:87]
	;; [unrolled: 1-line block ×4, first 2 shown]
	s_waitcnt vmcnt(1)
	v_mul_f64 v[96:97], v[58:59], v[86:87]
	v_mul_f64 v[98:99], v[58:59], v[84:85]
	s_waitcnt vmcnt(0)
	v_mul_f64 v[106:107], v[54:55], v[86:87]
	v_mul_f64 v[112:113], v[54:55], v[84:85]
	v_fma_f64 v[92:93], v[60:61], v[84:85], v[92:93]
	v_fma_f64 v[88:89], v[64:65], v[84:85], v[88:89]
	v_fma_f64 v[90:91], v[64:65], v[86:87], -v[90:91]
	v_fma_f64 v[94:95], v[60:61], v[86:87], -v[94:95]
	v_fma_f64 v[96:97], v[56:57], v[84:85], v[96:97]
	v_fma_f64 v[98:99], v[56:57], v[86:87], -v[98:99]
	v_fma_f64 v[84:85], v[52:53], v[84:85], v[106:107]
	v_fma_f64 v[86:87], v[52:53], v[86:87], -v[112:113]
	ds_store_b128 v159, v[88:91]
	ds_load_b128 v[112:115], v158 offset:528
	ds_store_b128 v159, v[92:95] offset:1072
	ds_load_b128 v[104:107], v158 offset:544
	ds_store_b128 v159, v[96:99] offset:2144
	ds_load_b128 v[96:99], v158 offset:560
	ds_store_b128 v159, v[84:87] offset:3216
	s_waitcnt lgkmcnt(0)
	s_barrier
	buffer_gl0_inv
	ds_load_b128 v[177:180], v157
	ds_load_b128 v[181:184], v157 offset:16
	ds_load_b128 v[185:188], v157 offset:32
	;; [unrolled: 1-line block ×3, first 2 shown]
	s_waitcnt lgkmcnt(0)
	s_barrier
	buffer_gl0_inv
	global_load_b128 v[88:91], v[120:121], off
	global_load_b128 v[84:87], v[122:123], off
	;; [unrolled: 1-line block ×3, first 2 shown]
	ds_load_b128 v[132:135], v154
	ds_load_b128 v[124:127], v158 offset:768
	v_add_f64 v[177:178], v[177:178], 0
	v_add_f64 v[179:180], v[179:180], 0
	s_delay_alu instid0(VALU_DEP_2) | instskip(NEXT) | instid1(VALU_DEP_2)
	v_add_f64 v[165:166], v[177:178], v[181:182]
	v_add_f64 v[167:168], v[179:180], v[183:184]
	s_delay_alu instid0(VALU_DEP_2) | instskip(NEXT) | instid1(VALU_DEP_2)
	v_add_f64 v[165:166], v[165:166], v[185:186]
	v_add_f64 v[167:168], v[167:168], v[187:188]
	s_waitcnt vmcnt(2) lgkmcnt(1)
	v_mul_f64 v[120:121], v[90:91], v[134:135]
	v_mul_f64 v[122:123], v[90:91], v[132:133]
	s_waitcnt vmcnt(1)
	v_mul_f64 v[193:194], v[86:87], v[134:135]
	v_mul_f64 v[195:196], v[86:87], v[132:133]
	s_waitcnt vmcnt(0)
	v_mul_f64 v[197:198], v[94:95], v[134:135]
	v_mul_f64 v[199:200], v[94:95], v[132:133]
	v_fma_f64 v[136:137], v[88:89], v[132:133], v[120:121]
	v_fma_f64 v[138:139], v[88:89], v[134:135], -v[122:123]
	global_load_b128 v[120:123], v[147:148], off
	v_fma_f64 v[193:194], v[84:85], v[132:133], v[193:194]
	v_fma_f64 v[195:196], v[84:85], v[134:135], -v[195:196]
	v_fma_f64 v[197:198], v[92:93], v[132:133], v[197:198]
	v_fma_f64 v[199:200], v[92:93], v[134:135], -v[199:200]
	ds_store_b128 v159, v[136:139]
	ds_load_b128 v[136:139], v158 offset:784
	ds_store_b128 v159, v[193:196] offset:1072
	s_waitcnt vmcnt(0)
	v_mul_f64 v[201:202], v[122:123], v[134:135]
	v_mul_f64 v[203:204], v[122:123], v[132:133]
	s_delay_alu instid0(VALU_DEP_2) | instskip(NEXT) | instid1(VALU_DEP_2)
	v_fma_f64 v[201:202], v[120:121], v[132:133], v[201:202]
	v_fma_f64 v[203:204], v[120:121], v[134:135], -v[203:204]
	ds_load_b128 v[132:135], v158 offset:800
	ds_store_b128 v159, v[197:200] offset:2144
	ds_load_b128 v[128:131], v158 offset:816
	v_add_f64 v[197:198], v[205:206], v[140:141]
	v_add_f64 v[199:200], v[207:208], v[142:143]
	ds_store_b128 v159, v[201:204] offset:3216
	s_waitcnt lgkmcnt(0)
	s_barrier
	buffer_gl0_inv
	ds_load_b128 v[193:196], v157
	ds_load_b128 v[140:143], v157 offset:16
	v_add_f64 v[181:182], v[197:198], v[116:117]
	v_add_f64 v[183:184], v[199:200], v[118:119]
	ds_load_b128 v[116:119], v157 offset:48
	s_waitcnt lgkmcnt(2)
	v_add_f64 v[193:194], v[193:194], 0
	v_add_f64 v[195:196], v[195:196], 0
	v_add_f64 v[108:109], v[181:182], v[108:109]
	v_add_f64 v[110:111], v[183:184], v[110:111]
	s_waitcnt lgkmcnt(1)
	s_delay_alu instid0(VALU_DEP_4) | instskip(NEXT) | instid1(VALU_DEP_4)
	v_add_f64 v[177:178], v[193:194], v[140:141]
	v_add_f64 v[179:180], v[195:196], v[142:143]
	ds_load_b128 v[140:143], v157 offset:32
	s_waitcnt lgkmcnt(0)
	s_barrier
	buffer_gl0_inv
	v_add_f64 v[169:170], v[177:178], v[140:141]
	v_add_f64 v[171:172], v[179:180], v[142:143]
	;; [unrolled: 1-line block ×8, first 2 shown]
	ds_store_b128 v160, v[108:111]
	ds_store_b128 v160, v[140:143] offset:256
	ds_store_b128 v160, v[161:164] offset:512
	;; [unrolled: 1-line block ×3, first 2 shown]
	s_waitcnt lgkmcnt(0)
	s_barrier
	buffer_gl0_inv
	s_and_saveexec_b32 s7, s0
	s_cbranch_execz .LBB26_128
; %bb.132:                              ;   in Loop: Header=BB26_129 Depth=1
	ds_load_b128 v[108:111], v155
	ds_load_b128 v[116:119], v155 offset:16
	s_waitcnt lgkmcnt(0)
	v_add_f64 v[140:141], v[116:117], v[108:109]
	v_add_f64 v[142:143], v[118:119], v[110:111]
	ds_load_b128 v[108:111], v155 offset:32
	ds_load_b128 v[116:119], v155 offset:48
	s_waitcnt lgkmcnt(1)
	v_add_f64 v[108:109], v[140:141], v[108:109]
	v_add_f64 v[110:111], v[142:143], v[110:111]
	s_waitcnt lgkmcnt(0)
	s_delay_alu instid0(VALU_DEP_2) | instskip(NEXT) | instid1(VALU_DEP_2)
	v_add_f64 v[140:141], v[108:109], v[116:117]
	v_add_f64 v[142:143], v[110:111], v[118:119]
	ds_load_b128 v[108:111], v155 offset:64
	ds_load_b128 v[116:119], v155 offset:80
	s_waitcnt lgkmcnt(1)
	v_add_f64 v[108:109], v[140:141], v[108:109]
	v_add_f64 v[110:111], v[142:143], v[110:111]
	s_waitcnt lgkmcnt(0)
	s_delay_alu instid0(VALU_DEP_2) | instskip(NEXT) | instid1(VALU_DEP_2)
	;; [unrolled: 9-line block ×6, first 2 shown]
	v_add_f64 v[140:141], v[108:109], v[116:117]
	v_add_f64 v[142:143], v[110:111], v[118:119]
	ds_load_b128 v[108:111], v155 offset:224
	ds_load_b128 v[116:119], v156
	s_waitcnt lgkmcnt(1)
	v_add_f64 v[108:109], v[140:141], v[108:109]
	v_add_f64 v[110:111], v[142:143], v[110:111]
	s_waitcnt lgkmcnt(0)
	s_delay_alu instid0(VALU_DEP_2) | instskip(NEXT) | instid1(VALU_DEP_2)
	v_add_f64 v[108:109], v[108:109], v[116:117]
	v_add_f64 v[110:111], v[110:111], v[118:119]
	v_lshlrev_b64 v[116:117], 4, v[145:146]
	s_delay_alu instid0(VALU_DEP_1) | instskip(NEXT) | instid1(VALU_DEP_1)
	v_add_co_u32 v116, s1, s10, v116
	v_add_co_ci_u32_e64 v117, s1, s11, v117, s1
	global_store_b128 v[116:117], v[108:111], off
	s_branch .LBB26_128
.LBB26_133:
	v_mad_u32_u24 v4, 0x430, v149, v150
	s_or_b32 s0, s2, vcc_lo
	s_delay_alu instid0(SALU_CYCLE_1)
	s_xor_b32 s0, s0, -1
	ds_store_b128 v4, v[0:3]
	s_waitcnt lgkmcnt(0)
	s_barrier
	buffer_gl0_inv
	s_and_saveexec_b32 s1, s0
	s_cbranch_execz .LBB26_135
; %bb.134:
	ds_load_b128 v[0:3], v150 offset:1072
	ds_load_b128 v[4:7], v150
	v_ashrrev_i32_e32 v145, 31, v144
	s_waitcnt lgkmcnt(0)
	v_add_f64 v[8:9], v[0:1], v[4:5]
	v_add_f64 v[10:11], v[2:3], v[6:7]
	ds_load_b128 v[0:3], v150 offset:2144
	ds_load_b128 v[4:7], v150 offset:3216
	s_waitcnt lgkmcnt(1)
	v_add_f64 v[0:1], v[8:9], v[0:1]
	v_add_f64 v[2:3], v[10:11], v[2:3]
	s_waitcnt lgkmcnt(0)
	s_delay_alu instid0(VALU_DEP_2) | instskip(NEXT) | instid1(VALU_DEP_2)
	v_add_f64 v[0:1], v[0:1], v[4:5]
	v_add_f64 v[2:3], v[2:3], v[6:7]
	v_lshlrev_b64 v[4:5], 4, v[144:145]
	s_delay_alu instid0(VALU_DEP_1) | instskip(NEXT) | instid1(VALU_DEP_2)
	v_add_co_u32 v4, vcc_lo, s10, v4
	v_add_co_ci_u32_e32 v5, vcc_lo, s11, v5, vcc_lo
	global_store_b128 v[4:5], v[0:3], off
.LBB26_135:
	s_nop 0
	s_sendmsg sendmsg(MSG_DEALLOC_VGPRS)
	s_endpgm
	.section	.rodata,"a",@progbits
	.p2align	6, 0x0
	.amdhsa_kernel _ZL26rocblas_hemvn_kernel_lowerILb1ELi64ELi4ELi33ELi32ELi16EiPK19rocblas_complex_numIdES3_PS1_EviT6_lT7_lT5_lS6_lS7_lS5_lT8_i
		.amdhsa_group_segment_fixed_size 19200
		.amdhsa_private_segment_fixed_size 0
		.amdhsa_kernarg_size 376
		.amdhsa_user_sgpr_count 14
		.amdhsa_user_sgpr_dispatch_ptr 0
		.amdhsa_user_sgpr_queue_ptr 0
		.amdhsa_user_sgpr_kernarg_segment_ptr 1
		.amdhsa_user_sgpr_dispatch_id 0
		.amdhsa_user_sgpr_private_segment_size 0
		.amdhsa_wavefront_size32 1
		.amdhsa_uses_dynamic_stack 0
		.amdhsa_enable_private_segment 0
		.amdhsa_system_sgpr_workgroup_id_x 1
		.amdhsa_system_sgpr_workgroup_id_y 0
		.amdhsa_system_sgpr_workgroup_id_z 1
		.amdhsa_system_sgpr_workgroup_info 0
		.amdhsa_system_vgpr_workitem_id 1
		.amdhsa_next_free_vgpr 209
		.amdhsa_next_free_sgpr 30
		.amdhsa_reserve_vcc 1
		.amdhsa_float_round_mode_32 0
		.amdhsa_float_round_mode_16_64 0
		.amdhsa_float_denorm_mode_32 3
		.amdhsa_float_denorm_mode_16_64 3
		.amdhsa_dx10_clamp 1
		.amdhsa_ieee_mode 1
		.amdhsa_fp16_overflow 0
		.amdhsa_workgroup_processor_mode 1
		.amdhsa_memory_ordered 1
		.amdhsa_forward_progress 0
		.amdhsa_shared_vgpr_count 0
		.amdhsa_exception_fp_ieee_invalid_op 0
		.amdhsa_exception_fp_denorm_src 0
		.amdhsa_exception_fp_ieee_div_zero 0
		.amdhsa_exception_fp_ieee_overflow 0
		.amdhsa_exception_fp_ieee_underflow 0
		.amdhsa_exception_fp_ieee_inexact 0
		.amdhsa_exception_int_div_zero 0
	.end_amdhsa_kernel
	.section	.text._ZL26rocblas_hemvn_kernel_lowerILb1ELi64ELi4ELi33ELi32ELi16EiPK19rocblas_complex_numIdES3_PS1_EviT6_lT7_lT5_lS6_lS7_lS5_lT8_i,"axG",@progbits,_ZL26rocblas_hemvn_kernel_lowerILb1ELi64ELi4ELi33ELi32ELi16EiPK19rocblas_complex_numIdES3_PS1_EviT6_lT7_lT5_lS6_lS7_lS5_lT8_i,comdat
.Lfunc_end26:
	.size	_ZL26rocblas_hemvn_kernel_lowerILb1ELi64ELi4ELi33ELi32ELi16EiPK19rocblas_complex_numIdES3_PS1_EviT6_lT7_lT5_lS6_lS7_lS5_lT8_i, .Lfunc_end26-_ZL26rocblas_hemvn_kernel_lowerILb1ELi64ELi4ELi33ELi32ELi16EiPK19rocblas_complex_numIdES3_PS1_EviT6_lT7_lT5_lS6_lS7_lS5_lT8_i
                                        ; -- End function
	.section	.AMDGPU.csdata,"",@progbits
; Kernel info:
; codeLenInByte = 11092
; NumSgprs: 32
; NumVgprs: 209
; ScratchSize: 0
; MemoryBound: 0
; FloatMode: 240
; IeeeMode: 1
; LDSByteSize: 19200 bytes/workgroup (compile time only)
; SGPRBlocks: 3
; VGPRBlocks: 26
; NumSGPRsForWavesPerEU: 32
; NumVGPRsForWavesPerEU: 209
; Occupancy: 7
; WaveLimiterHint : 1
; COMPUTE_PGM_RSRC2:SCRATCH_EN: 0
; COMPUTE_PGM_RSRC2:USER_SGPR: 14
; COMPUTE_PGM_RSRC2:TRAP_HANDLER: 0
; COMPUTE_PGM_RSRC2:TGID_X_EN: 1
; COMPUTE_PGM_RSRC2:TGID_Y_EN: 0
; COMPUTE_PGM_RSRC2:TGID_Z_EN: 1
; COMPUTE_PGM_RSRC2:TIDIG_COMP_CNT: 1
	.section	.text._ZL36rocblas_hemvn_kernel_lower_block_sumILi64EiPK19rocblas_complex_numIdEPS1_S1_EviT1_lS5_lT2_lT0_lPT3_i,"axG",@progbits,_ZL36rocblas_hemvn_kernel_lower_block_sumILi64EiPK19rocblas_complex_numIdEPS1_S1_EviT1_lS5_lT2_lT0_lPT3_i,comdat
	.globl	_ZL36rocblas_hemvn_kernel_lower_block_sumILi64EiPK19rocblas_complex_numIdEPS1_S1_EviT1_lS5_lT2_lT0_lPT3_i ; -- Begin function _ZL36rocblas_hemvn_kernel_lower_block_sumILi64EiPK19rocblas_complex_numIdEPS1_S1_EviT1_lS5_lT2_lT0_lPT3_i
	.p2align	8
	.type	_ZL36rocblas_hemvn_kernel_lower_block_sumILi64EiPK19rocblas_complex_numIdEPS1_S1_EviT1_lS5_lT2_lT0_lPT3_i,@function
_ZL36rocblas_hemvn_kernel_lower_block_sumILi64EiPK19rocblas_complex_numIdEPS1_S1_EviT1_lS5_lT2_lT0_lPT3_i: ; @_ZL36rocblas_hemvn_kernel_lower_block_sumILi64EiPK19rocblas_complex_numIdEPS1_S1_EviT1_lS5_lT2_lT0_lPT3_i
; %bb.0:
	s_load_b256 s[4:11], s[0:1], 0x8
	s_waitcnt lgkmcnt(0)
	s_mul_i32 s3, s15, s7
	s_mul_hi_u32 s7, s15, s6
	s_mul_i32 s2, s15, s6
	s_add_i32 s3, s7, s3
	s_delay_alu instid0(SALU_CYCLE_1) | instskip(NEXT) | instid1(SALU_CYCLE_1)
	s_lshl_b64 s[2:3], s[2:3], 4
	s_add_u32 s2, s4, s2
	s_addc_u32 s3, s5, s3
	s_load_b128 s[16:19], s[2:3], 0x0
	s_mul_i32 s2, s15, s11
	s_mul_hi_u32 s3, s15, s10
	s_delay_alu instid0(SALU_CYCLE_1) | instskip(SKIP_1) | instid1(SALU_CYCLE_1)
	s_add_i32 s3, s3, s2
	s_mul_i32 s2, s15, s10
	s_lshl_b64 s[2:3], s[2:3], 4
	s_delay_alu instid0(SALU_CYCLE_1)
	s_add_u32 s2, s8, s2
	s_addc_u32 s3, s9, s3
	s_load_b128 s[4:7], s[2:3], 0x0
	s_mov_b32 s3, -1
	s_waitcnt lgkmcnt(0)
	v_cmp_neq_f64_e64 s12, s[16:17], 0
	v_cmp_neq_f64_e64 s13, s[18:19], 0
	s_delay_alu instid0(VALU_DEP_1) | instskip(NEXT) | instid1(SALU_CYCLE_1)
	s_or_b32 s2, s12, s13
	s_and_b32 vcc_lo, exec_lo, s2
	s_cbranch_vccnz .LBB27_2
; %bb.1:
	v_cmp_neq_f64_e64 s3, s[4:5], 1.0
	v_cmp_neq_f64_e64 s8, s[6:7], 0
	s_delay_alu instid0(VALU_DEP_1)
	s_or_b32 s3, s3, s8
.LBB27_2:
	s_delay_alu instid0(SALU_CYCLE_1)
	s_and_not1_b32 vcc_lo, exec_lo, s3
	s_cbranch_vccnz .LBB27_22
; %bb.3:
	s_clause 0x3
	s_load_b64 s[10:11], s[0:1], 0x40
	s_load_b128 s[20:23], s[0:1], 0x28
	s_load_b32 s12, s[0:1], 0x38
	s_load_b32 s8, s[0:1], 0x0
	s_xor_b32 s9, s2, -1
	v_lshl_or_b32 v4, s14, 6, v0
	s_waitcnt lgkmcnt(0)
	s_mul_i32 s3, s15, s11
	s_mul_hi_u32 s11, s15, s10
	s_mul_i32 s2, s15, s10
	s_add_i32 s3, s11, s3
	s_delay_alu instid0(SALU_CYCLE_1) | instskip(NEXT) | instid1(SALU_CYCLE_1)
	s_lshl_b64 s[2:3], s[2:3], 4
	s_add_u32 s13, s20, s2
	s_addc_u32 s20, s21, s3
	s_lshl_b64 s[10:11], s[22:23], 4
	v_cmp_gt_i32_e64 s2, s8, v4
	s_add_u32 s3, s13, s10
	s_addc_u32 s10, s20, s11
	s_and_not1_b32 vcc_lo, exec_lo, s9
	s_mov_b32 s11, 0
	s_cbranch_vccnz .LBB27_8
; %bb.4:
	s_mov_b32 s9, 0
                                        ; implicit-def: $vgpr2_vgpr3
                                        ; implicit-def: $vgpr5_vgpr6
	s_and_saveexec_b32 s13, s2
	s_cbranch_execz .LBB27_9
; %bb.5:
	v_cmp_neq_f64_e64 s2, s[4:5], 0
	v_cmp_neq_f64_e64 s11, s[6:7], 0
	v_mul_lo_u32 v5, v4, s12
	v_mov_b32_e32 v2, 0
	v_mov_b32_e32 v3, 0
	s_delay_alu instid0(VALU_DEP_1) | instskip(NEXT) | instid1(VALU_DEP_4)
	v_dual_mov_b32 v0, v2 :: v_dual_mov_b32 v1, v3
	v_ashrrev_i32_e32 v6, 31, v5
	s_or_b32 s2, s2, s11
	s_delay_alu instid0(SALU_CYCLE_1)
	s_and_not1_b32 vcc_lo, exec_lo, s2
	s_cbranch_vccnz .LBB27_7
; %bb.6:
	s_delay_alu instid0(VALU_DEP_1) | instskip(NEXT) | instid1(VALU_DEP_1)
	v_lshlrev_b64 v[0:1], 4, v[5:6]
	v_add_co_u32 v0, vcc_lo, s3, v0
	s_delay_alu instid0(VALU_DEP_2) | instskip(SKIP_4) | instid1(VALU_DEP_2)
	v_add_co_ci_u32_e32 v1, vcc_lo, s10, v1, vcc_lo
	global_load_b128 v[7:10], v[0:1], off
	s_waitcnt vmcnt(0)
	v_mul_f64 v[0:1], s[6:7], v[9:10]
	v_mul_f64 v[2:3], s[4:5], v[9:10]
	v_fma_f64 v[0:1], s[4:5], v[7:8], -v[0:1]
	s_delay_alu instid0(VALU_DEP_2)
	v_fma_f64 v[2:3], s[6:7], v[7:8], v[2:3]
.LBB27_7:
	s_mov_b32 s11, exec_lo
	s_or_b32 exec_lo, exec_lo, s13
	s_delay_alu instid0(SALU_CYCLE_1)
	s_and_b32 vcc_lo, exec_lo, s9
	s_cbranch_vccnz .LBB27_10
	s_branch .LBB27_20
.LBB27_8:
                                        ; implicit-def: $vgpr2_vgpr3
                                        ; implicit-def: $vgpr5_vgpr6
	s_cbranch_execnz .LBB27_10
	s_branch .LBB27_20
.LBB27_9:
	s_or_b32 exec_lo, exec_lo, s13
	s_delay_alu instid0(SALU_CYCLE_1)
	s_and_b32 vcc_lo, exec_lo, s9
	s_cbranch_vccz .LBB27_20
.LBB27_10:
	s_mov_b32 s2, exec_lo
                                        ; implicit-def: $vgpr2_vgpr3
                                        ; implicit-def: $vgpr5_vgpr6
	v_cmpx_gt_i32_e64 s8, v4
	s_cbranch_execz .LBB27_19
; %bb.11:
	s_load_b32 s13, s[0:1], 0x58
	v_mov_b32_e32 v0, 0
	v_mov_b32_e32 v1, 0
	s_delay_alu instid0(VALU_DEP_1)
	v_dual_mov_b32 v3, v1 :: v_dual_mov_b32 v2, v0
	s_waitcnt lgkmcnt(0)
	s_cmp_ge_i32 s14, s13
	s_cbranch_scc1 .LBB27_14
; %bb.12:
	s_load_b64 s[0:1], s[0:1], 0x48
	v_mad_u64_u32 v[0:1], null, s14, s8, v[4:5]
	s_ashr_i32 s9, s8, 31
	s_mul_hi_u32 s20, s8, s15
	s_mul_i32 s21, s9, s15
	s_mul_i32 s15, s8, s15
	s_add_i32 s20, s20, s21
	s_mul_hi_u32 s21, s15, s13
	s_delay_alu instid0(VALU_DEP_1) | instskip(SKIP_3) | instid1(VALU_DEP_1)
	v_ashrrev_i32_e32 v1, 31, v0
	s_mul_i32 s22, s20, s13
	s_mul_i32 s20, s15, s13
	s_add_i32 s21, s21, s22
	v_lshlrev_b64 v[2:3], 4, v[0:1]
	s_lshl_b64 s[20:21], s[20:21], 4
	v_mov_b32_e32 v0, 0
	v_mov_b32_e32 v1, 0
	s_waitcnt lgkmcnt(0)
	s_add_u32 s0, s0, s20
	s_addc_u32 s1, s1, s21
	v_add_co_u32 v2, vcc_lo, s0, v2
	v_add_co_ci_u32_e32 v3, vcc_lo, s1, v3, vcc_lo
	s_lshl_b64 s[0:1], s[8:9], 4
	s_delay_alu instid0(VALU_DEP_2) | instskip(NEXT) | instid1(VALU_DEP_2)
	v_add_co_u32 v5, vcc_lo, v2, 8
	v_add_co_ci_u32_e32 v6, vcc_lo, 0, v3, vcc_lo
	v_dual_mov_b32 v3, v1 :: v_dual_mov_b32 v2, v0
.LBB27_13:                              ; =>This Inner Loop Header: Depth=1
	global_load_b128 v[7:10], v[5:6], off offset:-8
	v_add_co_u32 v5, vcc_lo, v5, s0
	v_add_co_ci_u32_e32 v6, vcc_lo, s1, v6, vcc_lo
	s_add_i32 s14, s14, 1
	s_delay_alu instid0(SALU_CYCLE_1)
	s_cmp_ge_i32 s14, s13
	s_waitcnt vmcnt(0)
	v_add_f64 v[2:3], v[2:3], v[7:8]
	v_add_f64 v[0:1], v[0:1], v[9:10]
	s_cbranch_scc0 .LBB27_13
.LBB27_14:
	s_delay_alu instid0(VALU_DEP_1) | instskip(SKIP_3) | instid1(VALU_DEP_4)
	v_mul_f64 v[5:6], s[18:19], v[0:1]
	v_mul_f64 v[7:8], s[16:17], v[0:1]
	v_cmp_neq_f64_e64 s0, s[4:5], 0
	v_cmp_neq_f64_e64 s1, s[6:7], 0
	v_fma_f64 v[0:1], s[16:17], v[2:3], -v[5:6]
	s_delay_alu instid0(VALU_DEP_4) | instskip(SKIP_1) | instid1(VALU_DEP_4)
	v_fma_f64 v[2:3], s[18:19], v[2:3], v[7:8]
	v_mul_lo_u32 v5, v4, s12
	s_or_b32 s0, s0, s1
	s_delay_alu instid0(SALU_CYCLE_1) | instskip(NEXT) | instid1(VALU_DEP_1)
	s_and_not1_b32 vcc_lo, exec_lo, s0
	v_ashrrev_i32_e32 v6, 31, v5
	s_cbranch_vccz .LBB27_16
; %bb.15:
	s_cbranch_execz .LBB27_17
	s_branch .LBB27_18
.LBB27_16:
.LBB27_17:
	s_delay_alu instid0(VALU_DEP_1) | instskip(NEXT) | instid1(VALU_DEP_1)
	v_lshlrev_b64 v[7:8], 4, v[5:6]
	v_add_co_u32 v7, vcc_lo, s3, v7
	s_delay_alu instid0(VALU_DEP_2) | instskip(SKIP_4) | instid1(VALU_DEP_2)
	v_add_co_ci_u32_e32 v8, vcc_lo, s10, v8, vcc_lo
	global_load_b128 v[7:10], v[7:8], off
	s_waitcnt vmcnt(0)
	v_mul_f64 v[11:12], s[6:7], v[9:10]
	v_mul_f64 v[9:10], s[4:5], v[9:10]
	v_fma_f64 v[11:12], s[4:5], v[7:8], -v[11:12]
	s_delay_alu instid0(VALU_DEP_2) | instskip(NEXT) | instid1(VALU_DEP_2)
	v_fma_f64 v[7:8], s[6:7], v[7:8], v[9:10]
	v_add_f64 v[0:1], v[0:1], v[11:12]
	s_delay_alu instid0(VALU_DEP_2)
	v_add_f64 v[2:3], v[2:3], v[7:8]
.LBB27_18:
	s_or_b32 s11, s11, exec_lo
.LBB27_19:
	s_or_b32 exec_lo, exec_lo, s2
.LBB27_20:
	s_and_saveexec_b32 s0, s11
	s_cbranch_execz .LBB27_22
; %bb.21:
	v_lshlrev_b64 v[4:5], 4, v[5:6]
	s_delay_alu instid0(VALU_DEP_1) | instskip(NEXT) | instid1(VALU_DEP_2)
	v_add_co_u32 v4, vcc_lo, s3, v4
	v_add_co_ci_u32_e32 v5, vcc_lo, s10, v5, vcc_lo
	global_store_b128 v[4:5], v[0:3], off
.LBB27_22:
	s_nop 0
	s_sendmsg sendmsg(MSG_DEALLOC_VGPRS)
	s_endpgm
	.section	.rodata,"a",@progbits
	.p2align	6, 0x0
	.amdhsa_kernel _ZL36rocblas_hemvn_kernel_lower_block_sumILi64EiPK19rocblas_complex_numIdEPS1_S1_EviT1_lS5_lT2_lT0_lPT3_i
		.amdhsa_group_segment_fixed_size 0
		.amdhsa_private_segment_fixed_size 0
		.amdhsa_kernarg_size 344
		.amdhsa_user_sgpr_count 14
		.amdhsa_user_sgpr_dispatch_ptr 0
		.amdhsa_user_sgpr_queue_ptr 0
		.amdhsa_user_sgpr_kernarg_segment_ptr 1
		.amdhsa_user_sgpr_dispatch_id 0
		.amdhsa_user_sgpr_private_segment_size 0
		.amdhsa_wavefront_size32 1
		.amdhsa_uses_dynamic_stack 0
		.amdhsa_enable_private_segment 0
		.amdhsa_system_sgpr_workgroup_id_x 1
		.amdhsa_system_sgpr_workgroup_id_y 0
		.amdhsa_system_sgpr_workgroup_id_z 1
		.amdhsa_system_sgpr_workgroup_info 0
		.amdhsa_system_vgpr_workitem_id 0
		.amdhsa_next_free_vgpr 13
		.amdhsa_next_free_sgpr 24
		.amdhsa_reserve_vcc 1
		.amdhsa_float_round_mode_32 0
		.amdhsa_float_round_mode_16_64 0
		.amdhsa_float_denorm_mode_32 3
		.amdhsa_float_denorm_mode_16_64 3
		.amdhsa_dx10_clamp 1
		.amdhsa_ieee_mode 1
		.amdhsa_fp16_overflow 0
		.amdhsa_workgroup_processor_mode 1
		.amdhsa_memory_ordered 1
		.amdhsa_forward_progress 0
		.amdhsa_shared_vgpr_count 0
		.amdhsa_exception_fp_ieee_invalid_op 0
		.amdhsa_exception_fp_denorm_src 0
		.amdhsa_exception_fp_ieee_div_zero 0
		.amdhsa_exception_fp_ieee_overflow 0
		.amdhsa_exception_fp_ieee_underflow 0
		.amdhsa_exception_fp_ieee_inexact 0
		.amdhsa_exception_int_div_zero 0
	.end_amdhsa_kernel
	.section	.text._ZL36rocblas_hemvn_kernel_lower_block_sumILi64EiPK19rocblas_complex_numIdEPS1_S1_EviT1_lS5_lT2_lT0_lPT3_i,"axG",@progbits,_ZL36rocblas_hemvn_kernel_lower_block_sumILi64EiPK19rocblas_complex_numIdEPS1_S1_EviT1_lS5_lT2_lT0_lPT3_i,comdat
.Lfunc_end27:
	.size	_ZL36rocblas_hemvn_kernel_lower_block_sumILi64EiPK19rocblas_complex_numIdEPS1_S1_EviT1_lS5_lT2_lT0_lPT3_i, .Lfunc_end27-_ZL36rocblas_hemvn_kernel_lower_block_sumILi64EiPK19rocblas_complex_numIdEPS1_S1_EviT1_lS5_lT2_lT0_lPT3_i
                                        ; -- End function
	.section	.AMDGPU.csdata,"",@progbits
; Kernel info:
; codeLenInByte = 980
; NumSgprs: 26
; NumVgprs: 13
; ScratchSize: 0
; MemoryBound: 0
; FloatMode: 240
; IeeeMode: 1
; LDSByteSize: 0 bytes/workgroup (compile time only)
; SGPRBlocks: 3
; VGPRBlocks: 1
; NumSGPRsForWavesPerEU: 26
; NumVGPRsForWavesPerEU: 13
; Occupancy: 16
; WaveLimiterHint : 0
; COMPUTE_PGM_RSRC2:SCRATCH_EN: 0
; COMPUTE_PGM_RSRC2:USER_SGPR: 14
; COMPUTE_PGM_RSRC2:TRAP_HANDLER: 0
; COMPUTE_PGM_RSRC2:TGID_X_EN: 1
; COMPUTE_PGM_RSRC2:TGID_Y_EN: 0
; COMPUTE_PGM_RSRC2:TGID_Z_EN: 1
; COMPUTE_PGM_RSRC2:TIDIG_COMP_CNT: 0
	.section	.text._ZL26rocblas_hemvn_kernel_lowerILb1ELi64ELi4ELi33ELi32ELi16El19rocblas_complex_numIdEPKS1_PS1_EviT6_lT7_lT5_lS6_lS7_lS5_lT8_i,"axG",@progbits,_ZL26rocblas_hemvn_kernel_lowerILb1ELi64ELi4ELi33ELi32ELi16El19rocblas_complex_numIdEPKS1_PS1_EviT6_lT7_lT5_lS6_lS7_lS5_lT8_i,comdat
	.globl	_ZL26rocblas_hemvn_kernel_lowerILb1ELi64ELi4ELi33ELi32ELi16El19rocblas_complex_numIdEPKS1_PS1_EviT6_lT7_lT5_lS6_lS7_lS5_lT8_i ; -- Begin function _ZL26rocblas_hemvn_kernel_lowerILb1ELi64ELi4ELi33ELi32ELi16El19rocblas_complex_numIdEPKS1_PS1_EviT6_lT7_lT5_lS6_lS7_lS5_lT8_i
	.p2align	8
	.type	_ZL26rocblas_hemvn_kernel_lowerILb1ELi64ELi4ELi33ELi32ELi16El19rocblas_complex_numIdEPKS1_PS1_EviT6_lT7_lT5_lS6_lS7_lS5_lT8_i,@function
_ZL26rocblas_hemvn_kernel_lowerILb1ELi64ELi4ELi33ELi32ELi16El19rocblas_complex_numIdEPKS1_PS1_EviT6_lT7_lT5_lS6_lS7_lS5_lT8_i: ; @_ZL26rocblas_hemvn_kernel_lowerILb1ELi64ELi4ELi33ELi32ELi16El19rocblas_complex_numIdEPKS1_PS1_EviT6_lT7_lT5_lS6_lS7_lS5_lT8_i
; %bb.0:
	s_load_b64 s[4:5], s[0:1], 0x94
	s_add_u32 s2, s0, 0x88
	s_addc_u32 s3, s1, 0
	s_waitcnt lgkmcnt(0)
	s_lshr_b32 s6, s4, 16
	s_and_b32 s4, s4, 0xffff
	s_and_b32 s5, s5, 0xffff
	s_mul_i32 s4, s6, s4
	s_delay_alu instid0(SALU_CYCLE_1) | instskip(NEXT) | instid1(SALU_CYCLE_1)
	s_mul_i32 s4, s4, s5
	s_cmpk_lg_i32 s4, 0x100
	s_cbranch_scc1 .LBB28_135
; %bb.1:
	s_load_b128 s[4:7], s[0:1], 0x8
	s_waitcnt lgkmcnt(0)
	v_cmp_neq_f64_e64 s4, s[4:5], 0
	v_cmp_neq_f64_e64 s5, s[6:7], 0
	s_delay_alu instid0(VALU_DEP_1)
	s_or_b32 s4, s4, s5
	s_mov_b32 s5, -1
	s_and_b32 vcc_lo, exec_lo, s4
	s_cbranch_vccnz .LBB28_3
; %bb.2:
	s_load_b128 s[8:11], s[0:1], 0x60
	s_waitcnt lgkmcnt(0)
	v_cmp_neq_f64_e64 s5, s[8:9], 1.0
	v_cmp_neq_f64_e64 s6, s[10:11], 0
	s_delay_alu instid0(VALU_DEP_1)
	s_or_b32 s5, s5, s6
.LBB28_3:
	s_delay_alu instid0(SALU_CYCLE_1)
	s_and_not1_b32 vcc_lo, exec_lo, s5
	s_cbranch_vccnz .LBB28_135
; %bb.4:
	s_and_not1_b32 vcc_lo, exec_lo, s4
	s_cbranch_vccnz .LBB28_135
; %bb.5:
	s_load_b512 s[16:31], s[0:1], 0x20
	v_and_b32_e32 v42, 0x3ff, v0
	v_bfe_u32 v138, v0, 10, 10
	s_waitcnt lgkmcnt(0)
	s_mul_i32 s5, s15, s31
	s_mul_hi_u32 s6, s15, s30
	s_mul_i32 s4, s15, s30
	s_add_i32 s5, s6, s5
	s_load_b32 s30, s[0:1], 0x0
	s_lshl_b64 s[4:5], s[4:5], 4
	s_delay_alu instid0(SALU_CYCLE_1)
	s_add_u32 s6, s24, s4
	s_addc_u32 s7, s25, s5
	s_lshl_b64 s[4:5], s[26:27], 4
	s_load_b32 s24, s[2:3], 0x0
	s_add_u32 s4, s6, s4
	s_addc_u32 s5, s7, s5
	s_lshl_b32 s10, s14, 6
	s_delay_alu instid0(SALU_CYCLE_1) | instskip(NEXT) | instid1(VALU_DEP_1)
	v_add_nc_u32_e32 v132, s10, v42
	v_ashrrev_i32_e32 v133, 31, v132
	v_mul_lo_u32 v3, v132, s29
	v_mad_u64_u32 v[1:2], null, v132, s28, 0
	s_waitcnt lgkmcnt(0)
	s_ashr_i32 s25, s30, 31
	v_mul_lo_u32 v4, v133, s28
	s_lshr_b32 s2, s25, 26
	s_delay_alu instid0(SALU_CYCLE_1) | instskip(SKIP_4) | instid1(VALU_DEP_2)
	s_add_i32 s3, s30, s2
	v_cmp_ne_u32_e64 s2, 0, v138
	s_and_not1_b32 s3, s3, 63
	s_add_i32 s6, s24, -1
	s_sub_i32 s7, s30, s3
	v_add3_u32 v2, v2, v3, v4
	v_cmp_eq_u32_e64 s3, 0, v138
	s_cmp_eq_u32 s14, s6
	s_cselect_b32 s12, s7, 0
	s_delay_alu instid0(VALU_DEP_2) | instskip(NEXT) | instid1(VALU_DEP_1)
	v_lshlrev_b64 v[0:1], 4, v[1:2]
	v_add_co_u32 v36, vcc_lo, s4, v0
	s_delay_alu instid0(VALU_DEP_2)
	v_add_co_ci_u32_e32 v37, vcc_lo, s5, v1, vcc_lo
	s_mov_b32 s4, -1
	s_and_saveexec_b32 s5, s3
	s_cbranch_execz .LBB28_10
; %bb.6:
	v_cmp_le_i32_e32 vcc_lo, s12, v42
	s_cmp_lg_u32 s12, 0
	v_lshl_add_u32 v0, v42, 4, 0x4700
	s_cselect_b32 s6, -1, 0
	s_delay_alu instid0(SALU_CYCLE_1) | instskip(NEXT) | instid1(SALU_CYCLE_1)
	s_and_b32 s6, s6, vcc_lo
	s_and_saveexec_b32 s7, s6
	s_delay_alu instid0(SALU_CYCLE_1)
	s_xor_b32 s6, exec_lo, s7
	s_cbranch_execz .LBB28_8
; %bb.7:
	v_mov_b32_e32 v1, 0
	s_delay_alu instid0(VALU_DEP_1)
	v_mov_b32_e32 v2, v1
	v_mov_b32_e32 v3, v1
	;; [unrolled: 1-line block ×3, first 2 shown]
	ds_store_b128 v0, v[1:4]
                                        ; implicit-def: $vgpr0
.LBB28_8:
	s_and_not1_saveexec_b32 s6, s6
	s_cbranch_execz .LBB28_10
; %bb.9:
	global_load_b128 v[1:4], v[36:37], off
	s_waitcnt vmcnt(0)
	ds_store_2addr_b64 v0, v[1:2], v[3:4] offset1:1
.LBB28_10:
	s_or_b32 exec_lo, exec_lo, s5
	v_lshl_add_u32 v43, v138, 6, v42
	v_dual_mov_b32 v5, 0 :: v_dual_and_b32 v4, 31, v42
	s_mul_i32 s5, s15, s23
	s_mul_hi_u32 s7, s15, s22
	s_delay_alu instid0(VALU_DEP_2)
	v_lshrrev_b32_e32 v9, 5, v43
	s_mul_i32 s6, s15, s22
	s_add_i32 s7, s7, s5
	s_mul_i32 s9, s10, s21
	s_lshl_b64 s[6:7], s[6:7], 4
	v_mad_u64_u32 v[0:1], null, v9, s20, v[4:5]
	s_add_u32 s5, s16, s6
	s_addc_u32 s8, s17, s7
	s_lshl_b64 s[6:7], s[18:19], 4
	s_mul_hi_u32 s13, s10, s20
	s_add_u32 s5, s5, s6
	s_addc_u32 s8, s8, s7
	s_delay_alu instid0(VALU_DEP_1) | instskip(SKIP_1) | instid1(SALU_CYCLE_1)
	v_mad_u64_u32 v[2:3], null, v9, s21, v[1:2]
	s_ashr_i32 s11, s10, 31
	s_lshl_b64 s[6:7], s[10:11], 4
	s_mul_i32 s16, s11, s20
	s_add_u32 s5, s5, s6
	s_addc_u32 s8, s8, s7
	s_delay_alu instid0(VALU_DEP_1) | instskip(SKIP_3) | instid1(SALU_CYCLE_1)
	v_mov_b32_e32 v1, v2
	s_add_i32 s7, s13, s9
	s_mul_i32 s6, s10, s20
	s_add_i32 s7, s7, s16
	s_lshl_b64 s[16:17], s[6:7], 4
	v_lshlrev_b64 v[38:39], 4, v[0:1]
	s_add_u32 s5, s16, s5
	s_addc_u32 s6, s17, s8
	s_cmp_lg_u32 s12, 0
	s_cselect_b32 s22, -1, 0
	s_delay_alu instid0(VALU_DEP_1)
	v_add_co_u32 v5, vcc_lo, s5, v38
	v_add_co_ci_u32_e32 v6, vcc_lo, s6, v39, vcc_lo
	s_cmp_eq_u32 s12, 0
	s_cselect_b32 s9, -1, 0
	s_and_b32 vcc_lo, exec_lo, s22
	s_cbranch_vccnz .LBB28_12
; %bb.11:
	v_mad_u64_u32 v[7:8], null, 0x180, s20, v[5:6]
	s_lshl_b64 s[4:5], s[20:21], 7
	s_delay_alu instid0(SALU_CYCLE_1) | instskip(SKIP_1) | instid1(VALU_DEP_3)
	v_add_co_u32 v10, vcc_lo, v5, s4
	v_add_co_ci_u32_e32 v11, vcc_lo, s5, v6, vcc_lo
	v_mov_b32_e32 v0, v8
	s_delay_alu instid0(VALU_DEP_3) | instskip(NEXT) | instid1(VALU_DEP_3)
	v_add_co_u32 v14, vcc_lo, v10, s4
	v_add_co_ci_u32_e32 v15, vcc_lo, s5, v11, vcc_lo
	s_delay_alu instid0(VALU_DEP_3) | instskip(SKIP_1) | instid1(VALU_DEP_1)
	v_mad_u64_u32 v[1:2], null, 0x180, s21, v[0:1]
	s_mov_b32 s4, 0
	v_mov_b32_e32 v8, v1
	s_clause 0x1
	global_load_b128 v[0:3], v[5:6], off
	global_load_b128 v[10:13], v[10:11], off
	global_load_b128 v[14:17], v[14:15], off
	global_load_b128 v[18:21], v[7:8], off
	v_mul_u32_u24_e32 v7, 33, v9
	s_delay_alu instid0(VALU_DEP_1) | instskip(NEXT) | instid1(VALU_DEP_1)
	v_add_lshl_u32 v7, v7, v4, 4
	v_add_nc_u32_e32 v23, 0x3180, v7
	v_add_nc_u32_e32 v22, 0x2100, v7
	;; [unrolled: 1-line block ×3, first 2 shown]
	s_waitcnt vmcnt(3)
	ds_store_2addr_b64 v7, v[0:1], v[2:3] offset1:1
	s_waitcnt vmcnt(2)
	ds_store_2addr_b64 v8, v[10:11], v[12:13] offset1:1
	;; [unrolled: 2-line block ×4, first 2 shown]
.LBB28_12:
	s_and_not1_b32 vcc_lo, exec_lo, s4
	s_cbranch_vccnz .LBB28_30
; %bb.13:
	v_lshlrev_b32_e32 v2, 4, v4
	s_ashr_i32 s13, s12, 31
	v_mul_u32_u24_e32 v3, 33, v9
	s_lshl_b64 s[6:7], s[12:13], 4
	v_cmp_le_i32_e64 s4, s12, v9
	v_sub_co_u32 v0, vcc_lo, v5, v2
	v_subrev_co_ci_u32_e32 v1, vcc_lo, 0, v6, vcc_lo
	v_add_lshl_u32 v3, v3, v4, 4
	s_delay_alu instid0(VALU_DEP_3) | instskip(NEXT) | instid1(VALU_DEP_3)
	v_add_co_u32 v0, vcc_lo, v0, s6
	v_add_co_ci_u32_e32 v1, vcc_lo, s7, v1, vcc_lo
	s_delay_alu instid0(VALU_DEP_2) | instskip(NEXT) | instid1(VALU_DEP_2)
	v_add_co_u32 v0, vcc_lo, v0, -16
	v_add_co_ci_u32_e32 v1, vcc_lo, -1, v1, vcc_lo
	v_cmp_gt_i32_e32 vcc_lo, s12, v4
	s_delay_alu instid0(VALU_DEP_2) | instskip(SKIP_1) | instid1(SALU_CYCLE_1)
	v_dual_cndmask_b32 v1, v1, v6 :: v_dual_cndmask_b32 v0, v0, v5
	s_and_saveexec_b32 s5, s4
	s_xor_b32 s4, exec_lo, s5
	s_cbranch_execz .LBB28_15
; %bb.14:
	v_mov_b32_e32 v10, 0
	s_delay_alu instid0(VALU_DEP_1)
	v_mov_b32_e32 v11, v10
	v_mov_b32_e32 v12, v10
	;; [unrolled: 1-line block ×3, first 2 shown]
	ds_store_b128 v3, v[10:13]
.LBB28_15:
	s_and_not1_saveexec_b32 s4, s4
	s_cbranch_execz .LBB28_17
; %bb.16:
	global_load_b128 v[10:13], v[0:1], off
	s_waitcnt vmcnt(0)
	ds_store_2addr_b64 v3, v[10:11], v[12:13] offset1:1
.LBB28_17:
	s_or_b32 exec_lo, exec_lo, s4
	v_add_nc_u32_e32 v7, 8, v9
	s_delay_alu instid0(VALU_DEP_1) | instskip(NEXT) | instid1(VALU_DEP_1)
	v_cmp_le_i32_e64 s4, s12, v7
	s_and_saveexec_b32 s5, s4
	s_delay_alu instid0(SALU_CYCLE_1)
	s_xor_b32 s4, exec_lo, s5
	s_cbranch_execz .LBB28_19
; %bb.18:
	v_mul_u32_u24_e32 v7, 33, v7
	v_mov_b32_e32 v10, 0
	s_delay_alu instid0(VALU_DEP_2) | instskip(NEXT) | instid1(VALU_DEP_2)
	v_add_lshl_u32 v7, v7, v4, 4
	v_mov_b32_e32 v11, v10
	v_mov_b32_e32 v12, v10
	;; [unrolled: 1-line block ×3, first 2 shown]
	ds_store_b128 v7, v[10:13]
.LBB28_19:
	s_and_not1_saveexec_b32 s5, s4
	s_cbranch_execz .LBB28_21
; %bb.20:
	s_lshl_b64 s[18:19], s[20:21], 7
	s_delay_alu instid0(SALU_CYCLE_1) | instskip(NEXT) | instid1(VALU_DEP_1)
	v_add_co_u32 v7, s4, v0, s18
	v_add_co_ci_u32_e64 v8, s4, s19, v1, s4
	global_load_b128 v[10:13], v[7:8], off
	v_add_nc_u32_e32 v7, 0x1080, v3
	s_waitcnt vmcnt(0)
	ds_store_2addr_b64 v7, v[10:11], v[12:13] offset1:1
.LBB28_21:
	s_or_b32 exec_lo, exec_lo, s5
	v_add_nc_u32_e32 v7, 16, v9
	s_delay_alu instid0(VALU_DEP_1) | instskip(NEXT) | instid1(VALU_DEP_1)
	v_cmp_le_i32_e64 s4, s12, v7
	s_and_saveexec_b32 s5, s4
	s_delay_alu instid0(SALU_CYCLE_1)
	s_xor_b32 s4, exec_lo, s5
	s_cbranch_execz .LBB28_23
; %bb.22:
	v_mov_b32_e32 v10, 0
	s_delay_alu instid0(VALU_DEP_1)
	v_mov_b32_e32 v11, v10
	v_mov_b32_e32 v12, v10
	;; [unrolled: 1-line block ×3, first 2 shown]
	ds_store_b128 v3, v[10:13] offset:8448
.LBB28_23:
	s_and_not1_saveexec_b32 s5, s4
	s_cbranch_execz .LBB28_25
; %bb.24:
	s_lshl_b64 s[18:19], s[20:21], 8
	s_delay_alu instid0(SALU_CYCLE_1) | instskip(NEXT) | instid1(VALU_DEP_1)
	v_add_co_u32 v7, s4, v0, s18
	v_add_co_ci_u32_e64 v8, s4, s19, v1, s4
	global_load_b128 v[10:13], v[7:8], off
	v_add_nc_u32_e32 v7, 0x2100, v3
	s_waitcnt vmcnt(0)
	ds_store_2addr_b64 v7, v[10:11], v[12:13] offset1:1
.LBB28_25:
	s_or_b32 exec_lo, exec_lo, s5
	v_add_nc_u32_e32 v7, 24, v9
	s_delay_alu instid0(VALU_DEP_1) | instskip(NEXT) | instid1(VALU_DEP_1)
	v_cmp_le_i32_e64 s4, s12, v7
	s_and_saveexec_b32 s5, s4
	s_delay_alu instid0(SALU_CYCLE_1)
	s_xor_b32 s4, exec_lo, s5
	s_cbranch_execz .LBB28_27
; %bb.26:
	v_mov_b32_e32 v10, 0
	s_delay_alu instid0(VALU_DEP_1)
	v_mov_b32_e32 v11, v10
	v_mov_b32_e32 v12, v10
	;; [unrolled: 1-line block ×3, first 2 shown]
	ds_store_b128 v3, v[10:13] offset:12672
                                        ; implicit-def: $vgpr3
.LBB28_27:
	s_and_not1_saveexec_b32 s4, s4
	s_cbranch_execz .LBB28_29
; %bb.28:
	v_mad_u64_u32 v[7:8], null, 0x180, s20, v[0:1]
	v_add_nc_u32_e32 v3, 0x3180, v3
	s_delay_alu instid0(VALU_DEP_2) | instskip(NEXT) | instid1(VALU_DEP_1)
	v_mad_u64_u32 v[10:11], null, 0x180, s21, v[8:9]
	v_mov_b32_e32 v8, v10
	global_load_b128 v[10:13], v[7:8], off
	s_waitcnt vmcnt(0)
	ds_store_2addr_b64 v3, v[10:11], v[12:13] offset1:1
.LBB28_29:
	s_or_b32 exec_lo, exec_lo, s4
	v_add_co_u32 v0, s4, v0, v2
	s_delay_alu instid0(VALU_DEP_1) | instskip(NEXT) | instid1(VALU_DEP_2)
	v_add_co_ci_u32_e64 v1, s4, 0, v1, s4
	v_sub_co_u32 v0, s4, v0, s6
	s_delay_alu instid0(VALU_DEP_1) | instskip(NEXT) | instid1(VALU_DEP_2)
	v_subrev_co_ci_u32_e64 v1, s4, s7, v1, s4
	v_add_co_u32 v0, s4, v0, 16
	s_delay_alu instid0(VALU_DEP_1) | instskip(NEXT) | instid1(VALU_DEP_1)
	v_add_co_ci_u32_e64 v1, s4, 0, v1, s4
	v_dual_cndmask_b32 v5, v0, v5 :: v_dual_cndmask_b32 v6, v1, v6
.LBB28_30:
	v_lshlrev_b32_e32 v11, 2, v9
	s_waitcnt lgkmcnt(0)
	s_barrier
	buffer_gl0_inv
	v_cmp_ge_u32_e64 s5, v11, v4
	s_delay_alu instid0(VALU_DEP_1) | instskip(NEXT) | instid1(SALU_CYCLE_1)
	s_and_saveexec_b32 s4, s5
	s_xor_b32 s4, exec_lo, s4
	s_cbranch_execz .LBB28_34
; %bb.31:
	s_mov_b32 s6, exec_lo
	v_cmpx_eq_u32_e64 v11, v4
	s_cbranch_execz .LBB28_33
; %bb.32:
	v_mul_u32_u24_e32 v1, 34, v4
	v_mov_b32_e32 v0, 0
	s_delay_alu instid0(VALU_DEP_1)
	v_dual_mov_b32 v1, v0 :: v_dual_lshlrev_b32 v2, 4, v1
	ds_store_b64 v2, v[0:1] offset:8
.LBB28_33:
	s_or_b32 exec_lo, exec_lo, s6
.LBB28_34:
	s_or_saveexec_b32 s4, s4
	v_mul_u32_u24_e32 v44, 33, v4
	v_mul_u32_u24_e32 v0, 0x84, v9
	s_delay_alu instid0(VALU_DEP_2)
	v_add_lshl_u32 v12, v11, v44, 4
	s_xor_b32 exec_lo, exec_lo, s4
	s_cbranch_execz .LBB28_36
; %bb.35:
	s_delay_alu instid0(VALU_DEP_2)
	v_add_lshl_u32 v1, v0, v4, 4
	ds_load_b128 v[13:16], v1
	s_waitcnt lgkmcnt(0)
	v_xor_b32_e32 v16, 0x80000000, v16
	ds_store_b128 v12, v[13:16]
.LBB28_36:
	s_or_b32 exec_lo, exec_lo, s4
	v_or_b32_e32 v14, 1, v11
	s_delay_alu instid0(VALU_DEP_1) | instskip(NEXT) | instid1(VALU_DEP_1)
	v_cmp_ge_u32_e64 s6, v14, v4
	s_and_saveexec_b32 s4, s6
	s_delay_alu instid0(SALU_CYCLE_1)
	s_xor_b32 s4, exec_lo, s4
	s_cbranch_execz .LBB28_40
; %bb.37:
	s_mov_b32 s7, exec_lo
	v_cmpx_eq_u32_e64 v14, v4
	s_cbranch_execz .LBB28_39
; %bb.38:
	v_mul_u32_u24_e32 v2, 34, v4
	v_mov_b32_e32 v1, 0
	s_delay_alu instid0(VALU_DEP_1)
	v_dual_mov_b32 v2, v1 :: v_dual_lshlrev_b32 v3, 4, v2
	ds_store_b64 v3, v[1:2] offset:8
.LBB28_39:
	s_or_b32 exec_lo, exec_lo, s7
.LBB28_40:
	s_or_saveexec_b32 s4, s4
	v_mul_u32_u24_e32 v1, 33, v14
	s_xor_b32 exec_lo, exec_lo, s4
	s_cbranch_execz .LBB28_42
; %bb.41:
	s_delay_alu instid0(VALU_DEP_1)
	v_add_lshl_u32 v2, v1, v4, 4
	ds_load_b128 v[15:18], v2
	s_waitcnt lgkmcnt(0)
	v_xor_b32_e32 v18, 0x80000000, v18
	ds_store_b128 v12, v[15:18] offset:16
.LBB28_42:
	s_or_b32 exec_lo, exec_lo, s4
	v_or_b32_e32 v15, 2, v11
	s_delay_alu instid0(VALU_DEP_1) | instskip(NEXT) | instid1(VALU_DEP_1)
	v_cmp_ge_u32_e64 s7, v15, v4
	s_and_saveexec_b32 s4, s7
	s_delay_alu instid0(SALU_CYCLE_1)
	s_xor_b32 s4, exec_lo, s4
	s_cbranch_execz .LBB28_46
; %bb.43:
	s_mov_b32 s8, exec_lo
	v_cmpx_eq_u32_e64 v15, v4
	s_cbranch_execz .LBB28_45
; %bb.44:
	v_mul_u32_u24_e32 v3, 34, v4
	s_delay_alu instid0(VALU_DEP_1) | instskip(NEXT) | instid1(VALU_DEP_1)
	v_dual_mov_b32 v2, 0 :: v_dual_lshlrev_b32 v7, 4, v3
	v_mov_b32_e32 v3, v2
	ds_store_b64 v7, v[2:3] offset:8
.LBB28_45:
	s_or_b32 exec_lo, exec_lo, s8
.LBB28_46:
	s_and_not1_saveexec_b32 s4, s4
	s_cbranch_execz .LBB28_48
; %bb.47:
	v_mul_u32_u24_e32 v2, 33, v15
	s_delay_alu instid0(VALU_DEP_1)
	v_add_lshl_u32 v2, v2, v4, 4
	ds_load_b128 v[16:19], v2
	s_waitcnt lgkmcnt(0)
	v_xor_b32_e32 v19, 0x80000000, v19
	ds_store_b128 v12, v[16:19] offset:32
.LBB28_48:
	s_or_b32 exec_lo, exec_lo, s4
	v_or_b32_e32 v17, 3, v11
	s_delay_alu instid0(VALU_DEP_1) | instskip(NEXT) | instid1(VALU_DEP_1)
	v_cmp_ge_u32_e64 s8, v17, v4
	s_and_saveexec_b32 s4, s8
	s_delay_alu instid0(SALU_CYCLE_1)
	s_xor_b32 s4, exec_lo, s4
	s_cbranch_execz .LBB28_52
; %bb.49:
	s_mov_b32 s13, exec_lo
	v_cmpx_eq_u32_e64 v17, v4
	s_cbranch_execz .LBB28_51
; %bb.50:
	v_mul_u32_u24_e32 v3, 34, v4
	s_delay_alu instid0(VALU_DEP_1) | instskip(NEXT) | instid1(VALU_DEP_1)
	v_dual_mov_b32 v2, 0 :: v_dual_lshlrev_b32 v7, 4, v3
	v_mov_b32_e32 v3, v2
	ds_store_b64 v7, v[2:3] offset:8
.LBB28_51:
	s_or_b32 exec_lo, exec_lo, s13
.LBB28_52:
	s_and_not1_saveexec_b32 s4, s4
	s_cbranch_execz .LBB28_54
; %bb.53:
	v_mul_u32_u24_e32 v2, 33, v17
	s_delay_alu instid0(VALU_DEP_1)
	v_add_lshl_u32 v2, v2, v4, 4
	ds_load_b128 v[18:21], v2
	s_waitcnt lgkmcnt(0)
	v_xor_b32_e32 v21, 0x80000000, v21
	ds_store_b128 v12, v[18:21] offset:48
.LBB28_54:
	s_or_b32 exec_lo, exec_lo, s4
	v_add_lshl_u32 v16, v0, v4, 4
	v_lshlrev_b32_e32 v13, 4, v11
	s_waitcnt lgkmcnt(0)
	s_barrier
	buffer_gl0_inv
	ds_load_b128 v[18:21], v16
	ds_load_b128 v[22:25], v13 offset:18176
	v_add_lshl_u32 v10, v1, v4, 4
	ds_load_b128 v[0:3], v13 offset:18192
	ds_load_b128 v[26:29], v10
	v_cmp_gt_u32_e64 s4, 32, v43
	s_waitcnt lgkmcnt(2)
	v_mul_f64 v[7:8], v[24:25], v[20:21]
	v_mul_f64 v[20:21], v[22:23], v[20:21]
	s_waitcnt lgkmcnt(0)
	v_mul_f64 v[40:41], v[2:3], v[28:29]
	v_mul_f64 v[45:46], v[0:1], v[28:29]
	s_delay_alu instid0(VALU_DEP_4) | instskip(NEXT) | instid1(VALU_DEP_4)
	v_fma_f64 v[7:8], v[22:23], v[18:19], -v[7:8]
	v_fma_f64 v[47:48], v[24:25], v[18:19], v[20:21]
	ds_load_b128 v[18:21], v10 offset:528
	ds_load_b128 v[22:25], v13 offset:18208
	;; [unrolled: 1-line block ×4, first 2 shown]
	s_waitcnt lgkmcnt(0)
	s_barrier
	v_fma_f64 v[0:1], v[0:1], v[26:27], -v[40:41]
	v_fma_f64 v[2:3], v[2:3], v[26:27], v[45:46]
	v_add_lshl_u32 v45, v9, v44, 4
	buffer_gl0_inv
	v_mul_f64 v[49:50], v[24:25], v[20:21]
	v_mul_f64 v[20:21], v[22:23], v[20:21]
	;; [unrolled: 1-line block ×4, first 2 shown]
	v_add_f64 v[7:8], v[7:8], 0
	v_add_f64 v[26:27], v[47:48], 0
	v_fma_f64 v[22:23], v[22:23], v[18:19], -v[49:50]
	v_fma_f64 v[18:19], v[24:25], v[18:19], v[20:21]
	v_fma_f64 v[20:21], v[30:31], v[32:33], v[34:35]
	v_add_f64 v[0:1], v[7:8], v[0:1]
	v_add_f64 v[2:3], v[26:27], v[2:3]
	v_fma_f64 v[7:8], v[28:29], v[32:33], -v[40:41]
	s_delay_alu instid0(VALU_DEP_3) | instskip(NEXT) | instid1(VALU_DEP_3)
	v_add_f64 v[0:1], v[0:1], v[22:23]
	v_add_f64 v[2:3], v[2:3], v[18:19]
	s_delay_alu instid0(VALU_DEP_2) | instskip(SKIP_1) | instid1(VALU_DEP_3)
	v_add_f64 v[18:19], v[0:1], v[7:8]
	v_mov_b32_e32 v0, 0
	v_add_f64 v[20:21], v[2:3], v[20:21]
	v_mov_b32_e32 v1, 0
	s_delay_alu instid0(VALU_DEP_1)
	v_dual_mov_b32 v3, v1 :: v_dual_mov_b32 v2, v0
	ds_store_b128 v45, v[18:21]
	s_waitcnt lgkmcnt(0)
	s_barrier
	buffer_gl0_inv
	s_and_saveexec_b32 s13, s4
	s_cbranch_execz .LBB28_56
; %bb.55:
	v_lshlrev_b32_e32 v24, 4, v44
	ds_load_b128 v[0:3], v24
	ds_load_b128 v[18:21], v24 offset:16
	s_waitcnt lgkmcnt(0)
	v_add_f64 v[7:8], v[18:19], v[0:1]
	v_add_f64 v[22:23], v[20:21], v[2:3]
	ds_load_b128 v[0:3], v24 offset:32
	ds_load_b128 v[18:21], v24 offset:48
	s_waitcnt lgkmcnt(1)
	v_add_f64 v[0:1], v[7:8], v[0:1]
	v_add_f64 v[2:3], v[22:23], v[2:3]
	s_waitcnt lgkmcnt(0)
	s_delay_alu instid0(VALU_DEP_2) | instskip(NEXT) | instid1(VALU_DEP_2)
	v_add_f64 v[7:8], v[0:1], v[18:19]
	v_add_f64 v[22:23], v[2:3], v[20:21]
	ds_load_b128 v[0:3], v24 offset:64
	ds_load_b128 v[18:21], v24 offset:80
	s_waitcnt lgkmcnt(1)
	v_add_f64 v[0:1], v[7:8], v[0:1]
	v_add_f64 v[2:3], v[22:23], v[2:3]
	s_waitcnt lgkmcnt(0)
	s_delay_alu instid0(VALU_DEP_2) | instskip(NEXT) | instid1(VALU_DEP_2)
	;; [unrolled: 9-line block ×3, first 2 shown]
	v_add_f64 v[0:1], v[0:1], v[18:19]
	v_add_f64 v[2:3], v[2:3], v[20:21]
.LBB28_56:
	s_or_b32 exec_lo, exec_lo, s13
	s_lshl_b64 s[18:19], s[20:21], 9
	v_cndmask_b32_e64 v18, 0, 1, s9
	v_add_co_u32 v7, vcc_lo, v5, s18
	v_add_co_ci_u32_e32 v8, vcc_lo, s19, v6, vcc_lo
	s_delay_alu instid0(VALU_DEP_2) | instskip(NEXT) | instid1(VALU_DEP_2)
	v_add_co_u32 v5, vcc_lo, 0x200, v7
	v_add_co_ci_u32_e32 v6, vcc_lo, 0, v8, vcc_lo
	s_and_not1_b32 vcc_lo, exec_lo, s9
	s_barrier
	buffer_gl0_inv
	s_cbranch_vccnz .LBB28_58
; %bb.57:
	v_mad_u64_u32 v[31:32], null, 0x180, s20, v[7:8]
	s_lshl_b64 s[18:19], s[20:21], 7
	s_delay_alu instid0(SALU_CYCLE_1) | instskip(SKIP_1) | instid1(VALU_DEP_3)
	v_add_co_u32 v7, vcc_lo, v7, s18
	v_add_co_ci_u32_e32 v8, vcc_lo, s19, v8, vcc_lo
	v_mov_b32_e32 v19, v32
	s_delay_alu instid0(VALU_DEP_3) | instskip(NEXT) | instid1(VALU_DEP_3)
	v_add_co_u32 v27, vcc_lo, v7, s18
	v_add_co_ci_u32_e32 v28, vcc_lo, s19, v8, vcc_lo
	s_delay_alu instid0(VALU_DEP_3) | instskip(NEXT) | instid1(VALU_DEP_1)
	v_mad_u64_u32 v[20:21], null, 0x180, s21, v[19:20]
	v_mov_b32_e32 v32, v20
	s_clause 0x3
	global_load_b128 v[19:22], v[5:6], off
	global_load_b128 v[23:26], v[7:8], off offset:512
	global_load_b128 v[27:30], v[27:28], off offset:512
	;; [unrolled: 1-line block ×3, first 2 shown]
	v_mul_u32_u24_e32 v7, 33, v9
	s_delay_alu instid0(VALU_DEP_1) | instskip(NEXT) | instid1(VALU_DEP_1)
	v_add_lshl_u32 v7, v7, v4, 4
	v_add_nc_u32_e32 v35, 0x2100, v7
	v_add_nc_u32_e32 v8, 0x1080, v7
	v_add_nc_u32_e32 v40, 0x3180, v7
	s_waitcnt vmcnt(3)
	ds_store_2addr_b64 v7, v[19:20], v[21:22] offset1:1
	s_waitcnt vmcnt(2)
	ds_store_2addr_b64 v8, v[23:24], v[25:26] offset1:1
	;; [unrolled: 2-line block ×4, first 2 shown]
	s_cbranch_execz .LBB28_59
	s_branch .LBB28_76
.LBB28_58:
.LBB28_59:
	v_lshlrev_b32_e32 v19, 4, v4
	s_ashr_i32 s13, s12, 31
	v_or_b32_e32 v20, 32, v4
	s_lshl_b64 s[18:19], s[12:13], 4
	s_sub_i32 s13, s12, 32
	v_sub_co_u32 v7, vcc_lo, v5, v19
	v_subrev_co_ci_u32_e32 v8, vcc_lo, 0, v6, vcc_lo
	v_cmp_le_i32_e64 s9, s13, v9
	s_delay_alu instid0(VALU_DEP_3) | instskip(NEXT) | instid1(VALU_DEP_3)
	v_add_co_u32 v7, vcc_lo, v7, s18
	v_add_co_ci_u32_e32 v8, vcc_lo, s19, v8, vcc_lo
	s_delay_alu instid0(VALU_DEP_2) | instskip(NEXT) | instid1(VALU_DEP_2)
	v_add_co_u32 v7, vcc_lo, 0xfffffdf0, v7
	v_add_co_ci_u32_e32 v8, vcc_lo, -1, v8, vcc_lo
	v_cmp_gt_i32_e32 vcc_lo, s12, v20
	v_mul_u32_u24_e32 v20, 33, v9
	s_delay_alu instid0(VALU_DEP_3) | instskip(NEXT) | instid1(VALU_DEP_2)
	v_dual_cndmask_b32 v8, v8, v6 :: v_dual_cndmask_b32 v7, v7, v5
	v_add_lshl_u32 v20, v20, v4, 4
	s_and_saveexec_b32 s23, s9
	s_delay_alu instid0(SALU_CYCLE_1)
	s_xor_b32 s9, exec_lo, s23
	s_cbranch_execz .LBB28_61
; %bb.60:
	v_mov_b32_e32 v21, 0
	s_delay_alu instid0(VALU_DEP_1)
	v_mov_b32_e32 v22, v21
	v_mov_b32_e32 v23, v21
	;; [unrolled: 1-line block ×3, first 2 shown]
	ds_store_b128 v20, v[21:24]
.LBB28_61:
	s_and_not1_saveexec_b32 s9, s9
	s_cbranch_execz .LBB28_63
; %bb.62:
	global_load_b128 v[21:24], v[7:8], off
	s_waitcnt vmcnt(0)
	ds_store_2addr_b64 v20, v[21:22], v[23:24] offset1:1
.LBB28_63:
	s_or_b32 exec_lo, exec_lo, s9
	v_add_nc_u32_e32 v21, 8, v9
	s_delay_alu instid0(VALU_DEP_1) | instskip(NEXT) | instid1(VALU_DEP_1)
	v_cmp_le_i32_e64 s9, s13, v21
	s_and_saveexec_b32 s23, s9
	s_delay_alu instid0(SALU_CYCLE_1)
	s_xor_b32 s9, exec_lo, s23
	s_cbranch_execz .LBB28_65
; %bb.64:
	v_mul_u32_u24_e32 v22, 33, v21
	v_mov_b32_e32 v21, 0
	s_delay_alu instid0(VALU_DEP_2) | instskip(NEXT) | instid1(VALU_DEP_2)
	v_add_lshl_u32 v25, v22, v4, 4
	v_mov_b32_e32 v22, v21
	v_mov_b32_e32 v23, v21
	;; [unrolled: 1-line block ×3, first 2 shown]
	ds_store_b128 v25, v[21:24]
.LBB28_65:
	s_and_not1_saveexec_b32 s23, s9
	s_cbranch_execz .LBB28_67
; %bb.66:
	s_lshl_b64 s[26:27], s[20:21], 7
	v_add_nc_u32_e32 v25, 0x1080, v20
	v_add_co_u32 v21, s9, v7, s26
	s_delay_alu instid0(VALU_DEP_1)
	v_add_co_ci_u32_e64 v22, s9, s27, v8, s9
	global_load_b128 v[21:24], v[21:22], off
	s_waitcnt vmcnt(0)
	ds_store_2addr_b64 v25, v[21:22], v[23:24] offset1:1
.LBB28_67:
	s_or_b32 exec_lo, exec_lo, s23
	v_add_nc_u32_e32 v21, 16, v9
	s_delay_alu instid0(VALU_DEP_1) | instskip(NEXT) | instid1(VALU_DEP_1)
	v_cmp_le_i32_e64 s9, s13, v21
	s_and_saveexec_b32 s23, s9
	s_delay_alu instid0(SALU_CYCLE_1)
	s_xor_b32 s9, exec_lo, s23
	s_cbranch_execz .LBB28_69
; %bb.68:
	v_mov_b32_e32 v21, 0
	s_delay_alu instid0(VALU_DEP_1)
	v_mov_b32_e32 v22, v21
	v_mov_b32_e32 v23, v21
	;; [unrolled: 1-line block ×3, first 2 shown]
	ds_store_b128 v20, v[21:24] offset:8448
.LBB28_69:
	s_and_not1_saveexec_b32 s23, s9
	s_cbranch_execz .LBB28_71
; %bb.70:
	s_lshl_b64 s[26:27], s[20:21], 8
	v_add_nc_u32_e32 v25, 0x2100, v20
	v_add_co_u32 v21, s9, v7, s26
	s_delay_alu instid0(VALU_DEP_1)
	v_add_co_ci_u32_e64 v22, s9, s27, v8, s9
	global_load_b128 v[21:24], v[21:22], off
	s_waitcnt vmcnt(0)
	ds_store_2addr_b64 v25, v[21:22], v[23:24] offset1:1
.LBB28_71:
	s_or_b32 exec_lo, exec_lo, s23
	v_add_nc_u32_e32 v21, 24, v9
	s_delay_alu instid0(VALU_DEP_1) | instskip(NEXT) | instid1(VALU_DEP_1)
	v_cmp_le_i32_e64 s9, s13, v21
	s_and_saveexec_b32 s13, s9
	s_delay_alu instid0(SALU_CYCLE_1)
	s_xor_b32 s9, exec_lo, s13
	s_cbranch_execz .LBB28_73
; %bb.72:
	v_mov_b32_e32 v21, 0
	s_delay_alu instid0(VALU_DEP_1)
	v_mov_b32_e32 v22, v21
	v_mov_b32_e32 v23, v21
	;; [unrolled: 1-line block ×3, first 2 shown]
	ds_store_b128 v20, v[21:24] offset:12672
                                        ; implicit-def: $vgpr20
.LBB28_73:
	s_and_not1_saveexec_b32 s9, s9
	s_cbranch_execz .LBB28_75
; %bb.74:
	v_mad_u64_u32 v[21:22], null, 0x180, s20, v[7:8]
	v_add_nc_u32_e32 v20, 0x3180, v20
	s_delay_alu instid0(VALU_DEP_2) | instskip(NEXT) | instid1(VALU_DEP_1)
	v_mad_u64_u32 v[23:24], null, 0x180, s21, v[22:23]
	v_mov_b32_e32 v22, v23
	global_load_b128 v[21:24], v[21:22], off
	s_waitcnt vmcnt(0)
	ds_store_2addr_b64 v20, v[21:22], v[23:24] offset1:1
.LBB28_75:
	s_or_b32 exec_lo, exec_lo, s9
	v_add_co_u32 v7, s9, v7, v19
	s_delay_alu instid0(VALU_DEP_1) | instskip(NEXT) | instid1(VALU_DEP_2)
	v_add_co_ci_u32_e64 v8, s9, 0, v8, s9
	v_sub_co_u32 v7, s9, v7, s18
	s_delay_alu instid0(VALU_DEP_1) | instskip(NEXT) | instid1(VALU_DEP_2)
	v_subrev_co_ci_u32_e64 v8, s9, s19, v8, s9
	v_add_co_u32 v7, s9, 0x210, v7
	s_delay_alu instid0(VALU_DEP_1) | instskip(NEXT) | instid1(VALU_DEP_1)
	v_add_co_ci_u32_e64 v8, s9, 0, v8, s9
	v_dual_cndmask_b32 v5, v7, v5 :: v_dual_cndmask_b32 v6, v8, v6
.LBB28_76:
	v_add_nc_u32_e32 v13, 0x4700, v13
	s_lshl_b64 s[18:19], s[20:21], 5
	s_waitcnt lgkmcnt(0)
	s_barrier
	buffer_gl0_inv
	s_and_saveexec_b32 s9, s5
	s_delay_alu instid0(SALU_CYCLE_1)
	s_xor_b32 s5, exec_lo, s9
	s_cbranch_execnz .LBB28_89
; %bb.77:
	s_and_not1_saveexec_b32 s5, s5
	s_cbranch_execnz .LBB28_92
.LBB28_78:
	s_or_b32 exec_lo, exec_lo, s5
	s_and_saveexec_b32 s5, s6
	s_delay_alu instid0(SALU_CYCLE_1)
	s_xor_b32 s5, exec_lo, s5
	s_cbranch_execnz .LBB28_93
.LBB28_79:
	s_and_not1_saveexec_b32 s5, s5
	s_cbranch_execnz .LBB28_96
.LBB28_80:
	s_or_b32 exec_lo, exec_lo, s5
	s_and_saveexec_b32 s5, s7
	s_delay_alu instid0(SALU_CYCLE_1)
	s_xor_b32 s5, exec_lo, s5
	s_cbranch_execnz .LBB28_97
.LBB28_81:
	s_and_not1_saveexec_b32 s5, s5
	s_cbranch_execnz .LBB28_100
.LBB28_82:
	s_or_b32 exec_lo, exec_lo, s5
	s_and_saveexec_b32 s5, s8
	s_delay_alu instid0(SALU_CYCLE_1)
	s_xor_b32 s5, exec_lo, s5
	s_cbranch_execnz .LBB28_101
.LBB28_83:
	s_and_not1_saveexec_b32 s5, s5
	s_cbranch_execz .LBB28_85
.LBB28_84:
	ds_load_b128 v[19:22], v10 offset:1056
	s_waitcnt lgkmcnt(0)
	v_xor_b32_e32 v22, 0x80000000, v22
	ds_store_b128 v12, v[19:22] offset:48
.LBB28_85:
	s_or_b32 exec_lo, exec_lo, s5
	s_waitcnt lgkmcnt(0)
	s_barrier
	buffer_gl0_inv
	ds_load_b128 v[19:22], v13 offset:512
	ds_load_b128 v[14:17], v16
	ds_load_b128 v[23:26], v10
	ds_load_b128 v[27:30], v13 offset:528
	ds_load_b128 v[31:34], v13 offset:544
	v_cmp_eq_u32_e64 s5, 1, v9
	s_waitcnt lgkmcnt(1)
	v_mul_f64 v[40:41], v[29:30], v[25:26]
	v_mul_f64 v[7:8], v[21:22], v[16:17]
	;; [unrolled: 1-line block ×4, first 2 shown]
	s_delay_alu instid0(VALU_DEP_4) | instskip(NEXT) | instid1(VALU_DEP_4)
	v_fma_f64 v[27:28], v[27:28], v[23:24], -v[40:41]
	v_fma_f64 v[7:8], v[19:20], v[14:15], -v[7:8]
	s_delay_alu instid0(VALU_DEP_4)
	v_fma_f64 v[46:47], v[21:22], v[14:15], v[16:17]
	ds_load_b128 v[14:17], v10 offset:528
	ds_load_b128 v[19:22], v10 offset:1056
	v_fma_f64 v[29:30], v[29:30], v[23:24], v[25:26]
	ds_load_b128 v[23:26], v13 offset:560
	s_waitcnt lgkmcnt(0)
	s_barrier
	buffer_gl0_inv
	v_mul_f64 v[10:11], v[33:34], v[16:17]
	v_mul_f64 v[16:17], v[31:32], v[16:17]
	v_add_f64 v[7:8], v[7:8], 0
	v_add_f64 v[40:41], v[46:47], 0
	v_mul_f64 v[46:47], v[25:26], v[21:22]
	v_mul_f64 v[21:22], v[23:24], v[21:22]
	v_fma_f64 v[10:11], v[31:32], v[14:15], -v[10:11]
	v_fma_f64 v[14:15], v[33:34], v[14:15], v[16:17]
	v_add_f64 v[7:8], v[7:8], v[27:28]
	v_add_f64 v[16:17], v[40:41], v[29:30]
	v_fma_f64 v[23:24], v[23:24], v[19:20], -v[46:47]
	v_fma_f64 v[19:20], v[25:26], v[19:20], v[21:22]
	s_delay_alu instid0(VALU_DEP_4) | instskip(NEXT) | instid1(VALU_DEP_4)
	v_add_f64 v[7:8], v[7:8], v[10:11]
	v_add_f64 v[10:11], v[16:17], v[14:15]
	s_delay_alu instid0(VALU_DEP_2) | instskip(NEXT) | instid1(VALU_DEP_2)
	v_add_f64 v[14:15], v[7:8], v[23:24]
	v_add_f64 v[16:17], v[10:11], v[19:20]
	ds_store_b128 v45, v[14:17]
	s_waitcnt lgkmcnt(0)
	s_barrier
	buffer_gl0_inv
	s_and_saveexec_b32 s6, s5
	s_cbranch_execz .LBB28_87
; %bb.86:
	v_lshlrev_b32_e32 v19, 4, v44
	ds_load_b128 v[0:3], v19
	ds_load_b128 v[14:17], v19 offset:16
	s_waitcnt lgkmcnt(0)
	v_add_f64 v[7:8], v[14:15], v[0:1]
	v_add_f64 v[10:11], v[16:17], v[2:3]
	ds_load_b128 v[0:3], v19 offset:32
	ds_load_b128 v[14:17], v19 offset:48
	s_waitcnt lgkmcnt(1)
	v_add_f64 v[0:1], v[7:8], v[0:1]
	v_add_f64 v[2:3], v[10:11], v[2:3]
	s_waitcnt lgkmcnt(0)
	s_delay_alu instid0(VALU_DEP_2) | instskip(NEXT) | instid1(VALU_DEP_2)
	v_add_f64 v[7:8], v[0:1], v[14:15]
	v_add_f64 v[10:11], v[2:3], v[16:17]
	ds_load_b128 v[0:3], v19 offset:64
	ds_load_b128 v[14:17], v19 offset:80
	s_waitcnt lgkmcnt(1)
	v_add_f64 v[0:1], v[7:8], v[0:1]
	v_add_f64 v[2:3], v[10:11], v[2:3]
	s_waitcnt lgkmcnt(0)
	s_delay_alu instid0(VALU_DEP_2) | instskip(NEXT) | instid1(VALU_DEP_2)
	;; [unrolled: 9-line block ×3, first 2 shown]
	v_add_f64 v[0:1], v[0:1], v[14:15]
	v_add_f64 v[2:3], v[2:3], v[16:17]
.LBB28_87:
	s_or_b32 exec_lo, exec_lo, s6
	s_lshl_b64 s[6:7], s[18:19], 4
	v_cmp_ne_u32_e32 vcc_lo, 1, v18
	v_sub_co_u32 v40, s6, v5, s6
	s_delay_alu instid0(VALU_DEP_1)
	v_subrev_co_ci_u32_e64 v41, s6, s7, v6, s6
	s_barrier
	buffer_gl0_inv
	s_cbranch_vccnz .LBB28_104
; %bb.88:
	v_mad_u64_u32 v[5:6], null, 0x180, s20, v[40:41]
	s_lshl_b64 s[6:7], s[20:21], 7
	s_delay_alu instid0(SALU_CYCLE_1) | instskip(SKIP_1) | instid1(VALU_DEP_3)
	v_add_co_u32 v10, vcc_lo, v40, s6
	v_add_co_ci_u32_e32 v11, vcc_lo, s7, v41, vcc_lo
	v_mad_u64_u32 v[7:8], null, 0x180, s21, v[6:7]
	s_delay_alu instid0(VALU_DEP_3) | instskip(NEXT) | instid1(VALU_DEP_3)
	v_add_co_u32 v23, vcc_lo, v10, s6
	v_add_co_ci_u32_e32 v24, vcc_lo, s7, v11, vcc_lo
	v_add_nc_u32_e32 v8, 16, v9
	s_delay_alu instid0(VALU_DEP_4)
	v_dual_mov_b32 v6, v7 :: v_dual_add_nc_u32 v7, 8, v9
	s_clause 0x3
	global_load_b128 v[15:18], v[40:41], off
	global_load_b128 v[19:22], v[10:11], off
	;; [unrolled: 1-line block ×4, first 2 shown]
	v_mad_u32_u24 v11, v9, 33, v4
	v_add_nc_u32_e32 v10, 24, v9
	s_delay_alu instid0(VALU_DEP_2) | instskip(SKIP_3) | instid1(VALU_DEP_4)
	v_lshlrev_b32_e32 v31, 4, v11
	v_add_nc_u32_e32 v6, 0x108, v11
	v_add_nc_u32_e32 v5, 0x210, v11
	;; [unrolled: 1-line block ×6, first 2 shown]
	s_waitcnt vmcnt(3)
	ds_store_2addr_b64 v31, v[15:16], v[17:18] offset1:1
	s_waitcnt vmcnt(2)
	ds_store_2addr_b64 v32, v[19:20], v[21:22] offset1:1
	;; [unrolled: 2-line block ×4, first 2 shown]
	s_cbranch_execz .LBB28_105
	s_branch .LBB28_122
.LBB28_89:
	s_mov_b32 s9, exec_lo
	v_cmpx_eq_u32_e64 v11, v4
	s_cbranch_execz .LBB28_91
; %bb.90:
	v_mul_u32_u24_e32 v8, 34, v4
	v_mov_b32_e32 v7, 0
	s_delay_alu instid0(VALU_DEP_1)
	v_dual_mov_b32 v8, v7 :: v_dual_lshlrev_b32 v11, 4, v8
	ds_store_b64 v11, v[7:8] offset:8
.LBB28_91:
	s_or_b32 exec_lo, exec_lo, s9
	s_and_not1_saveexec_b32 s5, s5
	s_cbranch_execz .LBB28_78
.LBB28_92:
	ds_load_b128 v[19:22], v16
	s_waitcnt lgkmcnt(0)
	v_xor_b32_e32 v22, 0x80000000, v22
	ds_store_b128 v12, v[19:22]
	s_or_b32 exec_lo, exec_lo, s5
	s_and_saveexec_b32 s5, s6
	s_delay_alu instid0(SALU_CYCLE_1)
	s_xor_b32 s5, exec_lo, s5
	s_cbranch_execz .LBB28_79
.LBB28_93:
	s_mov_b32 s6, exec_lo
	v_cmpx_eq_u32_e64 v14, v4
	s_cbranch_execz .LBB28_95
; %bb.94:
	v_mul_u32_u24_e32 v8, 34, v4
	v_mov_b32_e32 v7, 0
	s_delay_alu instid0(VALU_DEP_1)
	v_dual_mov_b32 v8, v7 :: v_dual_lshlrev_b32 v11, 4, v8
	ds_store_b64 v11, v[7:8] offset:8
.LBB28_95:
	s_or_b32 exec_lo, exec_lo, s6
	s_and_not1_saveexec_b32 s5, s5
	s_cbranch_execz .LBB28_80
.LBB28_96:
	ds_load_b128 v[19:22], v10
	s_waitcnt lgkmcnt(0)
	v_xor_b32_e32 v22, 0x80000000, v22
	ds_store_b128 v12, v[19:22] offset:16
	s_or_b32 exec_lo, exec_lo, s5
	s_and_saveexec_b32 s5, s7
	s_delay_alu instid0(SALU_CYCLE_1)
	s_xor_b32 s5, exec_lo, s5
	s_cbranch_execz .LBB28_81
.LBB28_97:
	s_mov_b32 s6, exec_lo
	v_cmpx_eq_u32_e64 v15, v4
	s_cbranch_execz .LBB28_99
; %bb.98:
	v_mul_u32_u24_e32 v8, 34, v4
	v_mov_b32_e32 v7, 0
	s_delay_alu instid0(VALU_DEP_1)
	v_dual_mov_b32 v8, v7 :: v_dual_lshlrev_b32 v11, 4, v8
	ds_store_b64 v11, v[7:8] offset:8
.LBB28_99:
	s_or_b32 exec_lo, exec_lo, s6
	s_and_not1_saveexec_b32 s5, s5
	s_cbranch_execz .LBB28_82
.LBB28_100:
	ds_load_b128 v[19:22], v10 offset:528
	s_waitcnt lgkmcnt(0)
	v_xor_b32_e32 v22, 0x80000000, v22
	ds_store_b128 v12, v[19:22] offset:32
	s_or_b32 exec_lo, exec_lo, s5
	s_and_saveexec_b32 s5, s8
	s_delay_alu instid0(SALU_CYCLE_1)
	s_xor_b32 s5, exec_lo, s5
	s_cbranch_execz .LBB28_83
.LBB28_101:
	s_mov_b32 s6, exec_lo
	v_cmpx_eq_u32_e64 v17, v4
	s_cbranch_execz .LBB28_103
; %bb.102:
	v_mul_u32_u24_e32 v8, 34, v4
	v_mov_b32_e32 v7, 0
	s_delay_alu instid0(VALU_DEP_1)
	v_dual_mov_b32 v8, v7 :: v_dual_lshlrev_b32 v11, 4, v8
	ds_store_b64 v11, v[7:8] offset:8
.LBB28_103:
	s_or_b32 exec_lo, exec_lo, s6
	s_and_not1_saveexec_b32 s5, s5
	s_cbranch_execnz .LBB28_84
	s_branch .LBB28_85
.LBB28_104:
                                        ; implicit-def: $vgpr11
                                        ; implicit-def: $vgpr7
                                        ; implicit-def: $vgpr6
                                        ; implicit-def: $vgpr8
                                        ; implicit-def: $vgpr5
                                        ; implicit-def: $vgpr10
                                        ; implicit-def: $vgpr14
.LBB28_105:
	v_lshlrev_b32_e32 v15, 4, v4
	s_ashr_i32 s13, s12, 31
	v_or_b32_e32 v7, 32, v4
	s_lshl_b64 s[8:9], s[12:13], 4
	v_mad_u32_u24 v11, v9, 33, v4
	v_sub_co_u32 v5, vcc_lo, v40, v15
	v_subrev_co_ci_u32_e32 v6, vcc_lo, 0, v41, vcc_lo
	v_cmp_le_i32_e64 s6, s12, v9
	s_delay_alu instid0(VALU_DEP_3) | instskip(NEXT) | instid1(VALU_DEP_3)
	v_add_co_u32 v5, vcc_lo, v5, s8
	v_add_co_ci_u32_e32 v6, vcc_lo, s9, v6, vcc_lo
	v_lshlrev_b32_e32 v16, 4, v11
	s_delay_alu instid0(VALU_DEP_3) | instskip(NEXT) | instid1(VALU_DEP_3)
	v_add_co_u32 v5, vcc_lo, 0xfffffdf0, v5
	v_add_co_ci_u32_e32 v6, vcc_lo, -1, v6, vcc_lo
	v_cmp_gt_i32_e32 vcc_lo, s12, v7
	s_delay_alu instid0(VALU_DEP_2) | instskip(SKIP_1) | instid1(SALU_CYCLE_1)
	v_dual_cndmask_b32 v6, v6, v41 :: v_dual_cndmask_b32 v5, v5, v40
	s_and_saveexec_b32 s7, s6
	s_xor_b32 s6, exec_lo, s7
	s_cbranch_execz .LBB28_107
; %bb.106:
	v_mov_b32_e32 v17, 0
	s_delay_alu instid0(VALU_DEP_1)
	v_mov_b32_e32 v18, v17
	v_mov_b32_e32 v19, v17
	;; [unrolled: 1-line block ×3, first 2 shown]
	ds_store_b128 v16, v[17:20]
.LBB28_107:
	s_and_not1_saveexec_b32 s6, s6
	s_cbranch_execz .LBB28_109
; %bb.108:
	global_load_b128 v[17:20], v[5:6], off
	s_waitcnt vmcnt(0)
	ds_store_2addr_b64 v16, v[17:18], v[19:20] offset1:1
.LBB28_109:
	s_or_b32 exec_lo, exec_lo, s6
	v_add_nc_u32_e32 v7, 8, v9
	s_delay_alu instid0(VALU_DEP_1) | instskip(NEXT) | instid1(VALU_DEP_1)
	v_cmp_le_i32_e64 s6, s12, v7
	s_and_saveexec_b32 s7, s6
	s_delay_alu instid0(SALU_CYCLE_1)
	s_xor_b32 s6, exec_lo, s7
	s_cbranch_execz .LBB28_111
; %bb.110:
	v_mul_u32_u24_e32 v8, 33, v7
	v_mov_b32_e32 v17, 0
	s_delay_alu instid0(VALU_DEP_2) | instskip(NEXT) | instid1(VALU_DEP_2)
	v_add_lshl_u32 v8, v8, v4, 4
	v_mov_b32_e32 v18, v17
	v_mov_b32_e32 v19, v17
	;; [unrolled: 1-line block ×3, first 2 shown]
	ds_store_b128 v8, v[17:20]
.LBB28_111:
	s_and_not1_saveexec_b32 s7, s6
	s_cbranch_execz .LBB28_113
; %bb.112:
	s_lshl_b64 s[18:19], s[20:21], 7
	v_add_nc_u32_e32 v8, 0x1080, v16
	v_add_co_u32 v17, s6, v5, s18
	s_delay_alu instid0(VALU_DEP_1)
	v_add_co_ci_u32_e64 v18, s6, s19, v6, s6
	global_load_b128 v[17:20], v[17:18], off
	s_waitcnt vmcnt(0)
	ds_store_2addr_b64 v8, v[17:18], v[19:20] offset1:1
.LBB28_113:
	s_or_b32 exec_lo, exec_lo, s7
	v_add_nc_u32_e32 v8, 16, v9
	s_delay_alu instid0(VALU_DEP_1) | instskip(NEXT) | instid1(VALU_DEP_1)
	v_cmp_le_i32_e64 s6, s12, v8
	s_and_saveexec_b32 s7, s6
	s_delay_alu instid0(SALU_CYCLE_1)
	s_xor_b32 s6, exec_lo, s7
	s_cbranch_execz .LBB28_115
; %bb.114:
	v_mul_u32_u24_e32 v10, 33, v8
	v_mov_b32_e32 v17, 0
	s_delay_alu instid0(VALU_DEP_2) | instskip(NEXT) | instid1(VALU_DEP_2)
	v_add_lshl_u32 v4, v10, v4, 4
	v_mov_b32_e32 v18, v17
	v_mov_b32_e32 v19, v17
	;; [unrolled: 1-line block ×3, first 2 shown]
	ds_store_b128 v4, v[17:20]
.LBB28_115:
	s_and_not1_saveexec_b32 s7, s6
	s_cbranch_execz .LBB28_117
; %bb.116:
	s_lshl_b64 s[18:19], s[20:21], 8
	v_add_nc_u32_e32 v4, 0x2100, v16
	v_add_co_u32 v17, s6, v5, s18
	s_delay_alu instid0(VALU_DEP_1)
	v_add_co_ci_u32_e64 v18, s6, s19, v6, s6
	global_load_b128 v[17:20], v[17:18], off
	s_waitcnt vmcnt(0)
	ds_store_2addr_b64 v4, v[17:18], v[19:20] offset1:1
.LBB28_117:
	s_or_b32 exec_lo, exec_lo, s7
	v_add_nc_u32_e32 v10, 24, v9
                                        ; implicit-def: $vgpr14
	s_delay_alu instid0(VALU_DEP_1) | instskip(NEXT) | instid1(VALU_DEP_1)
	v_cmp_le_i32_e64 s6, s12, v10
	s_and_saveexec_b32 s7, s6
	s_delay_alu instid0(SALU_CYCLE_1)
	s_xor_b32 s6, exec_lo, s7
	s_cbranch_execz .LBB28_119
; %bb.118:
	v_dual_mov_b32 v17, 0 :: v_dual_add_nc_u32 v14, 0x318, v11
	s_delay_alu instid0(VALU_DEP_1)
	v_mov_b32_e32 v18, v17
	v_mov_b32_e32 v19, v17
	;; [unrolled: 1-line block ×3, first 2 shown]
	ds_store_b128 v16, v[17:20] offset:12672
                                        ; implicit-def: $vgpr16
.LBB28_119:
	s_and_not1_saveexec_b32 s6, s6
	s_cbranch_execz .LBB28_121
; %bb.120:
	v_mad_u64_u32 v[17:18], null, 0x180, s20, v[5:6]
	v_add_nc_u32_e32 v14, 0x318, v11
	s_delay_alu instid0(VALU_DEP_2) | instskip(NEXT) | instid1(VALU_DEP_1)
	v_mov_b32_e32 v4, v18
	v_mad_u64_u32 v[18:19], null, 0x180, s21, v[4:5]
	v_add_nc_u32_e32 v4, 0x3180, v16
	global_load_b128 v[17:20], v[17:18], off
	s_waitcnt vmcnt(0)
	ds_store_2addr_b64 v4, v[17:18], v[19:20] offset1:1
.LBB28_121:
	s_or_b32 exec_lo, exec_lo, s6
	v_add_co_u32 v4, s6, v5, v15
	s_delay_alu instid0(VALU_DEP_1) | instskip(NEXT) | instid1(VALU_DEP_2)
	v_add_co_ci_u32_e64 v5, s6, 0, v6, s6
	v_sub_co_u32 v4, s6, v4, s8
	s_delay_alu instid0(VALU_DEP_1) | instskip(NEXT) | instid1(VALU_DEP_2)
	v_subrev_co_ci_u32_e64 v5, s6, s9, v5, s6
	v_add_co_u32 v4, s6, 0x210, v4
	s_delay_alu instid0(VALU_DEP_1) | instskip(SKIP_1) | instid1(VALU_DEP_2)
	v_add_co_ci_u32_e64 v5, s6, 0, v5, s6
	v_add_nc_u32_e32 v6, 0x108, v11
	v_dual_cndmask_b32 v40, v4, v40 :: v_dual_cndmask_b32 v41, v5, v41
	v_add_nc_u32_e32 v5, 0x210, v11
.LBB28_122:
	v_lshlrev_b32_e32 v4, 4, v9
	v_lshlrev_b32_e32 v9, 4, v11
	s_waitcnt lgkmcnt(0)
	s_barrier
	buffer_gl0_inv
	ds_load_b128 v[15:18], v4 offset:18176
	ds_load_b128 v[19:22], v9
	v_lshlrev_b32_e32 v4, 4, v7
	v_lshlrev_b32_e32 v6, 4, v6
	;; [unrolled: 1-line block ×3, first 2 shown]
	s_waitcnt lgkmcnt(0)
	v_mul_f64 v[29:30], v[17:18], v[21:22]
	v_mul_f64 v[31:32], v[15:16], v[21:22]
	ds_load_b128 v[21:24], v4 offset:18176
	ds_load_b128 v[25:28], v6
	v_lshlrev_b32_e32 v4, 4, v8
	v_lshlrev_b32_e32 v8, 4, v5
	s_waitcnt lgkmcnt(0)
	v_mul_f64 v[33:34], v[23:24], v[27:28]
	v_mul_f64 v[27:28], v[21:22], v[27:28]
	v_fma_f64 v[29:30], v[15:16], v[19:20], -v[29:30]
	v_fma_f64 v[19:20], v[17:18], v[19:20], v[31:32]
	ds_load_b128 v[4:7], v4 offset:18176
	ds_load_b128 v[15:18], v8
	v_lshlrev_b32_e32 v8, 4, v10
	s_waitcnt lgkmcnt(0)
	v_mul_f64 v[31:32], v[6:7], v[17:18]
	v_mul_f64 v[46:47], v[4:5], v[17:18]
	v_fma_f64 v[21:22], v[21:22], v[25:26], -v[33:34]
	v_fma_f64 v[23:24], v[23:24], v[25:26], v[27:28]
	v_add_f64 v[25:26], v[29:30], 0
	v_add_f64 v[27:28], v[19:20], 0
	ds_load_b128 v[8:11], v8 offset:18176
	ds_load_b128 v[17:20], v14
	s_waitcnt lgkmcnt(0)
	v_mul_f64 v[29:30], v[10:11], v[19:20]
	v_mul_f64 v[19:20], v[8:9], v[19:20]
	v_fma_f64 v[4:5], v[4:5], v[15:16], -v[31:32]
	v_fma_f64 v[6:7], v[6:7], v[15:16], v[46:47]
	v_add_f64 v[14:15], v[25:26], v[21:22]
	v_add_f64 v[21:22], v[27:28], v[23:24]
	v_fma_f64 v[8:9], v[8:9], v[17:18], -v[29:30]
	v_fma_f64 v[10:11], v[10:11], v[17:18], v[19:20]
	s_delay_alu instid0(VALU_DEP_4) | instskip(NEXT) | instid1(VALU_DEP_4)
	v_add_f64 v[4:5], v[14:15], v[4:5]
	v_add_f64 v[6:7], v[21:22], v[6:7]
	s_delay_alu instid0(VALU_DEP_2) | instskip(NEXT) | instid1(VALU_DEP_2)
	v_add_f64 v[46:47], v[4:5], v[8:9]
	v_add_f64 v[48:49], v[6:7], v[10:11]
	ds_load_b128 v[28:31], v12
	ds_load_b128 v[20:23], v12 offset:16
	ds_load_b128 v[8:11], v12 offset:32
	ds_load_b128 v[4:7], v12 offset:48
	ds_load_b128 v[32:35], v13 offset:512
	ds_load_b128 v[24:27], v13 offset:528
	ds_load_b128 v[16:19], v13 offset:544
	ds_load_b128 v[12:15], v13 offset:560
	s_waitcnt lgkmcnt(0)
	s_barrier
	buffer_gl0_inv
	ds_store_b128 v45, v[46:49]
	s_waitcnt lgkmcnt(0)
	s_barrier
	buffer_gl0_inv
	s_and_saveexec_b32 s6, s5
	s_cbranch_execz .LBB28_124
; %bb.123:
	v_lshlrev_b32_e32 v54, 4, v44
	ds_load_b128 v[46:49], v54
	ds_load_b128 v[50:53], v54 offset:16
	s_waitcnt lgkmcnt(1)
	v_add_f64 v[0:1], v[0:1], v[46:47]
	v_add_f64 v[2:3], v[2:3], v[48:49]
	s_waitcnt lgkmcnt(0)
	s_delay_alu instid0(VALU_DEP_2) | instskip(NEXT) | instid1(VALU_DEP_2)
	v_add_f64 v[50:51], v[0:1], v[50:51]
	v_add_f64 v[52:53], v[2:3], v[52:53]
	ds_load_b128 v[0:3], v54 offset:32
	ds_load_b128 v[46:49], v54 offset:48
	s_waitcnt lgkmcnt(1)
	v_add_f64 v[0:1], v[50:51], v[0:1]
	v_add_f64 v[2:3], v[52:53], v[2:3]
	s_waitcnt lgkmcnt(0)
	s_delay_alu instid0(VALU_DEP_2) | instskip(NEXT) | instid1(VALU_DEP_2)
	v_add_f64 v[50:51], v[0:1], v[46:47]
	v_add_f64 v[52:53], v[2:3], v[48:49]
	ds_load_b128 v[0:3], v54 offset:64
	;; [unrolled: 9-line block ×3, first 2 shown]
	ds_load_b128 v[46:49], v54 offset:112
	s_waitcnt lgkmcnt(1)
	v_add_f64 v[0:1], v[50:51], v[0:1]
	v_add_f64 v[2:3], v[52:53], v[2:3]
	s_waitcnt lgkmcnt(0)
	s_delay_alu instid0(VALU_DEP_2) | instskip(NEXT) | instid1(VALU_DEP_2)
	v_add_f64 v[0:1], v[0:1], v[46:47]
	v_add_f64 v[2:3], v[2:3], v[48:49]
.LBB28_124:
	s_or_b32 exec_lo, exec_lo, s6
	v_mul_f64 v[46:47], v[30:31], v[34:35]
	v_mul_f64 v[30:31], v[30:31], v[32:33]
	;; [unrolled: 1-line block ×4, first 2 shown]
	s_barrier
	buffer_gl0_inv
	v_fma_f64 v[32:33], v[28:29], v[32:33], v[46:47]
	v_fma_f64 v[28:29], v[28:29], v[34:35], -v[30:31]
	v_mul_f64 v[30:31], v[10:11], v[18:19]
	v_mul_f64 v[10:11], v[10:11], v[16:17]
	v_fma_f64 v[24:25], v[20:21], v[24:25], v[48:49]
	v_fma_f64 v[20:21], v[20:21], v[26:27], -v[22:23]
	v_add_f64 v[22:23], v[32:33], 0
	v_add_f64 v[26:27], v[28:29], 0
	v_mul_f64 v[28:29], v[6:7], v[14:15]
	v_mul_f64 v[6:7], v[6:7], v[12:13]
	v_fma_f64 v[16:17], v[8:9], v[16:17], v[30:31]
	v_fma_f64 v[8:9], v[8:9], v[18:19], -v[10:11]
	v_add_f64 v[10:11], v[22:23], v[24:25]
	v_add_f64 v[18:19], v[26:27], v[20:21]
	v_fma_f64 v[12:13], v[4:5], v[12:13], v[28:29]
	v_fma_f64 v[6:7], v[4:5], v[14:15], -v[6:7]
	s_delay_alu instid0(VALU_DEP_4) | instskip(NEXT) | instid1(VALU_DEP_4)
	v_add_f64 v[4:5], v[10:11], v[16:17]
	v_add_f64 v[8:9], v[18:19], v[8:9]
	s_delay_alu instid0(VALU_DEP_2) | instskip(NEXT) | instid1(VALU_DEP_2)
	v_add_f64 v[4:5], v[4:5], v[12:13]
	v_add_f64 v[6:7], v[8:9], v[6:7]
	ds_store_b128 v45, v[4:7]
	s_waitcnt lgkmcnt(0)
	s_barrier
	buffer_gl0_inv
	s_and_saveexec_b32 s5, s4
	s_cbranch_execz .LBB28_126
; %bb.125:
	v_lshlrev_b32_e32 v12, 4, v44
	ds_load_b128 v[4:7], v12
	ds_load_b128 v[8:11], v12 offset:16
	s_waitcnt lgkmcnt(1)
	v_add_f64 v[0:1], v[0:1], v[4:5]
	v_add_f64 v[2:3], v[2:3], v[6:7]
	s_waitcnt lgkmcnt(0)
	s_delay_alu instid0(VALU_DEP_2) | instskip(NEXT) | instid1(VALU_DEP_2)
	v_add_f64 v[8:9], v[0:1], v[8:9]
	v_add_f64 v[10:11], v[2:3], v[10:11]
	ds_load_b128 v[0:3], v12 offset:32
	ds_load_b128 v[4:7], v12 offset:48
	s_waitcnt lgkmcnt(1)
	v_add_f64 v[0:1], v[8:9], v[0:1]
	v_add_f64 v[2:3], v[10:11], v[2:3]
	s_waitcnt lgkmcnt(0)
	s_delay_alu instid0(VALU_DEP_2) | instskip(NEXT) | instid1(VALU_DEP_2)
	v_add_f64 v[8:9], v[0:1], v[4:5]
	v_add_f64 v[10:11], v[2:3], v[6:7]
	ds_load_b128 v[0:3], v12 offset:64
	ds_load_b128 v[4:7], v12 offset:80
	s_waitcnt lgkmcnt(1)
	v_add_f64 v[0:1], v[8:9], v[0:1]
	v_add_f64 v[2:3], v[10:11], v[2:3]
	s_waitcnt lgkmcnt(0)
	s_delay_alu instid0(VALU_DEP_2) | instskip(NEXT) | instid1(VALU_DEP_2)
	v_add_f64 v[8:9], v[0:1], v[4:5]
	v_add_f64 v[10:11], v[2:3], v[6:7]
	ds_load_b128 v[0:3], v12 offset:96
	ds_load_b128 v[4:7], v12 offset:112
	s_waitcnt lgkmcnt(1)
	v_add_f64 v[0:1], v[8:9], v[0:1]
	v_add_f64 v[2:3], v[10:11], v[2:3]
	s_waitcnt lgkmcnt(0)
	s_delay_alu instid0(VALU_DEP_2) | instskip(NEXT) | instid1(VALU_DEP_2)
	v_add_f64 v[0:1], v[0:1], v[4:5]
	v_add_f64 v[2:3], v[2:3], v[6:7]
.LBB28_126:
	s_or_b32 exec_lo, exec_lo, s5
	s_load_b64 s[0:1], s[0:1], 0x78
	s_mul_hi_u32 s4, s30, s15
	s_mul_i32 s25, s25, s15
	s_mul_i32 s5, s30, s15
	s_add_i32 s4, s4, s25
	s_mul_hi_u32 s6, s5, s24
	s_mul_i32 s7, s4, s24
	s_mul_i32 s4, s5, s24
	s_add_i32 s5, s6, s7
	s_mul_i32 s6, s14, s30
	s_lshl_b64 s[4:5], s[4:5], 4
	v_cmp_le_i32_e32 vcc_lo, s12, v42
	v_lshlrev_b32_e32 v139, 4, v42
	s_waitcnt lgkmcnt(0)
	s_barrier
	buffer_gl0_inv
	s_add_u32 s4, s0, s4
	s_addc_u32 s5, s1, s5
	s_ashr_i32 s7, s6, 31
	s_delay_alu instid0(SALU_CYCLE_1) | instskip(NEXT) | instid1(SALU_CYCLE_1)
	s_lshl_b64 s[0:1], s[6:7], 4
	s_add_u32 s6, s4, s0
	s_addc_u32 s7, s5, s1
	s_and_b32 vcc_lo, s22, vcc_lo
	s_cmp_lt_i32 s14, 1
	s_cbranch_scc1 .LBB28_133
; %bb.127:
	v_lshlrev_b32_e32 v8, 2, v138
	s_ashr_i32 s13, s12, 31
	v_mov_b32_e32 v135, 0
	s_lshl_b64 s[8:9], s[12:13], 4
	s_mul_i32 s1, s10, s29
	v_mad_u64_u32 v[4:5], null, v8, s20, 0
	s_mul_hi_u32 s5, s10, s28
	s_mul_i32 s11, s11, s28
	s_add_i32 s1, s5, s1
	s_mul_i32 s4, s10, s28
	s_add_i32 s5, s1, s11
	v_or_b32_e32 v10, 0xf0, v139
	s_delay_alu instid0(VALU_DEP_2) | instskip(SKIP_1) | instid1(VALU_DEP_1)
	v_mad_u64_u32 v[6:7], null, v8, s21, v[5:6]
	v_sub_co_u32 v8, s0, v40, s16
	v_subrev_co_ci_u32_e64 v9, s0, s17, v41, s0
	s_lshl_b64 s[4:5], s[4:5], 4
	s_delay_alu instid0(VALU_DEP_2) | instskip(NEXT) | instid1(VALU_DEP_4)
	v_sub_co_u32 v8, s0, v8, v38
	v_dual_mov_b32 v5, v6 :: v_dual_and_b32 v6, 48, v42
	s_delay_alu instid0(VALU_DEP_3) | instskip(SKIP_1) | instid1(VALU_DEP_3)
	v_sub_co_ci_u32_e64 v9, s0, v9, v39, s0
	v_add_nc_u32_e32 v142, 0x4300, v139
	v_lshlrev_b64 v[4:5], 4, v[4:5]
	v_add_nc_u32_e32 v143, 0x4700, v139
	v_lshl_add_u32 v147, v138, 6, 0x4300
	v_mad_u32_u24 v148, 0x10c0, v138, v139
	s_mul_i32 s1, s21, 0xd0
	s_mov_b32 s10, 0
	v_add_co_u32 v4, s0, v8, v4
	s_delay_alu instid0(VALU_DEP_1) | instskip(NEXT) | instid1(VALU_DEP_2)
	v_add_co_ci_u32_e64 v5, s0, v9, v5, s0
	v_add_co_u32 v8, s0, v4, s8
	s_delay_alu instid0(VALU_DEP_1) | instskip(SKIP_1) | instid1(VALU_DEP_1)
	v_add_co_ci_u32_e64 v9, s0, s9, v5, s0
	v_add_co_u32 v4, s0, v4, v139
	v_add_co_ci_u32_e64 v5, s0, 0, v5, s0
	s_delay_alu instid0(VALU_DEP_4) | instskip(NEXT) | instid1(VALU_DEP_1)
	v_add_co_u32 v8, s0, 0xfffffdf0, v8
	v_add_co_ci_u32_e64 v9, s0, -1, v9, s0
	s_delay_alu instid0(VALU_DEP_4) | instskip(NEXT) | instid1(VALU_DEP_1)
	v_add_co_u32 v4, s0, 0xfffffe00, v4
	v_add_co_ci_u32_e64 v5, s0, -1, v5, s0
	s_delay_alu instid0(VALU_DEP_2) | instskip(NEXT) | instid1(VALU_DEP_2)
	v_dual_cndmask_b32 v4, v4, v8 :: v_dual_and_b32 v7, 15, v42
	v_dual_cndmask_b32 v5, v5, v9 :: v_dual_lshlrev_b32 v8, 2, v43
	v_lshlrev_b32_e32 v9, 4, v6
	v_sub_co_u32 v140, s0, v36, s4
	s_delay_alu instid0(VALU_DEP_3) | instskip(SKIP_1) | instid1(VALU_DEP_4)
	v_and_b32_e32 v8, 0x7ffc0, v8
	v_subrev_co_ci_u32_e64 v141, s0, s5, v37, s0
	v_mad_u32_u24 v144, 0x430, v7, v9
	v_and_b32_e32 v9, 0x1fff0, v43
	v_cmp_gt_u32_e64 s0, 64, v43
	v_mad_u32_u24 v145, 0x430, v7, v10
	v_mad_u32_u24 v146, 0x430, v7, v8
	v_or_b32_e32 v150, v6, v7
	v_mad_u32_u24 v149, 0x430, v7, v9
	s_mul_hi_u32 s8, s20, 0xd0
	s_lshl_b64 s[4:5], s[20:21], 4
	s_add_i32 s8, s8, s1
	s_mul_i32 s9, s20, 0xd0
	s_branch .LBB28_129
.LBB28_128:                             ;   in Loop: Header=BB28_129 Depth=1
	s_or_b32 exec_lo, exec_lo, s11
	v_mul_f64 v[151:152], v[10:11], v[38:39]
	v_mul_f64 v[38:39], v[8:9], v[38:39]
	;; [unrolled: 1-line block ×4, first 2 shown]
	s_add_i32 s14, s14, -1
	s_add_i32 s10, s10, 64
	s_cmp_eq_u32 s14, 0
	s_waitcnt_vscnt null, 0x0
	s_barrier
	buffer_gl0_inv
	v_fma_f64 v[8:9], v[8:9], v[36:37], -v[151:152]
	v_fma_f64 v[10:11], v[10:11], v[36:37], v[38:39]
	v_mul_f64 v[36:37], v[14:15], v[46:47]
	v_mul_f64 v[38:39], v[12:13], v[46:47]
	v_fma_f64 v[16:17], v[16:17], v[48:49], -v[153:154]
	v_fma_f64 v[18:19], v[18:19], v[48:49], v[50:51]
	v_add_f64 v[0:1], v[0:1], v[8:9]
	v_add_f64 v[2:3], v[2:3], v[10:11]
	v_mul_f64 v[8:9], v[6:7], v[42:43]
	v_mul_f64 v[10:11], v[4:5], v[42:43]
	v_fma_f64 v[12:13], v[12:13], v[44:45], -v[36:37]
	v_fma_f64 v[14:15], v[14:15], v[44:45], v[38:39]
	v_add_f64 v[0:1], v[0:1], v[16:17]
	v_add_f64 v[2:3], v[2:3], v[18:19]
	v_mul_f64 v[16:17], v[34:35], v[74:75]
	v_mul_f64 v[18:19], v[32:33], v[74:75]
	v_fma_f64 v[4:5], v[4:5], v[40:41], -v[8:9]
	v_fma_f64 v[6:7], v[6:7], v[40:41], v[10:11]
	v_mul_f64 v[8:9], v[30:31], v[82:83]
	v_mul_f64 v[10:11], v[28:29], v[82:83]
	v_add_f64 v[0:1], v[0:1], v[12:13]
	v_add_f64 v[2:3], v[2:3], v[14:15]
	v_fma_f64 v[12:13], v[32:33], v[72:73], -v[16:17]
	v_fma_f64 v[14:15], v[34:35], v[72:73], v[18:19]
	v_fma_f64 v[8:9], v[28:29], v[80:81], -v[8:9]
	v_fma_f64 v[10:11], v[30:31], v[80:81], v[10:11]
	v_add_f64 v[0:1], v[0:1], v[4:5]
	v_add_f64 v[2:3], v[2:3], v[6:7]
	v_mul_f64 v[4:5], v[26:27], v[78:79]
	v_mul_f64 v[6:7], v[24:25], v[78:79]
	s_delay_alu instid0(VALU_DEP_4) | instskip(NEXT) | instid1(VALU_DEP_4)
	v_add_f64 v[0:1], v[0:1], v[12:13]
	v_add_f64 v[2:3], v[2:3], v[14:15]
	v_mul_f64 v[12:13], v[22:23], v[70:71]
	v_mul_f64 v[14:15], v[20:21], v[70:71]
	v_fma_f64 v[4:5], v[24:25], v[76:77], -v[4:5]
	v_fma_f64 v[6:7], v[26:27], v[76:77], v[6:7]
	v_add_f64 v[0:1], v[0:1], v[8:9]
	v_add_f64 v[2:3], v[2:3], v[10:11]
	v_mul_f64 v[8:9], v[66:67], v[102:103]
	v_mul_f64 v[10:11], v[64:65], v[102:103]
	v_fma_f64 v[12:13], v[20:21], v[68:69], -v[12:13]
	v_fma_f64 v[14:15], v[22:23], v[68:69], v[14:15]
	;; [unrolled: 6-line block ×9, first 2 shown]
	v_add_f64 v[0:1], v[0:1], v[12:13]
	v_add_f64 v[2:3], v[2:3], v[14:15]
	v_fma_f64 v[4:5], v[104:105], v[120:121], -v[4:5]
	v_fma_f64 v[6:7], v[106:107], v[120:121], v[6:7]
	s_delay_alu instid0(VALU_DEP_4) | instskip(NEXT) | instid1(VALU_DEP_4)
	v_add_f64 v[0:1], v[0:1], v[8:9]
	v_add_f64 v[2:3], v[2:3], v[10:11]
	s_delay_alu instid0(VALU_DEP_2) | instskip(NEXT) | instid1(VALU_DEP_2)
	v_add_f64 v[0:1], v[0:1], v[4:5]
	v_add_f64 v[2:3], v[2:3], v[6:7]
	v_add_co_u32 v4, s1, v136, s9
	s_delay_alu instid0(VALU_DEP_1)
	v_add_co_ci_u32_e64 v5, s1, s8, v137, s1
	s_cbranch_scc1 .LBB28_133
.LBB28_129:                             ; =>This Inner Loop Header: Depth=1
	s_and_saveexec_b32 s11, s3
	s_cbranch_execz .LBB28_131
; %bb.130:                              ;   in Loop: Header=BB28_129 Depth=1
	s_mul_i32 s1, s10, s29
	s_mul_hi_u32 s13, s10, s28
	s_mul_i32 s12, s10, s28
	s_add_i32 s13, s13, s1
	s_delay_alu instid0(SALU_CYCLE_1) | instskip(NEXT) | instid1(SALU_CYCLE_1)
	s_lshl_b64 s[12:13], s[12:13], 4
	v_add_co_u32 v6, s1, v140, s12
	s_delay_alu instid0(VALU_DEP_1)
	v_add_co_ci_u32_e64 v7, s1, s13, v141, s1
	global_load_b128 v[6:9], v[6:7], off
	s_waitcnt vmcnt(0)
	ds_store_2addr_b64 v142, v[6:7], v[8:9] offset1:1
.LBB28_131:                             ;   in Loop: Header=BB28_129 Depth=1
	s_or_b32 exec_lo, exec_lo, s11
	v_add_co_u32 v6, s1, v4, s4
	s_delay_alu instid0(VALU_DEP_1) | instskip(SKIP_1) | instid1(VALU_DEP_2)
	v_add_co_ci_u32_e64 v7, s1, s5, v5, s1
	s_waitcnt lgkmcnt(0)
	v_add_co_u32 v12, s1, v6, s4
	s_delay_alu instid0(VALU_DEP_1) | instskip(SKIP_1) | instid1(VALU_DEP_2)
	v_add_co_ci_u32_e64 v13, s1, s5, v7, s1
	s_barrier
	v_add_co_u32 v36, s1, v12, s4
	buffer_gl0_inv
	global_load_b128 v[8:11], v[4:5], off
	v_add_co_ci_u32_e64 v37, s1, s5, v13, s1
	s_clause 0x2
	global_load_b128 v[16:19], v[6:7], off
	global_load_b128 v[12:15], v[12:13], off
	;; [unrolled: 1-line block ×3, first 2 shown]
	ds_load_b128 v[20:23], v143
	v_add_co_u32 v52, s1, v36, s9
	s_delay_alu instid0(VALU_DEP_1) | instskip(NEXT) | instid1(VALU_DEP_2)
	v_add_co_ci_u32_e64 v53, s1, s8, v37, s1
	v_add_co_u32 v54, s1, v52, s4
	s_delay_alu instid0(VALU_DEP_1) | instskip(NEXT) | instid1(VALU_DEP_2)
	v_add_co_ci_u32_e64 v55, s1, s5, v53, s1
	;; [unrolled: 3-line block ×7, first 2 shown]
	v_add_co_u32 v102, s1, v100, s4
	s_delay_alu instid0(VALU_DEP_1)
	v_add_co_ci_u32_e64 v103, s1, s5, v101, s1
	s_waitcnt vmcnt(3) lgkmcnt(0)
	v_mul_f64 v[24:25], v[10:11], v[22:23]
	v_mul_f64 v[26:27], v[10:11], v[20:21]
	s_waitcnt vmcnt(2)
	v_mul_f64 v[28:29], v[18:19], v[22:23]
	v_mul_f64 v[30:31], v[18:19], v[20:21]
	s_waitcnt vmcnt(1)
	;; [unrolled: 3-line block ×3, first 2 shown]
	v_mul_f64 v[38:39], v[6:7], v[22:23]
	v_mul_f64 v[40:41], v[6:7], v[20:21]
	v_fma_f64 v[24:25], v[8:9], v[20:21], v[24:25]
	v_fma_f64 v[26:27], v[8:9], v[22:23], -v[26:27]
	v_fma_f64 v[28:29], v[16:17], v[20:21], v[28:29]
	v_fma_f64 v[30:31], v[16:17], v[22:23], -v[30:31]
	;; [unrolled: 2-line block ×4, first 2 shown]
	ds_load_b128 v[36:39], v147
	ds_store_b128 v148, v[24:27]
	ds_load_b128 v[48:51], v147 offset:16
	ds_store_b128 v148, v[28:31] offset:1072
	ds_load_b128 v[44:47], v147 offset:32
	ds_store_b128 v148, v[32:35] offset:2144
	;; [unrolled: 2-line block ×3, first 2 shown]
	s_waitcnt lgkmcnt(0)
	s_barrier
	buffer_gl0_inv
	ds_load_b128 v[84:87], v146
	ds_load_b128 v[88:91], v146 offset:16
	ds_load_b128 v[116:119], v146 offset:32
	;; [unrolled: 1-line block ×3, first 2 shown]
	s_waitcnt lgkmcnt(0)
	s_barrier
	buffer_gl0_inv
	s_clause 0x2
	global_load_b128 v[32:35], v[52:53], off
	global_load_b128 v[28:31], v[54:55], off
	global_load_b128 v[24:27], v[56:57], off
	global_load_b128 v[20:23], v[68:69], off
	ds_load_b128 v[52:55], v143
	v_add_f64 v[159:160], v[84:85], 0
	v_add_f64 v[161:162], v[86:87], 0
	s_delay_alu instid0(VALU_DEP_2) | instskip(NEXT) | instid1(VALU_DEP_2)
	v_add_f64 v[169:170], v[159:160], v[88:89]
	v_add_f64 v[171:172], v[161:162], v[90:91]
	s_waitcnt vmcnt(2) lgkmcnt(0)
	v_mul_f64 v[60:61], v[30:31], v[54:55]
	v_mul_f64 v[56:57], v[34:35], v[54:55]
	;; [unrolled: 1-line block ×4, first 2 shown]
	s_waitcnt vmcnt(1)
	v_mul_f64 v[64:65], v[26:27], v[54:55]
	v_mul_f64 v[66:67], v[26:27], v[52:53]
	s_waitcnt vmcnt(0)
	v_mul_f64 v[70:71], v[22:23], v[54:55]
	v_mul_f64 v[72:73], v[22:23], v[52:53]
	v_fma_f64 v[60:61], v[28:29], v[52:53], v[60:61]
	v_fma_f64 v[56:57], v[32:33], v[52:53], v[56:57]
	v_fma_f64 v[58:59], v[32:33], v[54:55], -v[58:59]
	v_fma_f64 v[62:63], v[28:29], v[54:55], -v[62:63]
	v_fma_f64 v[64:65], v[24:25], v[52:53], v[64:65]
	v_fma_f64 v[66:67], v[24:25], v[54:55], -v[66:67]
	v_fma_f64 v[52:53], v[20:21], v[52:53], v[70:71]
	v_fma_f64 v[54:55], v[20:21], v[54:55], -v[72:73]
	ds_load_b128 v[72:75], v147 offset:256
	ds_store_b128 v148, v[56:59]
	ds_load_b128 v[80:83], v147 offset:272
	ds_store_b128 v148, v[60:63] offset:1072
	ds_load_b128 v[76:79], v147 offset:288
	ds_store_b128 v148, v[64:67] offset:2144
	;; [unrolled: 2-line block ×3, first 2 shown]
	s_waitcnt lgkmcnt(0)
	s_barrier
	buffer_gl0_inv
	ds_load_b128 v[92:95], v146
	ds_load_b128 v[120:123], v146 offset:16
	ds_load_b128 v[124:127], v146 offset:32
	ds_load_b128 v[128:131], v146 offset:48
	s_waitcnt lgkmcnt(0)
	s_barrier
	buffer_gl0_inv
	global_load_b128 v[64:67], v[96:97], off
	global_load_b128 v[60:63], v[98:99], off
	;; [unrolled: 1-line block ×4, first 2 shown]
	ds_load_b128 v[96:99], v143
	v_add_f64 v[92:93], v[92:93], 0
	v_add_f64 v[94:95], v[94:95], 0
	s_delay_alu instid0(VALU_DEP_2) | instskip(NEXT) | instid1(VALU_DEP_2)
	v_add_f64 v[120:121], v[92:93], v[120:121]
	v_add_f64 v[122:123], v[94:95], v[122:123]
	s_delay_alu instid0(VALU_DEP_2) | instskip(NEXT) | instid1(VALU_DEP_2)
	v_add_f64 v[120:121], v[120:121], v[124:125]
	v_add_f64 v[122:123], v[122:123], v[126:127]
	s_delay_alu instid0(VALU_DEP_1)
	v_add_f64 v[173:174], v[122:123], v[130:131]
	s_waitcnt vmcnt(2) lgkmcnt(0)
	v_mul_f64 v[110:111], v[62:63], v[98:99]
	v_mul_f64 v[100:101], v[66:67], v[98:99]
	;; [unrolled: 1-line block ×4, first 2 shown]
	s_waitcnt vmcnt(1)
	v_mul_f64 v[114:115], v[58:59], v[98:99]
	v_mul_f64 v[136:137], v[58:59], v[96:97]
	s_waitcnt vmcnt(0)
	v_mul_f64 v[155:156], v[54:55], v[98:99]
	v_mul_f64 v[157:158], v[54:55], v[96:97]
	v_fma_f64 v[84:85], v[64:65], v[96:97], v[100:101]
	v_fma_f64 v[86:87], v[64:65], v[98:99], -v[108:109]
	v_fma_f64 v[108:109], v[60:61], v[96:97], v[110:111]
	v_fma_f64 v[110:111], v[60:61], v[98:99], -v[112:113]
	;; [unrolled: 2-line block ×4, first 2 shown]
	v_add_co_u32 v136, s1, v102, s9
	s_delay_alu instid0(VALU_DEP_1) | instskip(SKIP_2) | instid1(VALU_DEP_1)
	v_add_co_ci_u32_e64 v137, s1, s8, v103, s1
	ds_load_b128 v[100:103], v147 offset:512
	v_add_co_u32 v167, s1, v136, s4
	v_add_co_ci_u32_e64 v168, s1, s5, v137, s1
	s_delay_alu instid0(VALU_DEP_2) | instskip(NEXT) | instid1(VALU_DEP_1)
	v_add_co_u32 v175, s1, v167, s4
	v_add_co_ci_u32_e64 v176, s1, s5, v168, s1
	ds_store_b128 v148, v[84:87]
	ds_load_b128 v[112:115], v147 offset:528
	ds_store_b128 v148, v[108:111] offset:1072
	ds_load_b128 v[108:111], v147 offset:544
	ds_store_b128 v148, v[151:154] offset:2144
	;; [unrolled: 2-line block ×3, first 2 shown]
	s_waitcnt lgkmcnt(0)
	s_barrier
	buffer_gl0_inv
	ds_load_b128 v[151:154], v146
	ds_load_b128 v[155:158], v146 offset:16
	ds_load_b128 v[159:162], v146 offset:32
	;; [unrolled: 1-line block ×3, first 2 shown]
	s_waitcnt lgkmcnt(0)
	s_barrier
	buffer_gl0_inv
	global_load_b128 v[88:91], v[136:137], off
	v_add_f64 v[136:137], v[169:170], v[116:117]
	v_add_f64 v[169:170], v[171:172], v[118:119]
	ds_load_b128 v[116:119], v143
	global_load_b128 v[84:87], v[167:168], off
	global_load_b128 v[92:95], v[175:176], off
	v_add_f64 v[171:172], v[120:121], v[128:129]
	v_add_f64 v[167:168], v[136:137], v[104:105]
	;; [unrolled: 1-line block ×3, first 2 shown]
	v_add_co_u32 v136, s1, v175, s4
	s_delay_alu instid0(VALU_DEP_1)
	v_add_co_ci_u32_e64 v137, s1, s5, v176, s1
	s_waitcnt vmcnt(2) lgkmcnt(0)
	v_mul_f64 v[104:105], v[90:91], v[118:119]
	v_mul_f64 v[106:107], v[90:91], v[116:117]
	s_waitcnt vmcnt(1)
	v_mul_f64 v[124:125], v[86:87], v[118:119]
	s_waitcnt vmcnt(0)
	v_mul_f64 v[128:129], v[94:95], v[118:119]
	v_mul_f64 v[130:131], v[94:95], v[116:117]
	;; [unrolled: 1-line block ×3, first 2 shown]
	v_fma_f64 v[120:121], v[88:89], v[116:117], v[104:105]
	v_fma_f64 v[122:123], v[88:89], v[118:119], -v[106:107]
	global_load_b128 v[104:107], v[136:137], off
	v_fma_f64 v[124:125], v[84:85], v[116:117], v[124:125]
	v_fma_f64 v[175:176], v[92:93], v[116:117], v[128:129]
	v_fma_f64 v[177:178], v[92:93], v[118:119], -v[130:131]
	v_fma_f64 v[126:127], v[84:85], v[118:119], -v[126:127]
	s_waitcnt vmcnt(0)
	v_mul_f64 v[128:129], v[106:107], v[118:119]
	v_mul_f64 v[130:131], v[106:107], v[116:117]
	s_delay_alu instid0(VALU_DEP_2) | instskip(NEXT) | instid1(VALU_DEP_2)
	v_fma_f64 v[179:180], v[104:105], v[116:117], v[128:129]
	v_fma_f64 v[181:182], v[104:105], v[118:119], -v[130:131]
	v_add_f64 v[116:117], v[151:152], 0
	v_add_f64 v[118:119], v[153:154], 0
	s_delay_alu instid0(VALU_DEP_2) | instskip(NEXT) | instid1(VALU_DEP_2)
	v_add_f64 v[155:156], v[116:117], v[155:156]
	v_add_f64 v[157:158], v[118:119], v[157:158]
	ds_load_b128 v[116:119], v147 offset:768
	ds_store_b128 v148, v[120:123]
	ds_load_b128 v[128:131], v147 offset:784
	ds_store_b128 v148, v[124:127] offset:1072
	ds_load_b128 v[124:127], v147 offset:800
	ds_store_b128 v148, v[175:178] offset:2144
	;; [unrolled: 2-line block ×3, first 2 shown]
	s_waitcnt lgkmcnt(0)
	s_barrier
	buffer_gl0_inv
	ds_load_b128 v[151:154], v146
	s_waitcnt lgkmcnt(0)
	v_add_f64 v[175:176], v[151:152], 0
	v_add_f64 v[177:178], v[153:154], 0
	ds_load_b128 v[151:154], v146 offset:16
	v_add_f64 v[155:156], v[155:156], v[159:160]
	v_add_f64 v[157:158], v[157:158], v[161:162]
	s_waitcnt lgkmcnt(0)
	v_add_f64 v[175:176], v[175:176], v[151:152]
	v_add_f64 v[177:178], v[177:178], v[153:154]
	ds_load_b128 v[151:154], v146 offset:32
	s_waitcnt lgkmcnt(0)
	v_add_f64 v[159:160], v[175:176], v[151:152]
	v_add_f64 v[161:162], v[177:178], v[153:154]
	;; [unrolled: 1-line block ×4, first 2 shown]
	ds_load_b128 v[155:158], v146 offset:48
	s_waitcnt lgkmcnt(0)
	s_barrier
	buffer_gl0_inv
	v_add_f64 v[155:156], v[159:160], v[155:156]
	v_add_f64 v[157:158], v[161:162], v[157:158]
	ds_store_b128 v149, v[167:170]
	ds_store_b128 v149, v[171:174] offset:256
	ds_store_b128 v149, v[151:154] offset:512
	;; [unrolled: 1-line block ×3, first 2 shown]
	s_waitcnt lgkmcnt(0)
	s_barrier
	buffer_gl0_inv
	s_and_saveexec_b32 s11, s0
	s_cbranch_execz .LBB28_128
; %bb.132:                              ;   in Loop: Header=BB28_129 Depth=1
	ds_load_b128 v[151:154], v144
	ds_load_b128 v[155:158], v144 offset:16
	v_add_nc_u32_e32 v134, s10, v150
	s_waitcnt lgkmcnt(0)
	v_add_f64 v[159:160], v[155:156], v[151:152]
	v_add_f64 v[161:162], v[157:158], v[153:154]
	ds_load_b128 v[151:154], v144 offset:32
	ds_load_b128 v[155:158], v144 offset:48
	s_waitcnt lgkmcnt(1)
	v_add_f64 v[151:152], v[159:160], v[151:152]
	v_add_f64 v[153:154], v[161:162], v[153:154]
	s_waitcnt lgkmcnt(0)
	s_delay_alu instid0(VALU_DEP_2) | instskip(NEXT) | instid1(VALU_DEP_2)
	v_add_f64 v[159:160], v[151:152], v[155:156]
	v_add_f64 v[161:162], v[153:154], v[157:158]
	ds_load_b128 v[151:154], v144 offset:64
	ds_load_b128 v[155:158], v144 offset:80
	s_waitcnt lgkmcnt(1)
	v_add_f64 v[151:152], v[159:160], v[151:152]
	v_add_f64 v[153:154], v[161:162], v[153:154]
	s_waitcnt lgkmcnt(0)
	s_delay_alu instid0(VALU_DEP_2) | instskip(NEXT) | instid1(VALU_DEP_2)
	;; [unrolled: 9-line block ×6, first 2 shown]
	v_add_f64 v[159:160], v[151:152], v[155:156]
	v_add_f64 v[161:162], v[153:154], v[157:158]
	ds_load_b128 v[151:154], v144 offset:224
	ds_load_b128 v[155:158], v145
	s_waitcnt lgkmcnt(1)
	v_add_f64 v[151:152], v[159:160], v[151:152]
	v_add_f64 v[153:154], v[161:162], v[153:154]
	s_waitcnt lgkmcnt(0)
	s_delay_alu instid0(VALU_DEP_2) | instskip(NEXT) | instid1(VALU_DEP_2)
	v_add_f64 v[151:152], v[151:152], v[155:156]
	v_add_f64 v[153:154], v[153:154], v[157:158]
	v_lshlrev_b64 v[155:156], 4, v[134:135]
	s_delay_alu instid0(VALU_DEP_1) | instskip(NEXT) | instid1(VALU_DEP_1)
	v_add_co_u32 v155, s1, s6, v155
	v_add_co_ci_u32_e64 v156, s1, s7, v156, s1
	global_store_b128 v[155:156], v[151:154], off
	s_branch .LBB28_128
.LBB28_133:
	v_mad_u32_u24 v4, 0x430, v138, v139
	s_or_b32 s0, s2, vcc_lo
	s_delay_alu instid0(SALU_CYCLE_1)
	s_xor_b32 s0, s0, -1
	ds_store_b128 v4, v[0:3]
	s_waitcnt lgkmcnt(0)
	s_barrier
	buffer_gl0_inv
	s_and_saveexec_b32 s1, s0
	s_cbranch_execz .LBB28_135
; %bb.134:
	ds_load_b128 v[0:3], v139 offset:1072
	ds_load_b128 v[4:7], v139
	s_waitcnt lgkmcnt(0)
	v_add_f64 v[8:9], v[0:1], v[4:5]
	v_add_f64 v[10:11], v[2:3], v[6:7]
	ds_load_b128 v[0:3], v139 offset:2144
	ds_load_b128 v[4:7], v139 offset:3216
	s_waitcnt lgkmcnt(1)
	v_add_f64 v[0:1], v[8:9], v[0:1]
	v_add_f64 v[2:3], v[10:11], v[2:3]
	s_waitcnt lgkmcnt(0)
	s_delay_alu instid0(VALU_DEP_2) | instskip(NEXT) | instid1(VALU_DEP_2)
	v_add_f64 v[0:1], v[0:1], v[4:5]
	v_add_f64 v[2:3], v[2:3], v[6:7]
	v_lshlrev_b64 v[4:5], 4, v[132:133]
	s_delay_alu instid0(VALU_DEP_1) | instskip(NEXT) | instid1(VALU_DEP_2)
	v_add_co_u32 v4, vcc_lo, s6, v4
	v_add_co_ci_u32_e32 v5, vcc_lo, s7, v5, vcc_lo
	global_store_b128 v[4:5], v[0:3], off
.LBB28_135:
	s_nop 0
	s_sendmsg sendmsg(MSG_DEALLOC_VGPRS)
	s_endpgm
	.section	.rodata,"a",@progbits
	.p2align	6, 0x0
	.amdhsa_kernel _ZL26rocblas_hemvn_kernel_lowerILb1ELi64ELi4ELi33ELi32ELi16El19rocblas_complex_numIdEPKS1_PS1_EviT6_lT7_lT5_lS6_lS7_lS5_lT8_i
		.amdhsa_group_segment_fixed_size 19200
		.amdhsa_private_segment_fixed_size 0
		.amdhsa_kernarg_size 392
		.amdhsa_user_sgpr_count 14
		.amdhsa_user_sgpr_dispatch_ptr 0
		.amdhsa_user_sgpr_queue_ptr 0
		.amdhsa_user_sgpr_kernarg_segment_ptr 1
		.amdhsa_user_sgpr_dispatch_id 0
		.amdhsa_user_sgpr_private_segment_size 0
		.amdhsa_wavefront_size32 1
		.amdhsa_uses_dynamic_stack 0
		.amdhsa_enable_private_segment 0
		.amdhsa_system_sgpr_workgroup_id_x 1
		.amdhsa_system_sgpr_workgroup_id_y 0
		.amdhsa_system_sgpr_workgroup_id_z 1
		.amdhsa_system_sgpr_workgroup_info 0
		.amdhsa_system_vgpr_workitem_id 1
		.amdhsa_next_free_vgpr 183
		.amdhsa_next_free_sgpr 32
		.amdhsa_reserve_vcc 1
		.amdhsa_float_round_mode_32 0
		.amdhsa_float_round_mode_16_64 0
		.amdhsa_float_denorm_mode_32 3
		.amdhsa_float_denorm_mode_16_64 3
		.amdhsa_dx10_clamp 1
		.amdhsa_ieee_mode 1
		.amdhsa_fp16_overflow 0
		.amdhsa_workgroup_processor_mode 1
		.amdhsa_memory_ordered 1
		.amdhsa_forward_progress 0
		.amdhsa_shared_vgpr_count 0
		.amdhsa_exception_fp_ieee_invalid_op 0
		.amdhsa_exception_fp_denorm_src 0
		.amdhsa_exception_fp_ieee_div_zero 0
		.amdhsa_exception_fp_ieee_overflow 0
		.amdhsa_exception_fp_ieee_underflow 0
		.amdhsa_exception_fp_ieee_inexact 0
		.amdhsa_exception_int_div_zero 0
	.end_amdhsa_kernel
	.section	.text._ZL26rocblas_hemvn_kernel_lowerILb1ELi64ELi4ELi33ELi32ELi16El19rocblas_complex_numIdEPKS1_PS1_EviT6_lT7_lT5_lS6_lS7_lS5_lT8_i,"axG",@progbits,_ZL26rocblas_hemvn_kernel_lowerILb1ELi64ELi4ELi33ELi32ELi16El19rocblas_complex_numIdEPKS1_PS1_EviT6_lT7_lT5_lS6_lS7_lS5_lT8_i,comdat
.Lfunc_end28:
	.size	_ZL26rocblas_hemvn_kernel_lowerILb1ELi64ELi4ELi33ELi32ELi16El19rocblas_complex_numIdEPKS1_PS1_EviT6_lT7_lT5_lS6_lS7_lS5_lT8_i, .Lfunc_end28-_ZL26rocblas_hemvn_kernel_lowerILb1ELi64ELi4ELi33ELi32ELi16El19rocblas_complex_numIdEPKS1_PS1_EviT6_lT7_lT5_lS6_lS7_lS5_lT8_i
                                        ; -- End function
	.section	.AMDGPU.csdata,"",@progbits
; Kernel info:
; codeLenInByte = 10956
; NumSgprs: 34
; NumVgprs: 183
; ScratchSize: 0
; MemoryBound: 0
; FloatMode: 240
; IeeeMode: 1
; LDSByteSize: 19200 bytes/workgroup (compile time only)
; SGPRBlocks: 4
; VGPRBlocks: 22
; NumSGPRsForWavesPerEU: 34
; NumVGPRsForWavesPerEU: 183
; Occupancy: 8
; WaveLimiterHint : 0
; COMPUTE_PGM_RSRC2:SCRATCH_EN: 0
; COMPUTE_PGM_RSRC2:USER_SGPR: 14
; COMPUTE_PGM_RSRC2:TRAP_HANDLER: 0
; COMPUTE_PGM_RSRC2:TGID_X_EN: 1
; COMPUTE_PGM_RSRC2:TGID_Y_EN: 0
; COMPUTE_PGM_RSRC2:TGID_Z_EN: 1
; COMPUTE_PGM_RSRC2:TIDIG_COMP_CNT: 1
	.section	.text._ZL36rocblas_hemvn_kernel_lower_block_sumILi64El19rocblas_complex_numIdEPS1_S1_EviT1_lS3_lT2_lT0_lPT3_i,"axG",@progbits,_ZL36rocblas_hemvn_kernel_lower_block_sumILi64El19rocblas_complex_numIdEPS1_S1_EviT1_lS3_lT2_lT0_lPT3_i,comdat
	.globl	_ZL36rocblas_hemvn_kernel_lower_block_sumILi64El19rocblas_complex_numIdEPS1_S1_EviT1_lS3_lT2_lT0_lPT3_i ; -- Begin function _ZL36rocblas_hemvn_kernel_lower_block_sumILi64El19rocblas_complex_numIdEPS1_S1_EviT1_lS3_lT2_lT0_lPT3_i
	.p2align	8
	.type	_ZL36rocblas_hemvn_kernel_lower_block_sumILi64El19rocblas_complex_numIdEPS1_S1_EviT1_lS3_lT2_lT0_lPT3_i,@function
_ZL36rocblas_hemvn_kernel_lower_block_sumILi64El19rocblas_complex_numIdEPS1_S1_EviT1_lS3_lT2_lT0_lPT3_i: ; @_ZL36rocblas_hemvn_kernel_lower_block_sumILi64El19rocblas_complex_numIdEPS1_S1_EviT1_lS3_lT2_lT0_lPT3_i
; %bb.0:
	s_clause 0x1
	s_load_b128 s[8:11], s[0:1], 0x8
	s_load_b128 s[4:7], s[0:1], 0x20
	s_waitcnt lgkmcnt(0)
	v_cmp_neq_f64_e64 s2, s[8:9], 0
	v_cmp_neq_f64_e64 s3, s[10:11], 0
	s_delay_alu instid0(VALU_DEP_1)
	s_or_b32 s2, s2, s3
	s_mov_b32 s3, -1
	s_and_b32 vcc_lo, exec_lo, s2
	s_cbranch_vccnz .LBB29_2
; %bb.1:
	v_cmp_neq_f64_e64 s3, s[4:5], 1.0
	v_cmp_neq_f64_e64 s12, s[6:7], 0
	s_delay_alu instid0(VALU_DEP_1)
	s_or_b32 s3, s3, s12
.LBB29_2:
	s_delay_alu instid0(SALU_CYCLE_1)
	s_and_not1_b32 vcc_lo, exec_lo, s3
	s_cbranch_vccnz .LBB29_22
; %bb.3:
	s_clause 0x3
	s_load_b64 s[20:21], s[0:1], 0x50
	s_load_b64 s[22:23], s[0:1], 0x38
	s_load_b128 s[16:19], s[0:1], 0x40
	s_load_b32 s12, s[0:1], 0x0
	s_xor_b32 s13, s2, -1
	v_lshl_or_b32 v4, s14, 6, v0
	s_waitcnt lgkmcnt(0)
	s_mul_i32 s3, s15, s21
	s_mul_hi_u32 s21, s15, s20
	s_mul_i32 s2, s15, s20
	s_add_i32 s3, s21, s3
	s_delay_alu instid0(SALU_CYCLE_1) | instskip(NEXT) | instid1(SALU_CYCLE_1)
	s_lshl_b64 s[2:3], s[2:3], 4
	s_add_u32 s20, s22, s2
	s_addc_u32 s21, s23, s3
	s_lshl_b64 s[16:17], s[16:17], 4
	v_cmp_gt_i32_e64 s2, s12, v4
	s_add_u32 s3, s20, s16
	s_addc_u32 s16, s21, s17
	s_and_not1_b32 vcc_lo, exec_lo, s13
	s_mov_b32 s17, 0
	s_cbranch_vccnz .LBB29_8
; %bb.4:
	s_mov_b32 s13, 0
                                        ; implicit-def: $vgpr2_vgpr3
                                        ; implicit-def: $vgpr5_vgpr6
	s_and_saveexec_b32 s20, s2
	s_cbranch_execz .LBB29_9
; %bb.5:
	v_cmp_neq_f64_e64 s2, s[4:5], 0
	v_cmp_neq_f64_e64 s17, s[6:7], 0
	v_ashrrev_i32_e32 v0, 31, v4
	v_mul_lo_u32 v1, v4, s19
	v_mad_u64_u32 v[5:6], null, v4, s18, 0
	v_mov_b32_e32 v2, 0
	s_delay_alu instid0(VALU_DEP_4) | instskip(SKIP_1) | instid1(VALU_DEP_2)
	v_mul_lo_u32 v0, v0, s18
	v_mov_b32_e32 v3, 0
	v_add3_u32 v6, v6, v1, v0
	s_delay_alu instid0(VALU_DEP_2) | instskip(SKIP_1) | instid1(SALU_CYCLE_1)
	v_dual_mov_b32 v0, v2 :: v_dual_mov_b32 v1, v3
	s_or_b32 s2, s2, s17
	s_and_not1_b32 vcc_lo, exec_lo, s2
	s_cbranch_vccnz .LBB29_7
; %bb.6:
	v_lshlrev_b64 v[0:1], 4, v[5:6]
	s_delay_alu instid0(VALU_DEP_1) | instskip(NEXT) | instid1(VALU_DEP_2)
	v_add_co_u32 v0, vcc_lo, s3, v0
	v_add_co_ci_u32_e32 v1, vcc_lo, s16, v1, vcc_lo
	global_load_b128 v[7:10], v[0:1], off
	s_waitcnt vmcnt(0)
	v_mul_f64 v[0:1], s[6:7], v[9:10]
	v_mul_f64 v[2:3], s[4:5], v[9:10]
	s_delay_alu instid0(VALU_DEP_2) | instskip(NEXT) | instid1(VALU_DEP_2)
	v_fma_f64 v[0:1], s[4:5], v[7:8], -v[0:1]
	v_fma_f64 v[2:3], s[6:7], v[7:8], v[2:3]
.LBB29_7:
	s_mov_b32 s17, exec_lo
	s_or_b32 exec_lo, exec_lo, s20
	s_delay_alu instid0(SALU_CYCLE_1)
	s_and_b32 vcc_lo, exec_lo, s13
	s_cbranch_vccnz .LBB29_10
	s_branch .LBB29_20
.LBB29_8:
                                        ; implicit-def: $vgpr2_vgpr3
                                        ; implicit-def: $vgpr5_vgpr6
	s_cbranch_execnz .LBB29_10
	s_branch .LBB29_20
.LBB29_9:
	s_or_b32 exec_lo, exec_lo, s20
	s_delay_alu instid0(SALU_CYCLE_1)
	s_and_b32 vcc_lo, exec_lo, s13
	s_cbranch_vccz .LBB29_20
.LBB29_10:
	s_mov_b32 s2, exec_lo
                                        ; implicit-def: $vgpr2_vgpr3
                                        ; implicit-def: $vgpr5_vgpr6
	v_cmpx_gt_i32_e64 s12, v4
	s_cbranch_execz .LBB29_19
; %bb.11:
	s_load_b32 s20, s[0:1], 0x68
	v_mov_b32_e32 v0, 0
	v_mov_b32_e32 v1, 0
	s_delay_alu instid0(VALU_DEP_1)
	v_dual_mov_b32 v3, v1 :: v_dual_mov_b32 v2, v0
	s_waitcnt lgkmcnt(0)
	s_cmp_ge_i32 s14, s20
	s_cbranch_scc1 .LBB29_14
; %bb.12:
	s_load_b64 s[0:1], s[0:1], 0x58
	v_mad_u64_u32 v[0:1], null, s14, s12, v[4:5]
	s_ashr_i32 s13, s12, 31
	s_mul_hi_u32 s21, s12, s15
	s_mul_i32 s22, s13, s15
	s_mul_i32 s15, s12, s15
	s_add_i32 s21, s21, s22
	s_mul_hi_u32 s23, s15, s20
	s_delay_alu instid0(VALU_DEP_1) | instskip(SKIP_3) | instid1(VALU_DEP_1)
	v_ashrrev_i32_e32 v1, 31, v0
	s_mul_i32 s21, s21, s20
	s_mul_i32 s22, s15, s20
	s_add_i32 s23, s23, s21
	v_lshlrev_b64 v[2:3], 4, v[0:1]
	s_lshl_b64 s[22:23], s[22:23], 4
	v_mov_b32_e32 v0, 0
	v_mov_b32_e32 v1, 0
	s_waitcnt lgkmcnt(0)
	s_add_u32 s0, s0, s22
	s_addc_u32 s1, s1, s23
	v_add_co_u32 v2, vcc_lo, s0, v2
	v_add_co_ci_u32_e32 v3, vcc_lo, s1, v3, vcc_lo
	s_lshl_b64 s[0:1], s[12:13], 4
	s_delay_alu instid0(VALU_DEP_2) | instskip(NEXT) | instid1(VALU_DEP_2)
	v_add_co_u32 v5, vcc_lo, v2, 8
	v_add_co_ci_u32_e32 v6, vcc_lo, 0, v3, vcc_lo
	v_dual_mov_b32 v3, v1 :: v_dual_mov_b32 v2, v0
.LBB29_13:                              ; =>This Inner Loop Header: Depth=1
	global_load_b128 v[7:10], v[5:6], off offset:-8
	v_add_co_u32 v5, vcc_lo, v5, s0
	v_add_co_ci_u32_e32 v6, vcc_lo, s1, v6, vcc_lo
	s_add_i32 s14, s14, 1
	s_delay_alu instid0(SALU_CYCLE_1)
	s_cmp_ge_i32 s14, s20
	s_waitcnt vmcnt(0)
	v_add_f64 v[2:3], v[2:3], v[7:8]
	v_add_f64 v[0:1], v[0:1], v[9:10]
	s_cbranch_scc0 .LBB29_13
.LBB29_14:
	s_delay_alu instid0(VALU_DEP_1) | instskip(SKIP_3) | instid1(VALU_DEP_4)
	v_mul_f64 v[5:6], s[10:11], v[0:1]
	v_mul_f64 v[7:8], s[8:9], v[0:1]
	v_cmp_neq_f64_e64 s0, s[4:5], 0
	v_cmp_neq_f64_e64 s1, s[6:7], 0
	v_fma_f64 v[0:1], s[8:9], v[2:3], -v[5:6]
	s_delay_alu instid0(VALU_DEP_4) | instskip(SKIP_3) | instid1(SALU_CYCLE_1)
	v_fma_f64 v[2:3], s[10:11], v[2:3], v[7:8]
	v_ashrrev_i32_e32 v5, 31, v4
	v_mul_lo_u32 v7, v4, s19
	s_or_b32 s0, s0, s1
	s_and_not1_b32 vcc_lo, exec_lo, s0
	s_delay_alu instid0(VALU_DEP_2)
	v_mul_lo_u32 v8, v5, s18
	s_cbranch_vccz .LBB29_16
; %bb.15:
	v_mad_u64_u32 v[5:6], null, v4, s18, 0
	s_delay_alu instid0(VALU_DEP_1)
	v_add3_u32 v6, v6, v7, v8
	s_cbranch_execz .LBB29_17
	s_branch .LBB29_18
.LBB29_16:
                                        ; implicit-def: $vgpr5_vgpr6
.LBB29_17:
	v_mad_u64_u32 v[5:6], null, v4, s18, 0
	s_delay_alu instid0(VALU_DEP_1) | instskip(NEXT) | instid1(VALU_DEP_1)
	v_add3_u32 v6, v6, v7, v8
	v_lshlrev_b64 v[7:8], 4, v[5:6]
	s_delay_alu instid0(VALU_DEP_1) | instskip(NEXT) | instid1(VALU_DEP_2)
	v_add_co_u32 v7, vcc_lo, s3, v7
	v_add_co_ci_u32_e32 v8, vcc_lo, s16, v8, vcc_lo
	global_load_b128 v[7:10], v[7:8], off
	s_waitcnt vmcnt(0)
	v_mul_f64 v[11:12], s[6:7], v[9:10]
	v_mul_f64 v[9:10], s[4:5], v[9:10]
	s_delay_alu instid0(VALU_DEP_2) | instskip(NEXT) | instid1(VALU_DEP_2)
	v_fma_f64 v[11:12], s[4:5], v[7:8], -v[11:12]
	v_fma_f64 v[7:8], s[6:7], v[7:8], v[9:10]
	s_delay_alu instid0(VALU_DEP_2) | instskip(NEXT) | instid1(VALU_DEP_2)
	v_add_f64 v[0:1], v[0:1], v[11:12]
	v_add_f64 v[2:3], v[2:3], v[7:8]
.LBB29_18:
	s_or_b32 s17, s17, exec_lo
.LBB29_19:
	s_or_b32 exec_lo, exec_lo, s2
.LBB29_20:
	s_and_saveexec_b32 s0, s17
	s_cbranch_execz .LBB29_22
; %bb.21:
	v_lshlrev_b64 v[4:5], 4, v[5:6]
	s_delay_alu instid0(VALU_DEP_1) | instskip(NEXT) | instid1(VALU_DEP_2)
	v_add_co_u32 v4, vcc_lo, s3, v4
	v_add_co_ci_u32_e32 v5, vcc_lo, s16, v5, vcc_lo
	global_store_b128 v[4:5], v[0:3], off
.LBB29_22:
	s_nop 0
	s_sendmsg sendmsg(MSG_DEALLOC_VGPRS)
	s_endpgm
	.section	.rodata,"a",@progbits
	.p2align	6, 0x0
	.amdhsa_kernel _ZL36rocblas_hemvn_kernel_lower_block_sumILi64El19rocblas_complex_numIdEPS1_S1_EviT1_lS3_lT2_lT0_lPT3_i
		.amdhsa_group_segment_fixed_size 0
		.amdhsa_private_segment_fixed_size 0
		.amdhsa_kernarg_size 360
		.amdhsa_user_sgpr_count 14
		.amdhsa_user_sgpr_dispatch_ptr 0
		.amdhsa_user_sgpr_queue_ptr 0
		.amdhsa_user_sgpr_kernarg_segment_ptr 1
		.amdhsa_user_sgpr_dispatch_id 0
		.amdhsa_user_sgpr_private_segment_size 0
		.amdhsa_wavefront_size32 1
		.amdhsa_uses_dynamic_stack 0
		.amdhsa_enable_private_segment 0
		.amdhsa_system_sgpr_workgroup_id_x 1
		.amdhsa_system_sgpr_workgroup_id_y 0
		.amdhsa_system_sgpr_workgroup_id_z 1
		.amdhsa_system_sgpr_workgroup_info 0
		.amdhsa_system_vgpr_workitem_id 0
		.amdhsa_next_free_vgpr 13
		.amdhsa_next_free_sgpr 24
		.amdhsa_reserve_vcc 1
		.amdhsa_float_round_mode_32 0
		.amdhsa_float_round_mode_16_64 0
		.amdhsa_float_denorm_mode_32 3
		.amdhsa_float_denorm_mode_16_64 3
		.amdhsa_dx10_clamp 1
		.amdhsa_ieee_mode 1
		.amdhsa_fp16_overflow 0
		.amdhsa_workgroup_processor_mode 1
		.amdhsa_memory_ordered 1
		.amdhsa_forward_progress 0
		.amdhsa_shared_vgpr_count 0
		.amdhsa_exception_fp_ieee_invalid_op 0
		.amdhsa_exception_fp_denorm_src 0
		.amdhsa_exception_fp_ieee_div_zero 0
		.amdhsa_exception_fp_ieee_overflow 0
		.amdhsa_exception_fp_ieee_underflow 0
		.amdhsa_exception_fp_ieee_inexact 0
		.amdhsa_exception_int_div_zero 0
	.end_amdhsa_kernel
	.section	.text._ZL36rocblas_hemvn_kernel_lower_block_sumILi64El19rocblas_complex_numIdEPS1_S1_EviT1_lS3_lT2_lT0_lPT3_i,"axG",@progbits,_ZL36rocblas_hemvn_kernel_lower_block_sumILi64El19rocblas_complex_numIdEPS1_S1_EviT1_lS3_lT2_lT0_lPT3_i,comdat
.Lfunc_end29:
	.size	_ZL36rocblas_hemvn_kernel_lower_block_sumILi64El19rocblas_complex_numIdEPS1_S1_EviT1_lS3_lT2_lT0_lPT3_i, .Lfunc_end29-_ZL36rocblas_hemvn_kernel_lower_block_sumILi64El19rocblas_complex_numIdEPS1_S1_EviT1_lS3_lT2_lT0_lPT3_i
                                        ; -- End function
	.section	.AMDGPU.csdata,"",@progbits
; Kernel info:
; codeLenInByte = 968
; NumSgprs: 26
; NumVgprs: 13
; ScratchSize: 0
; MemoryBound: 0
; FloatMode: 240
; IeeeMode: 1
; LDSByteSize: 0 bytes/workgroup (compile time only)
; SGPRBlocks: 3
; VGPRBlocks: 1
; NumSGPRsForWavesPerEU: 26
; NumVGPRsForWavesPerEU: 13
; Occupancy: 16
; WaveLimiterHint : 0
; COMPUTE_PGM_RSRC2:SCRATCH_EN: 0
; COMPUTE_PGM_RSRC2:USER_SGPR: 14
; COMPUTE_PGM_RSRC2:TRAP_HANDLER: 0
; COMPUTE_PGM_RSRC2:TGID_X_EN: 1
; COMPUTE_PGM_RSRC2:TGID_Y_EN: 0
; COMPUTE_PGM_RSRC2:TGID_Z_EN: 1
; COMPUTE_PGM_RSRC2:TIDIG_COMP_CNT: 0
	.section	.text._ZL26rocblas_hemvn_kernel_lowerILb1ELi64ELi4ELi33ELi32ELi16Ei19rocblas_complex_numIdEPKS1_PS1_EviT6_lT7_lT5_lS6_lS7_lS5_lT8_i,"axG",@progbits,_ZL26rocblas_hemvn_kernel_lowerILb1ELi64ELi4ELi33ELi32ELi16Ei19rocblas_complex_numIdEPKS1_PS1_EviT6_lT7_lT5_lS6_lS7_lS5_lT8_i,comdat
	.globl	_ZL26rocblas_hemvn_kernel_lowerILb1ELi64ELi4ELi33ELi32ELi16Ei19rocblas_complex_numIdEPKS1_PS1_EviT6_lT7_lT5_lS6_lS7_lS5_lT8_i ; -- Begin function _ZL26rocblas_hemvn_kernel_lowerILb1ELi64ELi4ELi33ELi32ELi16Ei19rocblas_complex_numIdEPKS1_PS1_EviT6_lT7_lT5_lS6_lS7_lS5_lT8_i
	.p2align	8
	.type	_ZL26rocblas_hemvn_kernel_lowerILb1ELi64ELi4ELi33ELi32ELi16Ei19rocblas_complex_numIdEPKS1_PS1_EviT6_lT7_lT5_lS6_lS7_lS5_lT8_i,@function
_ZL26rocblas_hemvn_kernel_lowerILb1ELi64ELi4ELi33ELi32ELi16Ei19rocblas_complex_numIdEPKS1_PS1_EviT6_lT7_lT5_lS6_lS7_lS5_lT8_i: ; @_ZL26rocblas_hemvn_kernel_lowerILb1ELi64ELi4ELi33ELi32ELi16Ei19rocblas_complex_numIdEPKS1_PS1_EviT6_lT7_lT5_lS6_lS7_lS5_lT8_i
; %bb.0:
	s_load_b64 s[4:5], s[0:1], 0x94
	s_add_u32 s2, s0, 0x88
	s_addc_u32 s3, s1, 0
	s_waitcnt lgkmcnt(0)
	s_lshr_b32 s6, s4, 16
	s_and_b32 s4, s4, 0xffff
	s_and_b32 s5, s5, 0xffff
	s_mul_i32 s4, s6, s4
	s_delay_alu instid0(SALU_CYCLE_1) | instskip(NEXT) | instid1(SALU_CYCLE_1)
	s_mul_i32 s4, s4, s5
	s_cmpk_lg_i32 s4, 0x100
	s_cbranch_scc1 .LBB30_135
; %bb.1:
	s_load_b128 s[4:7], s[0:1], 0x8
	s_waitcnt lgkmcnt(0)
	v_cmp_neq_f64_e64 s12, s[4:5], 0
	v_cmp_neq_f64_e64 s6, s[6:7], 0
	s_clause 0x1
	s_load_b128 s[8:11], s[0:1], 0x58
	s_load_b64 s[4:5], s[0:1], 0x68
	s_mov_b32 s7, -1
	s_delay_alu instid0(VALU_DEP_1) | instskip(NEXT) | instid1(SALU_CYCLE_1)
	s_or_b32 s6, s12, s6
	s_and_b32 vcc_lo, exec_lo, s6
	s_cbranch_vccnz .LBB30_3
; %bb.2:
	s_waitcnt lgkmcnt(0)
	v_cmp_neq_f64_e64 s7, s[10:11], 1.0
	v_cmp_neq_f64_e64 s4, s[4:5], 0
	s_delay_alu instid0(VALU_DEP_1)
	s_or_b32 s7, s7, s4
.LBB30_3:
	s_delay_alu instid0(SALU_CYCLE_1)
	s_and_not1_b32 vcc_lo, exec_lo, s7
	s_cbranch_vccnz .LBB30_135
; %bb.4:
	s_and_not1_b32 vcc_lo, exec_lo, s6
	s_cbranch_vccnz .LBB30_135
; %bb.5:
	s_waitcnt lgkmcnt(0)
	s_clause 0x2
	s_load_b128 s[4:7], s[0:1], 0x38
	s_load_b64 s[10:11], s[0:1], 0x48
	s_load_b32 s24, s[0:1], 0x50
	s_mul_i32 s9, s15, s9
	s_mul_hi_u32 s12, s15, s8
	s_mul_i32 s8, s15, s8
	s_add_i32 s9, s12, s9
	v_and_b32_e32 v42, 0x3ff, v0
	s_lshl_b64 s[8:9], s[8:9], 4
	s_load_b32 s25, s[0:1], 0x0
	s_load_b32 s26, s[2:3], 0x0
	v_bfe_u32 v149, v0, 10, 10
	s_waitcnt lgkmcnt(0)
	s_add_u32 s8, s6, s8
	s_addc_u32 s9, s7, s9
	s_lshl_b64 s[6:7], s[10:11], 4
	s_delay_alu instid0(SALU_CYCLE_1) | instskip(SKIP_2) | instid1(SALU_CYCLE_1)
	s_add_u32 s6, s8, s6
	s_addc_u32 s7, s9, s7
	s_lshl_b32 s16, s14, 6
	v_add_nc_u32_e32 v144, s16, v42
	s_ashr_i32 s27, s25, 31
	s_add_i32 s8, s26, -1
	s_lshr_b32 s2, s27, 26
	s_delay_alu instid0(VALU_DEP_1) | instskip(SKIP_3) | instid1(SALU_CYCLE_1)
	v_mul_lo_u32 v1, v144, s24
	s_add_i32 s3, s25, s2
	v_cmp_ne_u32_e64 s2, 0, v149
	s_and_not1_b32 s3, s3, 63
	s_sub_i32 s9, s25, s3
	v_cmp_eq_u32_e64 s3, 0, v149
	s_cmp_eq_u32 s14, s8
	s_delay_alu instid0(VALU_DEP_3) | instskip(SKIP_1) | instid1(VALU_DEP_1)
	v_ashrrev_i32_e32 v2, 31, v1
	s_cselect_b32 s10, s9, 0
	v_lshlrev_b64 v[0:1], 4, v[1:2]
	s_delay_alu instid0(VALU_DEP_1) | instskip(NEXT) | instid1(VALU_DEP_2)
	v_add_co_u32 v36, vcc_lo, s6, v0
	v_add_co_ci_u32_e32 v37, vcc_lo, s7, v1, vcc_lo
	s_mov_b32 s6, -1
	s_and_saveexec_b32 s7, s3
	s_cbranch_execz .LBB30_10
; %bb.6:
	v_cmp_le_i32_e32 vcc_lo, s10, v42
	s_cmp_lg_u32 s10, 0
	v_lshl_add_u32 v0, v42, 4, 0x4700
	s_cselect_b32 s8, -1, 0
	s_delay_alu instid0(SALU_CYCLE_1) | instskip(NEXT) | instid1(SALU_CYCLE_1)
	s_and_b32 s8, s8, vcc_lo
	s_and_saveexec_b32 s9, s8
	s_delay_alu instid0(SALU_CYCLE_1)
	s_xor_b32 s8, exec_lo, s9
	s_cbranch_execz .LBB30_8
; %bb.7:
	v_mov_b32_e32 v1, 0
	s_delay_alu instid0(VALU_DEP_1)
	v_mov_b32_e32 v2, v1
	v_mov_b32_e32 v3, v1
	;; [unrolled: 1-line block ×3, first 2 shown]
	ds_store_b128 v0, v[1:4]
                                        ; implicit-def: $vgpr0
.LBB30_8:
	s_and_not1_saveexec_b32 s8, s8
	s_cbranch_execz .LBB30_10
; %bb.9:
	global_load_b128 v[1:4], v[36:37], off
	s_waitcnt vmcnt(0)
	ds_store_2addr_b64 v0, v[1:2], v[3:4] offset1:1
.LBB30_10:
	s_or_b32 exec_lo, exec_lo, s7
	s_clause 0x1
	s_load_b128 s[20:23], s[0:1], 0x20
	s_load_b32 s12, s[0:1], 0x30
	v_lshl_add_u32 v43, v149, 6, v42
	v_and_b32_e32 v4, 31, v42
	s_mul_i32 s5, s15, s5
	s_mul_hi_u32 s7, s15, s4
	s_mul_i32 s4, s15, s4
	v_lshrrev_b32_e32 v9, 5, v43
	s_add_i32 s5, s7, s5
	s_delay_alu instid0(SALU_CYCLE_1)
	s_lshl_b64 s[4:5], s[4:5], 4
	s_waitcnt lgkmcnt(0)
	s_add_u32 s7, s20, s4
	v_mad_u64_u32 v[0:1], null, v9, s12, v[4:5]
	s_addc_u32 s8, s21, s5
	s_lshl_b64 s[4:5], s[22:23], 4
	s_delay_alu instid0(SALU_CYCLE_1) | instskip(SKIP_2) | instid1(VALU_DEP_1)
	s_add_u32 s7, s7, s4
	s_addc_u32 s9, s8, s5
	s_ashr_i32 s17, s16, 31
	v_ashrrev_i32_e32 v1, 31, v0
	s_lshl_b64 s[4:5], s[16:17], 4
	s_mul_i32 s8, s16, s12
	s_add_u32 s4, s7, s4
	s_addc_u32 s5, s9, s5
	s_ashr_i32 s9, s8, 31
	v_lshlrev_b64 v[38:39], 4, v[0:1]
	s_lshl_b64 s[18:19], s[8:9], 4
	s_delay_alu instid0(SALU_CYCLE_1) | instskip(SKIP_2) | instid1(VALU_DEP_1)
	s_add_u32 s4, s18, s4
	s_addc_u32 s5, s19, s5
	s_cmp_lg_u32 s10, 0
	v_add_co_u32 v5, vcc_lo, s4, v38
	v_add_co_ci_u32_e32 v6, vcc_lo, s5, v39, vcc_lo
	s_cselect_b32 s17, -1, 0
	s_cmp_eq_u32 s10, 0
	s_cselect_b32 s9, -1, 0
	s_and_b32 vcc_lo, exec_lo, s17
	s_cbranch_vccnz .LBB30_12
; %bb.11:
	s_lshl_b32 s4, s12, 3
	s_ashr_i32 s13, s12, 31
	s_ashr_i32 s5, s4, 31
	s_mov_b32 s6, 0
	s_lshl_b64 s[4:5], s[4:5], 4
	s_delay_alu instid0(SALU_CYCLE_1)
	v_add_co_u32 v7, vcc_lo, v5, s4
	v_add_co_ci_u32_e32 v8, vcc_lo, s5, v6, vcc_lo
	s_lshl_b64 s[4:5], s[12:13], 7
	s_delay_alu instid0(VALU_DEP_2) | instid1(SALU_CYCLE_1)
	v_add_co_u32 v14, vcc_lo, v7, s4
	s_delay_alu instid0(VALU_DEP_2) | instskip(NEXT) | instid1(VALU_DEP_2)
	v_add_co_ci_u32_e32 v15, vcc_lo, s5, v8, vcc_lo
	v_add_co_u32 v18, vcc_lo, v14, s4
	s_delay_alu instid0(VALU_DEP_2)
	v_add_co_ci_u32_e32 v19, vcc_lo, s5, v15, vcc_lo
	s_clause 0x1
	global_load_b128 v[0:3], v[5:6], off
	global_load_b128 v[10:13], v[7:8], off
	;; [unrolled: 1-line block ×4, first 2 shown]
	v_mul_u32_u24_e32 v7, 33, v9
	s_delay_alu instid0(VALU_DEP_1) | instskip(NEXT) | instid1(VALU_DEP_1)
	v_add_lshl_u32 v7, v7, v4, 4
	v_add_nc_u32_e32 v22, 0x2100, v7
	v_add_nc_u32_e32 v8, 0x1080, v7
	v_add_nc_u32_e32 v23, 0x3180, v7
	s_waitcnt vmcnt(3)
	ds_store_2addr_b64 v7, v[0:1], v[2:3] offset1:1
	s_waitcnt vmcnt(2)
	ds_store_2addr_b64 v8, v[10:11], v[12:13] offset1:1
	;; [unrolled: 2-line block ×4, first 2 shown]
.LBB30_12:
	s_and_not1_b32 vcc_lo, exec_lo, s6
	s_cbranch_vccnz .LBB30_30
; %bb.13:
	v_lshlrev_b32_e32 v2, 4, v4
	s_ashr_i32 s11, s10, 31
	v_mul_u32_u24_e32 v3, 33, v9
	s_lshl_b64 s[6:7], s[10:11], 4
	v_cmp_le_i32_e64 s4, s10, v9
	v_sub_co_u32 v0, vcc_lo, v5, v2
	v_subrev_co_ci_u32_e32 v1, vcc_lo, 0, v6, vcc_lo
	v_add_lshl_u32 v3, v3, v4, 4
	s_delay_alu instid0(VALU_DEP_3) | instskip(NEXT) | instid1(VALU_DEP_3)
	v_add_co_u32 v0, vcc_lo, v0, s6
	v_add_co_ci_u32_e32 v1, vcc_lo, s7, v1, vcc_lo
	s_delay_alu instid0(VALU_DEP_2) | instskip(NEXT) | instid1(VALU_DEP_2)
	v_add_co_u32 v0, vcc_lo, v0, -16
	v_add_co_ci_u32_e32 v1, vcc_lo, -1, v1, vcc_lo
	v_cmp_gt_i32_e32 vcc_lo, s10, v4
	s_delay_alu instid0(VALU_DEP_2) | instskip(SKIP_1) | instid1(SALU_CYCLE_1)
	v_dual_cndmask_b32 v1, v1, v6 :: v_dual_cndmask_b32 v0, v0, v5
	s_and_saveexec_b32 s5, s4
	s_xor_b32 s4, exec_lo, s5
	s_cbranch_execz .LBB30_15
; %bb.14:
	v_mov_b32_e32 v10, 0
	s_delay_alu instid0(VALU_DEP_1)
	v_mov_b32_e32 v11, v10
	v_mov_b32_e32 v12, v10
	;; [unrolled: 1-line block ×3, first 2 shown]
	ds_store_b128 v3, v[10:13]
.LBB30_15:
	s_and_not1_saveexec_b32 s4, s4
	s_cbranch_execz .LBB30_17
; %bb.16:
	global_load_b128 v[10:13], v[0:1], off
	s_waitcnt vmcnt(0)
	ds_store_2addr_b64 v3, v[10:11], v[12:13] offset1:1
.LBB30_17:
	s_or_b32 exec_lo, exec_lo, s4
	v_add_nc_u32_e32 v7, 8, v9
	s_delay_alu instid0(VALU_DEP_1) | instskip(NEXT) | instid1(VALU_DEP_1)
	v_cmp_le_i32_e64 s4, s10, v7
	s_and_saveexec_b32 s5, s4
	s_delay_alu instid0(SALU_CYCLE_1)
	s_xor_b32 s4, exec_lo, s5
	s_cbranch_execz .LBB30_19
; %bb.18:
	v_mul_u32_u24_e32 v7, 33, v7
	v_mov_b32_e32 v10, 0
	s_delay_alu instid0(VALU_DEP_2) | instskip(NEXT) | instid1(VALU_DEP_2)
	v_add_lshl_u32 v7, v7, v4, 4
	v_mov_b32_e32 v11, v10
	v_mov_b32_e32 v12, v10
	;; [unrolled: 1-line block ×3, first 2 shown]
	ds_store_b128 v7, v[10:13]
.LBB30_19:
	s_and_not1_saveexec_b32 s5, s4
	s_cbranch_execz .LBB30_21
; %bb.20:
	s_lshl_b32 s20, s12, 3
	s_delay_alu instid0(SALU_CYCLE_1) | instskip(NEXT) | instid1(SALU_CYCLE_1)
	s_ashr_i32 s21, s20, 31
	s_lshl_b64 s[20:21], s[20:21], 4
	s_delay_alu instid0(SALU_CYCLE_1) | instskip(NEXT) | instid1(VALU_DEP_1)
	v_add_co_u32 v7, s4, v0, s20
	v_add_co_ci_u32_e64 v8, s4, s21, v1, s4
	global_load_b128 v[10:13], v[7:8], off
	v_add_nc_u32_e32 v7, 0x1080, v3
	s_waitcnt vmcnt(0)
	ds_store_2addr_b64 v7, v[10:11], v[12:13] offset1:1
.LBB30_21:
	s_or_b32 exec_lo, exec_lo, s5
	v_add_nc_u32_e32 v7, 16, v9
	s_delay_alu instid0(VALU_DEP_1) | instskip(NEXT) | instid1(VALU_DEP_1)
	v_cmp_le_i32_e64 s4, s10, v7
	s_and_saveexec_b32 s5, s4
	s_delay_alu instid0(SALU_CYCLE_1)
	s_xor_b32 s4, exec_lo, s5
	s_cbranch_execz .LBB30_23
; %bb.22:
	v_mul_u32_u24_e32 v7, 33, v7
	v_mov_b32_e32 v10, 0
	s_delay_alu instid0(VALU_DEP_2) | instskip(NEXT) | instid1(VALU_DEP_2)
	v_add_lshl_u32 v7, v7, v4, 4
	v_mov_b32_e32 v11, v10
	v_mov_b32_e32 v12, v10
	;; [unrolled: 1-line block ×3, first 2 shown]
	ds_store_b128 v7, v[10:13]
.LBB30_23:
	s_and_not1_saveexec_b32 s5, s4
	s_cbranch_execz .LBB30_25
; %bb.24:
	s_lshl_b32 s20, s12, 4
	s_delay_alu instid0(SALU_CYCLE_1) | instskip(NEXT) | instid1(SALU_CYCLE_1)
	s_ashr_i32 s21, s20, 31
	s_lshl_b64 s[20:21], s[20:21], 4
	s_delay_alu instid0(SALU_CYCLE_1) | instskip(NEXT) | instid1(VALU_DEP_1)
	v_add_co_u32 v7, s4, v0, s20
	v_add_co_ci_u32_e64 v8, s4, s21, v1, s4
	global_load_b128 v[10:13], v[7:8], off
	v_add_nc_u32_e32 v7, 0x2100, v3
	s_waitcnt vmcnt(0)
	ds_store_2addr_b64 v7, v[10:11], v[12:13] offset1:1
.LBB30_25:
	s_or_b32 exec_lo, exec_lo, s5
	v_add_nc_u32_e32 v7, 24, v9
	s_delay_alu instid0(VALU_DEP_1) | instskip(NEXT) | instid1(VALU_DEP_1)
	v_cmp_le_i32_e64 s4, s10, v7
	s_and_saveexec_b32 s5, s4
	s_delay_alu instid0(SALU_CYCLE_1)
	s_xor_b32 s4, exec_lo, s5
	s_cbranch_execz .LBB30_27
; %bb.26:
	v_mov_b32_e32 v10, 0
	s_delay_alu instid0(VALU_DEP_1)
	v_mov_b32_e32 v11, v10
	v_mov_b32_e32 v12, v10
	;; [unrolled: 1-line block ×3, first 2 shown]
	ds_store_b128 v3, v[10:13] offset:12672
                                        ; implicit-def: $vgpr3
.LBB30_27:
	s_and_not1_saveexec_b32 s5, s4
	s_cbranch_execz .LBB30_29
; %bb.28:
	s_mul_i32 s20, s12, 24
	v_add_nc_u32_e32 v3, 0x3180, v3
	s_ashr_i32 s21, s20, 31
	s_delay_alu instid0(SALU_CYCLE_1) | instskip(NEXT) | instid1(SALU_CYCLE_1)
	s_lshl_b64 s[20:21], s[20:21], 4
	v_add_co_u32 v7, s4, v0, s20
	s_delay_alu instid0(VALU_DEP_1)
	v_add_co_ci_u32_e64 v8, s4, s21, v1, s4
	global_load_b128 v[10:13], v[7:8], off
	s_waitcnt vmcnt(0)
	ds_store_2addr_b64 v3, v[10:11], v[12:13] offset1:1
.LBB30_29:
	s_or_b32 exec_lo, exec_lo, s5
	v_add_co_u32 v0, s4, v0, v2
	s_delay_alu instid0(VALU_DEP_1) | instskip(NEXT) | instid1(VALU_DEP_2)
	v_add_co_ci_u32_e64 v1, s4, 0, v1, s4
	v_sub_co_u32 v0, s4, v0, s6
	s_delay_alu instid0(VALU_DEP_1) | instskip(NEXT) | instid1(VALU_DEP_2)
	v_subrev_co_ci_u32_e64 v1, s4, s7, v1, s4
	v_add_co_u32 v0, s4, v0, 16
	s_delay_alu instid0(VALU_DEP_1) | instskip(NEXT) | instid1(VALU_DEP_1)
	v_add_co_ci_u32_e64 v1, s4, 0, v1, s4
	v_dual_cndmask_b32 v5, v0, v5 :: v_dual_cndmask_b32 v6, v1, v6
.LBB30_30:
	v_lshlrev_b32_e32 v11, 2, v9
	s_waitcnt lgkmcnt(0)
	s_barrier
	buffer_gl0_inv
	v_cmp_ge_u32_e64 s5, v11, v4
	s_delay_alu instid0(VALU_DEP_1) | instskip(NEXT) | instid1(SALU_CYCLE_1)
	s_and_saveexec_b32 s4, s5
	s_xor_b32 s4, exec_lo, s4
	s_cbranch_execz .LBB30_34
; %bb.31:
	s_mov_b32 s6, exec_lo
	v_cmpx_eq_u32_e64 v11, v4
	s_cbranch_execz .LBB30_33
; %bb.32:
	v_mul_u32_u24_e32 v1, 34, v4
	v_mov_b32_e32 v0, 0
	s_delay_alu instid0(VALU_DEP_1)
	v_dual_mov_b32 v1, v0 :: v_dual_lshlrev_b32 v2, 4, v1
	ds_store_b64 v2, v[0:1] offset:8
.LBB30_33:
	s_or_b32 exec_lo, exec_lo, s6
.LBB30_34:
	s_or_saveexec_b32 s4, s4
	v_mul_u32_u24_e32 v44, 33, v4
	v_mul_u32_u24_e32 v0, 0x84, v9
	s_delay_alu instid0(VALU_DEP_2)
	v_add_lshl_u32 v12, v11, v44, 4
	s_xor_b32 exec_lo, exec_lo, s4
	s_cbranch_execz .LBB30_36
; %bb.35:
	s_delay_alu instid0(VALU_DEP_2)
	v_add_lshl_u32 v1, v0, v4, 4
	ds_load_b128 v[13:16], v1
	s_waitcnt lgkmcnt(0)
	v_xor_b32_e32 v16, 0x80000000, v16
	ds_store_b128 v12, v[13:16]
.LBB30_36:
	s_or_b32 exec_lo, exec_lo, s4
	v_or_b32_e32 v14, 1, v11
	s_delay_alu instid0(VALU_DEP_1) | instskip(NEXT) | instid1(VALU_DEP_1)
	v_cmp_ge_u32_e64 s6, v14, v4
	s_and_saveexec_b32 s4, s6
	s_delay_alu instid0(SALU_CYCLE_1)
	s_xor_b32 s4, exec_lo, s4
	s_cbranch_execz .LBB30_40
; %bb.37:
	s_mov_b32 s7, exec_lo
	v_cmpx_eq_u32_e64 v14, v4
	s_cbranch_execz .LBB30_39
; %bb.38:
	v_mul_u32_u24_e32 v2, 34, v4
	v_mov_b32_e32 v1, 0
	s_delay_alu instid0(VALU_DEP_1)
	v_dual_mov_b32 v2, v1 :: v_dual_lshlrev_b32 v3, 4, v2
	ds_store_b64 v3, v[1:2] offset:8
.LBB30_39:
	s_or_b32 exec_lo, exec_lo, s7
.LBB30_40:
	s_or_saveexec_b32 s4, s4
	v_mul_u32_u24_e32 v1, 33, v14
	s_xor_b32 exec_lo, exec_lo, s4
	s_cbranch_execz .LBB30_42
; %bb.41:
	s_delay_alu instid0(VALU_DEP_1)
	v_add_lshl_u32 v2, v1, v4, 4
	ds_load_b128 v[15:18], v2
	s_waitcnt lgkmcnt(0)
	v_xor_b32_e32 v18, 0x80000000, v18
	ds_store_b128 v12, v[15:18] offset:16
.LBB30_42:
	s_or_b32 exec_lo, exec_lo, s4
	v_or_b32_e32 v15, 2, v11
	s_delay_alu instid0(VALU_DEP_1) | instskip(NEXT) | instid1(VALU_DEP_1)
	v_cmp_ge_u32_e64 s7, v15, v4
	s_and_saveexec_b32 s4, s7
	s_delay_alu instid0(SALU_CYCLE_1)
	s_xor_b32 s4, exec_lo, s4
	s_cbranch_execz .LBB30_46
; %bb.43:
	s_mov_b32 s8, exec_lo
	v_cmpx_eq_u32_e64 v15, v4
	s_cbranch_execz .LBB30_45
; %bb.44:
	v_mul_u32_u24_e32 v3, 34, v4
	s_delay_alu instid0(VALU_DEP_1) | instskip(NEXT) | instid1(VALU_DEP_1)
	v_dual_mov_b32 v2, 0 :: v_dual_lshlrev_b32 v7, 4, v3
	v_mov_b32_e32 v3, v2
	ds_store_b64 v7, v[2:3] offset:8
.LBB30_45:
	s_or_b32 exec_lo, exec_lo, s8
.LBB30_46:
	s_and_not1_saveexec_b32 s4, s4
	s_cbranch_execz .LBB30_48
; %bb.47:
	v_mul_u32_u24_e32 v2, 33, v15
	s_delay_alu instid0(VALU_DEP_1)
	v_add_lshl_u32 v2, v2, v4, 4
	ds_load_b128 v[16:19], v2
	s_waitcnt lgkmcnt(0)
	v_xor_b32_e32 v19, 0x80000000, v19
	ds_store_b128 v12, v[16:19] offset:32
.LBB30_48:
	s_or_b32 exec_lo, exec_lo, s4
	v_or_b32_e32 v17, 3, v11
	s_delay_alu instid0(VALU_DEP_1) | instskip(NEXT) | instid1(VALU_DEP_1)
	v_cmp_ge_u32_e64 s8, v17, v4
	s_and_saveexec_b32 s4, s8
	s_delay_alu instid0(SALU_CYCLE_1)
	s_xor_b32 s4, exec_lo, s4
	s_cbranch_execz .LBB30_52
; %bb.49:
	s_mov_b32 s11, exec_lo
	v_cmpx_eq_u32_e64 v17, v4
	s_cbranch_execz .LBB30_51
; %bb.50:
	v_mul_u32_u24_e32 v3, 34, v4
	s_delay_alu instid0(VALU_DEP_1) | instskip(NEXT) | instid1(VALU_DEP_1)
	v_dual_mov_b32 v2, 0 :: v_dual_lshlrev_b32 v7, 4, v3
	v_mov_b32_e32 v3, v2
	ds_store_b64 v7, v[2:3] offset:8
.LBB30_51:
	s_or_b32 exec_lo, exec_lo, s11
.LBB30_52:
	s_and_not1_saveexec_b32 s4, s4
	s_cbranch_execz .LBB30_54
; %bb.53:
	v_mul_u32_u24_e32 v2, 33, v17
	s_delay_alu instid0(VALU_DEP_1)
	v_add_lshl_u32 v2, v2, v4, 4
	ds_load_b128 v[18:21], v2
	s_waitcnt lgkmcnt(0)
	v_xor_b32_e32 v21, 0x80000000, v21
	ds_store_b128 v12, v[18:21] offset:48
.LBB30_54:
	s_or_b32 exec_lo, exec_lo, s4
	v_add_lshl_u32 v16, v0, v4, 4
	v_lshlrev_b32_e32 v13, 4, v11
	s_waitcnt lgkmcnt(0)
	s_barrier
	buffer_gl0_inv
	ds_load_b128 v[18:21], v16
	ds_load_b128 v[22:25], v13 offset:18176
	v_add_lshl_u32 v10, v1, v4, 4
	ds_load_b128 v[0:3], v13 offset:18192
	ds_load_b128 v[26:29], v10
	v_cmp_gt_u32_e64 s4, 32, v43
	s_waitcnt lgkmcnt(2)
	v_mul_f64 v[7:8], v[24:25], v[20:21]
	v_mul_f64 v[20:21], v[22:23], v[20:21]
	s_waitcnt lgkmcnt(0)
	v_mul_f64 v[40:41], v[2:3], v[28:29]
	v_mul_f64 v[45:46], v[0:1], v[28:29]
	s_delay_alu instid0(VALU_DEP_4) | instskip(NEXT) | instid1(VALU_DEP_4)
	v_fma_f64 v[7:8], v[22:23], v[18:19], -v[7:8]
	v_fma_f64 v[47:48], v[24:25], v[18:19], v[20:21]
	ds_load_b128 v[18:21], v10 offset:528
	ds_load_b128 v[22:25], v13 offset:18208
	;; [unrolled: 1-line block ×4, first 2 shown]
	s_waitcnt lgkmcnt(0)
	s_barrier
	v_fma_f64 v[0:1], v[0:1], v[26:27], -v[40:41]
	v_fma_f64 v[2:3], v[2:3], v[26:27], v[45:46]
	v_add_lshl_u32 v45, v9, v44, 4
	buffer_gl0_inv
	v_mul_f64 v[49:50], v[24:25], v[20:21]
	v_mul_f64 v[20:21], v[22:23], v[20:21]
	;; [unrolled: 1-line block ×4, first 2 shown]
	v_add_f64 v[7:8], v[7:8], 0
	v_add_f64 v[26:27], v[47:48], 0
	v_fma_f64 v[22:23], v[22:23], v[18:19], -v[49:50]
	v_fma_f64 v[18:19], v[24:25], v[18:19], v[20:21]
	v_fma_f64 v[20:21], v[30:31], v[32:33], v[34:35]
	v_add_f64 v[0:1], v[7:8], v[0:1]
	v_add_f64 v[2:3], v[26:27], v[2:3]
	v_fma_f64 v[7:8], v[28:29], v[32:33], -v[40:41]
	s_delay_alu instid0(VALU_DEP_3) | instskip(NEXT) | instid1(VALU_DEP_3)
	v_add_f64 v[0:1], v[0:1], v[22:23]
	v_add_f64 v[2:3], v[2:3], v[18:19]
	s_delay_alu instid0(VALU_DEP_2) | instskip(SKIP_1) | instid1(VALU_DEP_3)
	v_add_f64 v[18:19], v[0:1], v[7:8]
	v_mov_b32_e32 v0, 0
	v_add_f64 v[20:21], v[2:3], v[20:21]
	v_mov_b32_e32 v1, 0
	s_delay_alu instid0(VALU_DEP_1)
	v_dual_mov_b32 v3, v1 :: v_dual_mov_b32 v2, v0
	ds_store_b128 v45, v[18:21]
	s_waitcnt lgkmcnt(0)
	s_barrier
	buffer_gl0_inv
	s_and_saveexec_b32 s11, s4
	s_cbranch_execz .LBB30_56
; %bb.55:
	v_lshlrev_b32_e32 v24, 4, v44
	ds_load_b128 v[0:3], v24
	ds_load_b128 v[18:21], v24 offset:16
	s_waitcnt lgkmcnt(0)
	v_add_f64 v[7:8], v[18:19], v[0:1]
	v_add_f64 v[22:23], v[20:21], v[2:3]
	ds_load_b128 v[0:3], v24 offset:32
	ds_load_b128 v[18:21], v24 offset:48
	s_waitcnt lgkmcnt(1)
	v_add_f64 v[0:1], v[7:8], v[0:1]
	v_add_f64 v[2:3], v[22:23], v[2:3]
	s_waitcnt lgkmcnt(0)
	s_delay_alu instid0(VALU_DEP_2) | instskip(NEXT) | instid1(VALU_DEP_2)
	v_add_f64 v[7:8], v[0:1], v[18:19]
	v_add_f64 v[22:23], v[2:3], v[20:21]
	ds_load_b128 v[0:3], v24 offset:64
	ds_load_b128 v[18:21], v24 offset:80
	s_waitcnt lgkmcnt(1)
	v_add_f64 v[0:1], v[7:8], v[0:1]
	v_add_f64 v[2:3], v[22:23], v[2:3]
	s_waitcnt lgkmcnt(0)
	s_delay_alu instid0(VALU_DEP_2) | instskip(NEXT) | instid1(VALU_DEP_2)
	;; [unrolled: 9-line block ×3, first 2 shown]
	v_add_f64 v[0:1], v[0:1], v[18:19]
	v_add_f64 v[2:3], v[2:3], v[20:21]
.LBB30_56:
	s_or_b32 exec_lo, exec_lo, s11
	s_lshl_b32 s20, s12, 5
	v_cndmask_b32_e64 v18, 0, 1, s9
	s_ashr_i32 s21, s20, 31
	s_delay_alu instid0(SALU_CYCLE_1)
	s_lshl_b64 s[20:21], s[20:21], 4
	s_barrier
	v_add_co_u32 v7, vcc_lo, v5, s20
	v_add_co_ci_u32_e32 v8, vcc_lo, s21, v6, vcc_lo
	buffer_gl0_inv
	v_add_co_u32 v5, vcc_lo, 0x200, v7
	v_add_co_ci_u32_e32 v6, vcc_lo, 0, v8, vcc_lo
	s_and_not1_b32 vcc_lo, exec_lo, s9
	s_cbranch_vccnz .LBB30_58
; %bb.57:
	s_lshl_b32 s22, s12, 3
	s_ashr_i32 s13, s12, 31
	s_ashr_i32 s23, s22, 31
	s_delay_alu instid0(SALU_CYCLE_1) | instskip(NEXT) | instid1(SALU_CYCLE_1)
	s_lshl_b64 s[22:23], s[22:23], 4
	v_add_co_u32 v7, vcc_lo, v7, s22
	v_add_co_ci_u32_e32 v8, vcc_lo, s23, v8, vcc_lo
	s_lshl_b64 s[22:23], s[12:13], 7
	s_delay_alu instid0(VALU_DEP_2) | instid1(SALU_CYCLE_1)
	v_add_co_u32 v27, vcc_lo, v7, s22
	s_delay_alu instid0(VALU_DEP_2) | instskip(NEXT) | instid1(VALU_DEP_2)
	v_add_co_ci_u32_e32 v28, vcc_lo, s23, v8, vcc_lo
	v_add_co_u32 v31, vcc_lo, v27, s22
	s_delay_alu instid0(VALU_DEP_2)
	v_add_co_ci_u32_e32 v32, vcc_lo, s23, v28, vcc_lo
	s_clause 0x3
	global_load_b128 v[19:22], v[5:6], off
	global_load_b128 v[23:26], v[7:8], off offset:512
	global_load_b128 v[27:30], v[27:28], off offset:512
	;; [unrolled: 1-line block ×3, first 2 shown]
	v_mul_u32_u24_e32 v7, 33, v9
	s_delay_alu instid0(VALU_DEP_1) | instskip(NEXT) | instid1(VALU_DEP_1)
	v_add_lshl_u32 v7, v7, v4, 4
	v_add_nc_u32_e32 v35, 0x2100, v7
	v_add_nc_u32_e32 v8, 0x1080, v7
	;; [unrolled: 1-line block ×3, first 2 shown]
	s_waitcnt vmcnt(3)
	ds_store_2addr_b64 v7, v[19:20], v[21:22] offset1:1
	s_waitcnt vmcnt(2)
	ds_store_2addr_b64 v8, v[23:24], v[25:26] offset1:1
	;; [unrolled: 2-line block ×4, first 2 shown]
	s_cbranch_execz .LBB30_59
	s_branch .LBB30_76
.LBB30_58:
.LBB30_59:
	v_lshlrev_b32_e32 v19, 4, v4
	s_ashr_i32 s11, s10, 31
	v_or_b32_e32 v20, 32, v4
	s_lshl_b64 s[22:23], s[10:11], 4
	s_sub_i32 s11, s10, 32
	v_sub_co_u32 v7, vcc_lo, v5, v19
	v_subrev_co_ci_u32_e32 v8, vcc_lo, 0, v6, vcc_lo
	v_cmp_le_i32_e64 s9, s11, v9
	s_delay_alu instid0(VALU_DEP_3) | instskip(NEXT) | instid1(VALU_DEP_3)
	v_add_co_u32 v7, vcc_lo, v7, s22
	v_add_co_ci_u32_e32 v8, vcc_lo, s23, v8, vcc_lo
	s_delay_alu instid0(VALU_DEP_2) | instskip(NEXT) | instid1(VALU_DEP_2)
	v_add_co_u32 v7, vcc_lo, 0xfffffdf0, v7
	v_add_co_ci_u32_e32 v8, vcc_lo, -1, v8, vcc_lo
	v_cmp_gt_i32_e32 vcc_lo, s10, v20
	v_mul_u32_u24_e32 v20, 33, v9
	s_delay_alu instid0(VALU_DEP_3) | instskip(NEXT) | instid1(VALU_DEP_2)
	v_dual_cndmask_b32 v8, v8, v6 :: v_dual_cndmask_b32 v7, v7, v5
	v_add_lshl_u32 v20, v20, v4, 4
	s_and_saveexec_b32 s13, s9
	s_delay_alu instid0(SALU_CYCLE_1)
	s_xor_b32 s9, exec_lo, s13
	s_cbranch_execz .LBB30_61
; %bb.60:
	v_mov_b32_e32 v21, 0
	s_delay_alu instid0(VALU_DEP_1)
	v_mov_b32_e32 v22, v21
	v_mov_b32_e32 v23, v21
	;; [unrolled: 1-line block ×3, first 2 shown]
	ds_store_b128 v20, v[21:24]
.LBB30_61:
	s_and_not1_saveexec_b32 s9, s9
	s_cbranch_execz .LBB30_63
; %bb.62:
	global_load_b128 v[21:24], v[7:8], off
	s_waitcnt vmcnt(0)
	ds_store_2addr_b64 v20, v[21:22], v[23:24] offset1:1
.LBB30_63:
	s_or_b32 exec_lo, exec_lo, s9
	v_add_nc_u32_e32 v21, 8, v9
	s_delay_alu instid0(VALU_DEP_1) | instskip(NEXT) | instid1(VALU_DEP_1)
	v_cmp_le_i32_e64 s9, s11, v21
	s_and_saveexec_b32 s13, s9
	s_delay_alu instid0(SALU_CYCLE_1)
	s_xor_b32 s9, exec_lo, s13
	s_cbranch_execz .LBB30_65
; %bb.64:
	v_mul_u32_u24_e32 v22, 33, v21
	v_mov_b32_e32 v21, 0
	s_delay_alu instid0(VALU_DEP_2) | instskip(NEXT) | instid1(VALU_DEP_2)
	v_add_lshl_u32 v25, v22, v4, 4
	v_mov_b32_e32 v22, v21
	v_mov_b32_e32 v23, v21
	;; [unrolled: 1-line block ×3, first 2 shown]
	ds_store_b128 v25, v[21:24]
.LBB30_65:
	s_and_not1_saveexec_b32 s13, s9
	s_cbranch_execz .LBB30_67
; %bb.66:
	s_lshl_b32 s28, s12, 3
	v_add_nc_u32_e32 v25, 0x1080, v20
	s_ashr_i32 s29, s28, 31
	s_delay_alu instid0(SALU_CYCLE_1) | instskip(NEXT) | instid1(SALU_CYCLE_1)
	s_lshl_b64 s[28:29], s[28:29], 4
	v_add_co_u32 v21, s9, v7, s28
	s_delay_alu instid0(VALU_DEP_1)
	v_add_co_ci_u32_e64 v22, s9, s29, v8, s9
	global_load_b128 v[21:24], v[21:22], off
	s_waitcnt vmcnt(0)
	ds_store_2addr_b64 v25, v[21:22], v[23:24] offset1:1
.LBB30_67:
	s_or_b32 exec_lo, exec_lo, s13
	v_add_nc_u32_e32 v21, 16, v9
	s_delay_alu instid0(VALU_DEP_1) | instskip(NEXT) | instid1(VALU_DEP_1)
	v_cmp_le_i32_e64 s9, s11, v21
	s_and_saveexec_b32 s13, s9
	s_delay_alu instid0(SALU_CYCLE_1)
	s_xor_b32 s9, exec_lo, s13
	s_cbranch_execz .LBB30_69
; %bb.68:
	v_mul_u32_u24_e32 v22, 33, v21
	v_mov_b32_e32 v21, 0
	s_delay_alu instid0(VALU_DEP_2) | instskip(NEXT) | instid1(VALU_DEP_2)
	v_add_lshl_u32 v25, v22, v4, 4
	v_mov_b32_e32 v22, v21
	v_mov_b32_e32 v23, v21
	;; [unrolled: 1-line block ×3, first 2 shown]
	ds_store_b128 v25, v[21:24]
.LBB30_69:
	s_and_not1_saveexec_b32 s13, s9
	s_cbranch_execz .LBB30_71
; %bb.70:
	s_lshl_b32 s28, s12, 4
	v_add_nc_u32_e32 v25, 0x2100, v20
	s_ashr_i32 s29, s28, 31
	s_delay_alu instid0(SALU_CYCLE_1) | instskip(NEXT) | instid1(SALU_CYCLE_1)
	s_lshl_b64 s[28:29], s[28:29], 4
	v_add_co_u32 v21, s9, v7, s28
	s_delay_alu instid0(VALU_DEP_1)
	v_add_co_ci_u32_e64 v22, s9, s29, v8, s9
	global_load_b128 v[21:24], v[21:22], off
	s_waitcnt vmcnt(0)
	ds_store_2addr_b64 v25, v[21:22], v[23:24] offset1:1
.LBB30_71:
	s_or_b32 exec_lo, exec_lo, s13
	v_add_nc_u32_e32 v21, 24, v9
	s_delay_alu instid0(VALU_DEP_1) | instskip(NEXT) | instid1(VALU_DEP_1)
	v_cmp_le_i32_e64 s9, s11, v21
	s_and_saveexec_b32 s11, s9
	s_delay_alu instid0(SALU_CYCLE_1)
	s_xor_b32 s9, exec_lo, s11
	s_cbranch_execz .LBB30_73
; %bb.72:
	v_mov_b32_e32 v21, 0
	s_delay_alu instid0(VALU_DEP_1)
	v_mov_b32_e32 v22, v21
	v_mov_b32_e32 v23, v21
	;; [unrolled: 1-line block ×3, first 2 shown]
	ds_store_b128 v20, v[21:24] offset:12672
                                        ; implicit-def: $vgpr20
.LBB30_73:
	s_and_not1_saveexec_b32 s11, s9
	s_cbranch_execz .LBB30_75
; %bb.74:
	s_mul_i32 s28, s12, 24
	v_add_nc_u32_e32 v20, 0x3180, v20
	s_ashr_i32 s29, s28, 31
	s_delay_alu instid0(SALU_CYCLE_1) | instskip(NEXT) | instid1(SALU_CYCLE_1)
	s_lshl_b64 s[28:29], s[28:29], 4
	v_add_co_u32 v21, s9, v7, s28
	s_delay_alu instid0(VALU_DEP_1)
	v_add_co_ci_u32_e64 v22, s9, s29, v8, s9
	global_load_b128 v[21:24], v[21:22], off
	s_waitcnt vmcnt(0)
	ds_store_2addr_b64 v20, v[21:22], v[23:24] offset1:1
.LBB30_75:
	s_or_b32 exec_lo, exec_lo, s11
	v_add_co_u32 v7, s9, v7, v19
	s_delay_alu instid0(VALU_DEP_1) | instskip(NEXT) | instid1(VALU_DEP_2)
	v_add_co_ci_u32_e64 v8, s9, 0, v8, s9
	v_sub_co_u32 v7, s9, v7, s22
	s_delay_alu instid0(VALU_DEP_1) | instskip(NEXT) | instid1(VALU_DEP_2)
	v_subrev_co_ci_u32_e64 v8, s9, s23, v8, s9
	v_add_co_u32 v7, s9, 0x210, v7
	s_delay_alu instid0(VALU_DEP_1) | instskip(NEXT) | instid1(VALU_DEP_1)
	v_add_co_ci_u32_e64 v8, s9, 0, v8, s9
	v_dual_cndmask_b32 v5, v7, v5 :: v_dual_cndmask_b32 v6, v8, v6
.LBB30_76:
	v_add_nc_u32_e32 v13, 0x4700, v13
	s_waitcnt lgkmcnt(0)
	s_barrier
	buffer_gl0_inv
	s_and_saveexec_b32 s9, s5
	s_delay_alu instid0(SALU_CYCLE_1)
	s_xor_b32 s5, exec_lo, s9
	s_cbranch_execnz .LBB30_89
; %bb.77:
	s_and_not1_saveexec_b32 s5, s5
	s_cbranch_execnz .LBB30_92
.LBB30_78:
	s_or_b32 exec_lo, exec_lo, s5
	s_and_saveexec_b32 s5, s6
	s_delay_alu instid0(SALU_CYCLE_1)
	s_xor_b32 s5, exec_lo, s5
	s_cbranch_execnz .LBB30_93
.LBB30_79:
	s_and_not1_saveexec_b32 s5, s5
	s_cbranch_execnz .LBB30_96
.LBB30_80:
	s_or_b32 exec_lo, exec_lo, s5
	s_and_saveexec_b32 s5, s7
	s_delay_alu instid0(SALU_CYCLE_1)
	s_xor_b32 s5, exec_lo, s5
	s_cbranch_execnz .LBB30_97
.LBB30_81:
	s_and_not1_saveexec_b32 s5, s5
	s_cbranch_execnz .LBB30_100
.LBB30_82:
	s_or_b32 exec_lo, exec_lo, s5
	s_and_saveexec_b32 s5, s8
	s_delay_alu instid0(SALU_CYCLE_1)
	s_xor_b32 s5, exec_lo, s5
	s_cbranch_execnz .LBB30_101
.LBB30_83:
	s_and_not1_saveexec_b32 s5, s5
	s_cbranch_execz .LBB30_85
.LBB30_84:
	ds_load_b128 v[19:22], v10 offset:1056
	s_waitcnt lgkmcnt(0)
	v_xor_b32_e32 v22, 0x80000000, v22
	ds_store_b128 v12, v[19:22] offset:48
.LBB30_85:
	s_or_b32 exec_lo, exec_lo, s5
	s_waitcnt lgkmcnt(0)
	s_barrier
	buffer_gl0_inv
	ds_load_b128 v[19:22], v13 offset:512
	ds_load_b128 v[14:17], v16
	ds_load_b128 v[23:26], v10
	ds_load_b128 v[27:30], v13 offset:528
	ds_load_b128 v[31:34], v13 offset:544
	v_cmp_eq_u32_e64 s5, 1, v9
	s_waitcnt lgkmcnt(1)
	v_mul_f64 v[40:41], v[29:30], v[25:26]
	v_mul_f64 v[7:8], v[21:22], v[16:17]
	;; [unrolled: 1-line block ×4, first 2 shown]
	s_delay_alu instid0(VALU_DEP_4) | instskip(NEXT) | instid1(VALU_DEP_4)
	v_fma_f64 v[27:28], v[27:28], v[23:24], -v[40:41]
	v_fma_f64 v[7:8], v[19:20], v[14:15], -v[7:8]
	s_delay_alu instid0(VALU_DEP_4)
	v_fma_f64 v[46:47], v[21:22], v[14:15], v[16:17]
	ds_load_b128 v[14:17], v10 offset:528
	ds_load_b128 v[19:22], v10 offset:1056
	v_fma_f64 v[29:30], v[29:30], v[23:24], v[25:26]
	ds_load_b128 v[23:26], v13 offset:560
	s_waitcnt lgkmcnt(0)
	s_barrier
	buffer_gl0_inv
	v_mul_f64 v[10:11], v[33:34], v[16:17]
	v_mul_f64 v[16:17], v[31:32], v[16:17]
	v_add_f64 v[7:8], v[7:8], 0
	v_add_f64 v[40:41], v[46:47], 0
	v_mul_f64 v[46:47], v[25:26], v[21:22]
	v_mul_f64 v[21:22], v[23:24], v[21:22]
	v_fma_f64 v[10:11], v[31:32], v[14:15], -v[10:11]
	v_fma_f64 v[14:15], v[33:34], v[14:15], v[16:17]
	v_add_f64 v[7:8], v[7:8], v[27:28]
	v_add_f64 v[16:17], v[40:41], v[29:30]
	v_fma_f64 v[23:24], v[23:24], v[19:20], -v[46:47]
	v_fma_f64 v[19:20], v[25:26], v[19:20], v[21:22]
	s_delay_alu instid0(VALU_DEP_4) | instskip(NEXT) | instid1(VALU_DEP_4)
	v_add_f64 v[7:8], v[7:8], v[10:11]
	v_add_f64 v[10:11], v[16:17], v[14:15]
	s_delay_alu instid0(VALU_DEP_2) | instskip(NEXT) | instid1(VALU_DEP_2)
	v_add_f64 v[14:15], v[7:8], v[23:24]
	v_add_f64 v[16:17], v[10:11], v[19:20]
	ds_store_b128 v45, v[14:17]
	s_waitcnt lgkmcnt(0)
	s_barrier
	buffer_gl0_inv
	s_and_saveexec_b32 s6, s5
	s_cbranch_execz .LBB30_87
; %bb.86:
	v_lshlrev_b32_e32 v19, 4, v44
	ds_load_b128 v[0:3], v19
	ds_load_b128 v[14:17], v19 offset:16
	s_waitcnt lgkmcnt(0)
	v_add_f64 v[7:8], v[14:15], v[0:1]
	v_add_f64 v[10:11], v[16:17], v[2:3]
	ds_load_b128 v[0:3], v19 offset:32
	ds_load_b128 v[14:17], v19 offset:48
	s_waitcnt lgkmcnt(1)
	v_add_f64 v[0:1], v[7:8], v[0:1]
	v_add_f64 v[2:3], v[10:11], v[2:3]
	s_waitcnt lgkmcnt(0)
	s_delay_alu instid0(VALU_DEP_2) | instskip(NEXT) | instid1(VALU_DEP_2)
	v_add_f64 v[7:8], v[0:1], v[14:15]
	v_add_f64 v[10:11], v[2:3], v[16:17]
	ds_load_b128 v[0:3], v19 offset:64
	ds_load_b128 v[14:17], v19 offset:80
	s_waitcnt lgkmcnt(1)
	v_add_f64 v[0:1], v[7:8], v[0:1]
	v_add_f64 v[2:3], v[10:11], v[2:3]
	s_waitcnt lgkmcnt(0)
	s_delay_alu instid0(VALU_DEP_2) | instskip(NEXT) | instid1(VALU_DEP_2)
	;; [unrolled: 9-line block ×3, first 2 shown]
	v_add_f64 v[0:1], v[0:1], v[14:15]
	v_add_f64 v[2:3], v[2:3], v[16:17]
.LBB30_87:
	s_or_b32 exec_lo, exec_lo, s6
	v_cmp_ne_u32_e32 vcc_lo, 1, v18
	v_sub_co_u32 v40, s6, v5, s20
	s_delay_alu instid0(VALU_DEP_1)
	v_subrev_co_ci_u32_e64 v41, s6, s21, v6, s6
	s_barrier
	buffer_gl0_inv
	s_cbranch_vccnz .LBB30_104
; %bb.88:
	s_lshl_b32 s6, s12, 3
	s_ashr_i32 s13, s12, 31
	s_ashr_i32 s7, s6, 31
	s_delay_alu instid0(SALU_CYCLE_1) | instskip(NEXT) | instid1(SALU_CYCLE_1)
	s_lshl_b64 s[6:7], s[6:7], 4
	v_add_co_u32 v5, vcc_lo, v40, s6
	v_add_co_ci_u32_e32 v6, vcc_lo, s7, v41, vcc_lo
	s_lshl_b64 s[6:7], s[12:13], 7
	s_delay_alu instid0(VALU_DEP_2) | instid1(SALU_CYCLE_1)
	v_add_co_u32 v7, vcc_lo, v5, s6
	s_delay_alu instid0(VALU_DEP_2) | instskip(NEXT) | instid1(VALU_DEP_2)
	v_add_co_ci_u32_e32 v8, vcc_lo, s7, v6, vcc_lo
	v_add_co_u32 v10, vcc_lo, v7, s6
	s_delay_alu instid0(VALU_DEP_2)
	v_add_co_ci_u32_e32 v11, vcc_lo, s7, v8, vcc_lo
	s_clause 0x3
	global_load_b128 v[15:18], v[40:41], off
	global_load_b128 v[19:22], v[5:6], off
	;; [unrolled: 1-line block ×4, first 2 shown]
	v_mad_u32_u24 v11, v9, 33, v4
	v_add_nc_u32_e32 v7, 8, v9
	v_add_nc_u32_e32 v8, 16, v9
	;; [unrolled: 1-line block ×3, first 2 shown]
	s_delay_alu instid0(VALU_DEP_4) | instskip(SKIP_3) | instid1(VALU_DEP_4)
	v_lshlrev_b32_e32 v31, 4, v11
	v_add_nc_u32_e32 v6, 0x108, v11
	v_add_nc_u32_e32 v5, 0x210, v11
	;; [unrolled: 1-line block ×6, first 2 shown]
	s_waitcnt vmcnt(3)
	ds_store_2addr_b64 v31, v[15:16], v[17:18] offset1:1
	s_waitcnt vmcnt(2)
	ds_store_2addr_b64 v32, v[19:20], v[21:22] offset1:1
	;; [unrolled: 2-line block ×4, first 2 shown]
	s_cbranch_execz .LBB30_105
	s_branch .LBB30_122
.LBB30_89:
	s_mov_b32 s9, exec_lo
	v_cmpx_eq_u32_e64 v11, v4
	s_cbranch_execz .LBB30_91
; %bb.90:
	v_mul_u32_u24_e32 v8, 34, v4
	v_mov_b32_e32 v7, 0
	s_delay_alu instid0(VALU_DEP_1)
	v_dual_mov_b32 v8, v7 :: v_dual_lshlrev_b32 v11, 4, v8
	ds_store_b64 v11, v[7:8] offset:8
.LBB30_91:
	s_or_b32 exec_lo, exec_lo, s9
	s_and_not1_saveexec_b32 s5, s5
	s_cbranch_execz .LBB30_78
.LBB30_92:
	ds_load_b128 v[19:22], v16
	s_waitcnt lgkmcnt(0)
	v_xor_b32_e32 v22, 0x80000000, v22
	ds_store_b128 v12, v[19:22]
	s_or_b32 exec_lo, exec_lo, s5
	s_and_saveexec_b32 s5, s6
	s_delay_alu instid0(SALU_CYCLE_1)
	s_xor_b32 s5, exec_lo, s5
	s_cbranch_execz .LBB30_79
.LBB30_93:
	s_mov_b32 s6, exec_lo
	v_cmpx_eq_u32_e64 v14, v4
	s_cbranch_execz .LBB30_95
; %bb.94:
	v_mul_u32_u24_e32 v8, 34, v4
	v_mov_b32_e32 v7, 0
	s_delay_alu instid0(VALU_DEP_1)
	v_dual_mov_b32 v8, v7 :: v_dual_lshlrev_b32 v11, 4, v8
	ds_store_b64 v11, v[7:8] offset:8
.LBB30_95:
	s_or_b32 exec_lo, exec_lo, s6
	s_and_not1_saveexec_b32 s5, s5
	s_cbranch_execz .LBB30_80
.LBB30_96:
	ds_load_b128 v[19:22], v10
	s_waitcnt lgkmcnt(0)
	v_xor_b32_e32 v22, 0x80000000, v22
	ds_store_b128 v12, v[19:22] offset:16
	s_or_b32 exec_lo, exec_lo, s5
	s_and_saveexec_b32 s5, s7
	s_delay_alu instid0(SALU_CYCLE_1)
	s_xor_b32 s5, exec_lo, s5
	s_cbranch_execz .LBB30_81
.LBB30_97:
	s_mov_b32 s6, exec_lo
	v_cmpx_eq_u32_e64 v15, v4
	s_cbranch_execz .LBB30_99
; %bb.98:
	v_mul_u32_u24_e32 v8, 34, v4
	v_mov_b32_e32 v7, 0
	s_delay_alu instid0(VALU_DEP_1)
	v_dual_mov_b32 v8, v7 :: v_dual_lshlrev_b32 v11, 4, v8
	ds_store_b64 v11, v[7:8] offset:8
.LBB30_99:
	s_or_b32 exec_lo, exec_lo, s6
	s_and_not1_saveexec_b32 s5, s5
	s_cbranch_execz .LBB30_82
.LBB30_100:
	ds_load_b128 v[19:22], v10 offset:528
	s_waitcnt lgkmcnt(0)
	v_xor_b32_e32 v22, 0x80000000, v22
	ds_store_b128 v12, v[19:22] offset:32
	s_or_b32 exec_lo, exec_lo, s5
	s_and_saveexec_b32 s5, s8
	s_delay_alu instid0(SALU_CYCLE_1)
	s_xor_b32 s5, exec_lo, s5
	s_cbranch_execz .LBB30_83
.LBB30_101:
	s_mov_b32 s6, exec_lo
	v_cmpx_eq_u32_e64 v17, v4
	s_cbranch_execz .LBB30_103
; %bb.102:
	v_mul_u32_u24_e32 v8, 34, v4
	v_mov_b32_e32 v7, 0
	s_delay_alu instid0(VALU_DEP_1)
	v_dual_mov_b32 v8, v7 :: v_dual_lshlrev_b32 v11, 4, v8
	ds_store_b64 v11, v[7:8] offset:8
.LBB30_103:
	s_or_b32 exec_lo, exec_lo, s6
	s_and_not1_saveexec_b32 s5, s5
	s_cbranch_execnz .LBB30_84
	s_branch .LBB30_85
.LBB30_104:
                                        ; implicit-def: $vgpr11
                                        ; implicit-def: $vgpr7
                                        ; implicit-def: $vgpr6
                                        ; implicit-def: $vgpr8
                                        ; implicit-def: $vgpr5
                                        ; implicit-def: $vgpr10
                                        ; implicit-def: $vgpr14
.LBB30_105:
	v_lshlrev_b32_e32 v15, 4, v4
	s_ashr_i32 s11, s10, 31
	v_or_b32_e32 v7, 32, v4
	s_lshl_b64 s[8:9], s[10:11], 4
	v_mad_u32_u24 v11, v9, 33, v4
	v_sub_co_u32 v5, vcc_lo, v40, v15
	v_subrev_co_ci_u32_e32 v6, vcc_lo, 0, v41, vcc_lo
	v_cmp_le_i32_e64 s6, s10, v9
	s_delay_alu instid0(VALU_DEP_3) | instskip(NEXT) | instid1(VALU_DEP_3)
	v_add_co_u32 v5, vcc_lo, v5, s8
	v_add_co_ci_u32_e32 v6, vcc_lo, s9, v6, vcc_lo
	v_lshlrev_b32_e32 v16, 4, v11
	s_delay_alu instid0(VALU_DEP_3) | instskip(NEXT) | instid1(VALU_DEP_3)
	v_add_co_u32 v5, vcc_lo, 0xfffffdf0, v5
	v_add_co_ci_u32_e32 v6, vcc_lo, -1, v6, vcc_lo
	v_cmp_gt_i32_e32 vcc_lo, s10, v7
	s_delay_alu instid0(VALU_DEP_2) | instskip(SKIP_1) | instid1(SALU_CYCLE_1)
	v_dual_cndmask_b32 v6, v6, v41 :: v_dual_cndmask_b32 v5, v5, v40
	s_and_saveexec_b32 s7, s6
	s_xor_b32 s6, exec_lo, s7
	s_cbranch_execz .LBB30_107
; %bb.106:
	v_mov_b32_e32 v17, 0
	s_delay_alu instid0(VALU_DEP_1)
	v_mov_b32_e32 v18, v17
	v_mov_b32_e32 v19, v17
	;; [unrolled: 1-line block ×3, first 2 shown]
	ds_store_b128 v16, v[17:20]
.LBB30_107:
	s_and_not1_saveexec_b32 s6, s6
	s_cbranch_execz .LBB30_109
; %bb.108:
	global_load_b128 v[17:20], v[5:6], off
	s_waitcnt vmcnt(0)
	ds_store_2addr_b64 v16, v[17:18], v[19:20] offset1:1
.LBB30_109:
	s_or_b32 exec_lo, exec_lo, s6
	v_add_nc_u32_e32 v7, 8, v9
	s_delay_alu instid0(VALU_DEP_1) | instskip(NEXT) | instid1(VALU_DEP_1)
	v_cmp_le_i32_e64 s6, s10, v7
	s_and_saveexec_b32 s7, s6
	s_delay_alu instid0(SALU_CYCLE_1)
	s_xor_b32 s6, exec_lo, s7
	s_cbranch_execz .LBB30_111
; %bb.110:
	v_mul_u32_u24_e32 v8, 33, v7
	v_mov_b32_e32 v17, 0
	s_delay_alu instid0(VALU_DEP_2) | instskip(NEXT) | instid1(VALU_DEP_2)
	v_add_lshl_u32 v8, v8, v4, 4
	v_mov_b32_e32 v18, v17
	v_mov_b32_e32 v19, v17
	;; [unrolled: 1-line block ×3, first 2 shown]
	ds_store_b128 v8, v[17:20]
.LBB30_111:
	s_and_not1_saveexec_b32 s7, s6
	s_cbranch_execz .LBB30_113
; %bb.112:
	s_lshl_b32 s20, s12, 3
	v_add_nc_u32_e32 v8, 0x1080, v16
	s_ashr_i32 s21, s20, 31
	s_delay_alu instid0(SALU_CYCLE_1) | instskip(NEXT) | instid1(SALU_CYCLE_1)
	s_lshl_b64 s[20:21], s[20:21], 4
	v_add_co_u32 v17, s6, v5, s20
	s_delay_alu instid0(VALU_DEP_1)
	v_add_co_ci_u32_e64 v18, s6, s21, v6, s6
	global_load_b128 v[17:20], v[17:18], off
	s_waitcnt vmcnt(0)
	ds_store_2addr_b64 v8, v[17:18], v[19:20] offset1:1
.LBB30_113:
	s_or_b32 exec_lo, exec_lo, s7
	v_add_nc_u32_e32 v8, 16, v9
	s_delay_alu instid0(VALU_DEP_1) | instskip(NEXT) | instid1(VALU_DEP_1)
	v_cmp_le_i32_e64 s6, s10, v8
	s_and_saveexec_b32 s7, s6
	s_delay_alu instid0(SALU_CYCLE_1)
	s_xor_b32 s6, exec_lo, s7
	s_cbranch_execz .LBB30_115
; %bb.114:
	v_mul_u32_u24_e32 v10, 33, v8
	v_mov_b32_e32 v17, 0
	s_delay_alu instid0(VALU_DEP_2) | instskip(NEXT) | instid1(VALU_DEP_2)
	v_add_lshl_u32 v10, v10, v4, 4
	v_mov_b32_e32 v18, v17
	v_mov_b32_e32 v19, v17
	v_mov_b32_e32 v20, v17
	ds_store_b128 v10, v[17:20]
.LBB30_115:
	s_and_not1_saveexec_b32 s7, s6
	s_cbranch_execz .LBB30_117
; %bb.116:
	s_lshl_b32 s20, s12, 4
	v_add_nc_u32_e32 v10, 0x2100, v16
	s_ashr_i32 s21, s20, 31
	s_delay_alu instid0(SALU_CYCLE_1) | instskip(NEXT) | instid1(SALU_CYCLE_1)
	s_lshl_b64 s[20:21], s[20:21], 4
	v_add_co_u32 v17, s6, v5, s20
	s_delay_alu instid0(VALU_DEP_1)
	v_add_co_ci_u32_e64 v18, s6, s21, v6, s6
	global_load_b128 v[17:20], v[17:18], off
	s_waitcnt vmcnt(0)
	ds_store_2addr_b64 v10, v[17:18], v[19:20] offset1:1
.LBB30_117:
	s_or_b32 exec_lo, exec_lo, s7
	v_add_nc_u32_e32 v10, 24, v9
                                        ; implicit-def: $vgpr14
	s_delay_alu instid0(VALU_DEP_1) | instskip(NEXT) | instid1(VALU_DEP_1)
	v_cmp_le_i32_e64 s6, s10, v10
	s_and_saveexec_b32 s7, s6
	s_delay_alu instid0(SALU_CYCLE_1)
	s_xor_b32 s6, exec_lo, s7
	s_cbranch_execz .LBB30_119
; %bb.118:
	v_mad_u32_u24 v14, v10, 33, v4
	v_mov_b32_e32 v16, 0
	s_delay_alu instid0(VALU_DEP_1)
	v_dual_mov_b32 v17, v16 :: v_dual_lshlrev_b32 v4, 4, v14
	v_mov_b32_e32 v18, v16
	v_mov_b32_e32 v19, v16
	ds_store_b128 v4, v[16:19]
                                        ; implicit-def: $vgpr16
.LBB30_119:
	s_and_not1_saveexec_b32 s7, s6
	s_cbranch_execz .LBB30_121
; %bb.120:
	s_mul_i32 s20, s12, 24
	v_add_nc_u32_e32 v4, 0x3180, v16
	s_ashr_i32 s21, s20, 31
	v_add_nc_u32_e32 v14, 0x318, v11
	s_lshl_b64 s[20:21], s[20:21], 4
	s_delay_alu instid0(SALU_CYCLE_1) | instskip(NEXT) | instid1(VALU_DEP_1)
	v_add_co_u32 v17, s6, v5, s20
	v_add_co_ci_u32_e64 v18, s6, s21, v6, s6
	global_load_b128 v[17:20], v[17:18], off
	s_waitcnt vmcnt(0)
	ds_store_2addr_b64 v4, v[17:18], v[19:20] offset1:1
.LBB30_121:
	s_or_b32 exec_lo, exec_lo, s7
	v_add_co_u32 v4, s6, v5, v15
	s_delay_alu instid0(VALU_DEP_1) | instskip(NEXT) | instid1(VALU_DEP_2)
	v_add_co_ci_u32_e64 v5, s6, 0, v6, s6
	v_sub_co_u32 v4, s6, v4, s8
	s_delay_alu instid0(VALU_DEP_1) | instskip(NEXT) | instid1(VALU_DEP_2)
	v_subrev_co_ci_u32_e64 v5, s6, s9, v5, s6
	v_add_co_u32 v4, s6, 0x210, v4
	s_delay_alu instid0(VALU_DEP_1) | instskip(SKIP_1) | instid1(VALU_DEP_2)
	v_add_co_ci_u32_e64 v5, s6, 0, v5, s6
	v_add_nc_u32_e32 v6, 0x108, v11
	v_dual_cndmask_b32 v40, v4, v40 :: v_dual_cndmask_b32 v41, v5, v41
	v_add_nc_u32_e32 v5, 0x210, v11
.LBB30_122:
	v_lshlrev_b32_e32 v4, 4, v9
	v_lshlrev_b32_e32 v9, 4, v11
	s_waitcnt lgkmcnt(0)
	s_barrier
	buffer_gl0_inv
	ds_load_b128 v[15:18], v4 offset:18176
	ds_load_b128 v[19:22], v9
	v_lshlrev_b32_e32 v4, 4, v7
	v_lshlrev_b32_e32 v6, 4, v6
	;; [unrolled: 1-line block ×3, first 2 shown]
	s_waitcnt lgkmcnt(0)
	v_mul_f64 v[29:30], v[17:18], v[21:22]
	v_mul_f64 v[31:32], v[15:16], v[21:22]
	ds_load_b128 v[21:24], v4 offset:18176
	ds_load_b128 v[25:28], v6
	v_lshlrev_b32_e32 v4, 4, v8
	v_lshlrev_b32_e32 v8, 4, v5
	s_waitcnt lgkmcnt(0)
	v_mul_f64 v[33:34], v[23:24], v[27:28]
	v_mul_f64 v[27:28], v[21:22], v[27:28]
	v_fma_f64 v[29:30], v[15:16], v[19:20], -v[29:30]
	v_fma_f64 v[19:20], v[17:18], v[19:20], v[31:32]
	ds_load_b128 v[4:7], v4 offset:18176
	ds_load_b128 v[15:18], v8
	v_lshlrev_b32_e32 v8, 4, v10
	s_waitcnt lgkmcnt(0)
	v_mul_f64 v[31:32], v[6:7], v[17:18]
	v_mul_f64 v[46:47], v[4:5], v[17:18]
	v_fma_f64 v[21:22], v[21:22], v[25:26], -v[33:34]
	v_fma_f64 v[23:24], v[23:24], v[25:26], v[27:28]
	v_add_f64 v[25:26], v[29:30], 0
	v_add_f64 v[27:28], v[19:20], 0
	ds_load_b128 v[8:11], v8 offset:18176
	ds_load_b128 v[17:20], v14
	s_waitcnt lgkmcnt(0)
	v_mul_f64 v[29:30], v[10:11], v[19:20]
	v_mul_f64 v[19:20], v[8:9], v[19:20]
	v_fma_f64 v[4:5], v[4:5], v[15:16], -v[31:32]
	v_fma_f64 v[6:7], v[6:7], v[15:16], v[46:47]
	v_add_f64 v[14:15], v[25:26], v[21:22]
	v_add_f64 v[21:22], v[27:28], v[23:24]
	v_fma_f64 v[8:9], v[8:9], v[17:18], -v[29:30]
	v_fma_f64 v[10:11], v[10:11], v[17:18], v[19:20]
	s_delay_alu instid0(VALU_DEP_4) | instskip(NEXT) | instid1(VALU_DEP_4)
	v_add_f64 v[4:5], v[14:15], v[4:5]
	v_add_f64 v[6:7], v[21:22], v[6:7]
	s_delay_alu instid0(VALU_DEP_2) | instskip(NEXT) | instid1(VALU_DEP_2)
	v_add_f64 v[46:47], v[4:5], v[8:9]
	v_add_f64 v[48:49], v[6:7], v[10:11]
	ds_load_b128 v[28:31], v12
	ds_load_b128 v[20:23], v12 offset:16
	ds_load_b128 v[8:11], v12 offset:32
	;; [unrolled: 1-line block ×7, first 2 shown]
	s_waitcnt lgkmcnt(0)
	s_barrier
	buffer_gl0_inv
	ds_store_b128 v45, v[46:49]
	s_waitcnt lgkmcnt(0)
	s_barrier
	buffer_gl0_inv
	s_and_saveexec_b32 s6, s5
	s_cbranch_execz .LBB30_124
; %bb.123:
	v_lshlrev_b32_e32 v54, 4, v44
	ds_load_b128 v[46:49], v54
	ds_load_b128 v[50:53], v54 offset:16
	s_waitcnt lgkmcnt(1)
	v_add_f64 v[0:1], v[0:1], v[46:47]
	v_add_f64 v[2:3], v[2:3], v[48:49]
	s_waitcnt lgkmcnt(0)
	s_delay_alu instid0(VALU_DEP_2) | instskip(NEXT) | instid1(VALU_DEP_2)
	v_add_f64 v[50:51], v[0:1], v[50:51]
	v_add_f64 v[52:53], v[2:3], v[52:53]
	ds_load_b128 v[0:3], v54 offset:32
	ds_load_b128 v[46:49], v54 offset:48
	s_waitcnt lgkmcnt(1)
	v_add_f64 v[0:1], v[50:51], v[0:1]
	v_add_f64 v[2:3], v[52:53], v[2:3]
	s_waitcnt lgkmcnt(0)
	s_delay_alu instid0(VALU_DEP_2) | instskip(NEXT) | instid1(VALU_DEP_2)
	v_add_f64 v[50:51], v[0:1], v[46:47]
	v_add_f64 v[52:53], v[2:3], v[48:49]
	ds_load_b128 v[0:3], v54 offset:64
	;; [unrolled: 9-line block ×3, first 2 shown]
	ds_load_b128 v[46:49], v54 offset:112
	s_waitcnt lgkmcnt(1)
	v_add_f64 v[0:1], v[50:51], v[0:1]
	v_add_f64 v[2:3], v[52:53], v[2:3]
	s_waitcnt lgkmcnt(0)
	s_delay_alu instid0(VALU_DEP_2) | instskip(NEXT) | instid1(VALU_DEP_2)
	v_add_f64 v[0:1], v[0:1], v[46:47]
	v_add_f64 v[2:3], v[2:3], v[48:49]
.LBB30_124:
	s_or_b32 exec_lo, exec_lo, s6
	v_mul_f64 v[46:47], v[30:31], v[34:35]
	v_mul_f64 v[30:31], v[30:31], v[32:33]
	v_mul_f64 v[48:49], v[22:23], v[26:27]
	v_mul_f64 v[22:23], v[22:23], v[24:25]
	s_barrier
	buffer_gl0_inv
	v_fma_f64 v[32:33], v[28:29], v[32:33], v[46:47]
	v_fma_f64 v[28:29], v[28:29], v[34:35], -v[30:31]
	v_mul_f64 v[30:31], v[10:11], v[18:19]
	v_mul_f64 v[10:11], v[10:11], v[16:17]
	v_fma_f64 v[24:25], v[20:21], v[24:25], v[48:49]
	v_fma_f64 v[20:21], v[20:21], v[26:27], -v[22:23]
	v_add_f64 v[22:23], v[32:33], 0
	v_add_f64 v[26:27], v[28:29], 0
	v_mul_f64 v[28:29], v[6:7], v[14:15]
	v_mul_f64 v[6:7], v[6:7], v[12:13]
	v_fma_f64 v[16:17], v[8:9], v[16:17], v[30:31]
	v_fma_f64 v[8:9], v[8:9], v[18:19], -v[10:11]
	v_add_f64 v[10:11], v[22:23], v[24:25]
	v_add_f64 v[18:19], v[26:27], v[20:21]
	v_fma_f64 v[12:13], v[4:5], v[12:13], v[28:29]
	v_fma_f64 v[6:7], v[4:5], v[14:15], -v[6:7]
	s_delay_alu instid0(VALU_DEP_4) | instskip(NEXT) | instid1(VALU_DEP_4)
	v_add_f64 v[4:5], v[10:11], v[16:17]
	v_add_f64 v[8:9], v[18:19], v[8:9]
	s_delay_alu instid0(VALU_DEP_2) | instskip(NEXT) | instid1(VALU_DEP_2)
	v_add_f64 v[4:5], v[4:5], v[12:13]
	v_add_f64 v[6:7], v[8:9], v[6:7]
	ds_store_b128 v45, v[4:7]
	s_waitcnt lgkmcnt(0)
	s_barrier
	buffer_gl0_inv
	s_and_saveexec_b32 s5, s4
	s_cbranch_execz .LBB30_126
; %bb.125:
	v_lshlrev_b32_e32 v12, 4, v44
	ds_load_b128 v[4:7], v12
	ds_load_b128 v[8:11], v12 offset:16
	s_waitcnt lgkmcnt(1)
	v_add_f64 v[0:1], v[0:1], v[4:5]
	v_add_f64 v[2:3], v[2:3], v[6:7]
	s_waitcnt lgkmcnt(0)
	s_delay_alu instid0(VALU_DEP_2) | instskip(NEXT) | instid1(VALU_DEP_2)
	v_add_f64 v[8:9], v[0:1], v[8:9]
	v_add_f64 v[10:11], v[2:3], v[10:11]
	ds_load_b128 v[0:3], v12 offset:32
	ds_load_b128 v[4:7], v12 offset:48
	s_waitcnt lgkmcnt(1)
	v_add_f64 v[0:1], v[8:9], v[0:1]
	v_add_f64 v[2:3], v[10:11], v[2:3]
	s_waitcnt lgkmcnt(0)
	s_delay_alu instid0(VALU_DEP_2) | instskip(NEXT) | instid1(VALU_DEP_2)
	v_add_f64 v[8:9], v[0:1], v[4:5]
	v_add_f64 v[10:11], v[2:3], v[6:7]
	ds_load_b128 v[0:3], v12 offset:64
	;; [unrolled: 9-line block ×3, first 2 shown]
	ds_load_b128 v[4:7], v12 offset:112
	s_waitcnt lgkmcnt(1)
	v_add_f64 v[0:1], v[8:9], v[0:1]
	v_add_f64 v[2:3], v[10:11], v[2:3]
	s_waitcnt lgkmcnt(0)
	s_delay_alu instid0(VALU_DEP_2) | instskip(NEXT) | instid1(VALU_DEP_2)
	v_add_f64 v[0:1], v[0:1], v[4:5]
	v_add_f64 v[2:3], v[2:3], v[6:7]
.LBB30_126:
	s_or_b32 exec_lo, exec_lo, s5
	s_load_b64 s[0:1], s[0:1], 0x78
	s_mul_hi_u32 s4, s25, s15
	s_mul_i32 s27, s27, s15
	s_mul_i32 s5, s25, s15
	s_add_i32 s4, s4, s27
	s_mul_hi_u32 s6, s5, s26
	s_mul_i32 s7, s4, s26
	s_mul_i32 s4, s5, s26
	s_add_i32 s5, s6, s7
	s_mul_i32 s6, s14, s25
	s_lshl_b64 s[4:5], s[4:5], 4
	v_cmp_le_i32_e32 vcc_lo, s10, v42
	v_lshlrev_b32_e32 v150, 4, v42
	s_waitcnt lgkmcnt(0)
	s_barrier
	buffer_gl0_inv
	s_add_u32 s4, s0, s4
	s_addc_u32 s5, s1, s5
	s_ashr_i32 s7, s6, 31
	s_delay_alu instid0(SALU_CYCLE_1) | instskip(NEXT) | instid1(SALU_CYCLE_1)
	s_lshl_b64 s[0:1], s[6:7], 4
	s_add_u32 s8, s4, s0
	s_addc_u32 s9, s5, s1
	s_and_b32 vcc_lo, s17, vcc_lo
	s_cmp_lt_i32 s14, 1
	s_cbranch_scc1 .LBB30_133
; %bb.127:
	v_mul_lo_u32 v4, v149, s12
	v_sub_co_u32 v7, s0, v40, s18
	s_delay_alu instid0(VALU_DEP_1) | instskip(SKIP_1) | instid1(VALU_DEP_2)
	v_subrev_co_ci_u32_e64 v8, s0, s19, v41, s0
	s_ashr_i32 s11, s10, 31
	v_sub_co_u32 v7, s0, v7, v38
	s_delay_alu instid0(VALU_DEP_4) | instskip(NEXT) | instid1(VALU_DEP_3)
	v_lshl_add_u32 v4, v4, 2, v42
	v_sub_co_ci_u32_e64 v8, s0, v8, v39, s0
	s_lshl_b64 s[6:7], s[10:11], 4
	v_dual_mov_b32 v146, 0 :: v_dual_and_b32 v9, 48, v42
	s_delay_alu instid0(VALU_DEP_3)
	v_ashrrev_i32_e32 v5, 31, v4
	s_mul_i32 s4, s16, s24
	v_or_b32_e32 v10, 0xf0, v150
	s_ashr_i32 s5, s4, 31
	v_add_nc_u32_e32 v154, 0x4700, v150
	v_lshlrev_b64 v[4:5], 4, v[4:5]
	s_lshl_b64 s[4:5], s[4:5], 4
	v_lshl_add_u32 v158, v149, 6, 0x4300
	v_mad_u32_u24 v159, 0x10c0, v149, v150
	s_ashr_i32 s13, s12, 31
	s_lshl_b32 s10, s24, 6
	v_add_co_u32 v4, s0, v7, v4
	s_delay_alu instid0(VALU_DEP_1) | instskip(SKIP_1) | instid1(VALU_DEP_2)
	v_add_co_ci_u32_e64 v5, s0, v8, v5, s0
	s_mul_hi_i32 s11, s12, 0xd0
	v_sub_co_u32 v7, s0, v4, v150
	s_delay_alu instid0(VALU_DEP_1) | instskip(SKIP_1) | instid1(VALU_DEP_3)
	v_subrev_co_ci_u32_e64 v8, s0, 0, v5, s0
	v_add_nc_u32_e32 v153, 0x4300, v150
	v_add_co_u32 v7, s0, v7, s6
	s_delay_alu instid0(VALU_DEP_1) | instskip(SKIP_1) | instid1(VALU_DEP_1)
	v_add_co_ci_u32_e64 v8, s0, s7, v8, s0
	v_add_co_u32 v4, s0, 0xfffffe00, v4
	v_add_co_ci_u32_e64 v5, s0, -1, v5, s0
	s_delay_alu instid0(VALU_DEP_4) | instskip(NEXT) | instid1(VALU_DEP_1)
	v_add_co_u32 v7, s0, 0xfffffdf0, v7
	v_add_co_ci_u32_e64 v8, s0, -1, v8, s0
	v_and_b32_e32 v6, 15, v42
	s_delay_alu instid0(VALU_DEP_3) | instskip(SKIP_1) | instid1(VALU_DEP_4)
	v_cndmask_b32_e32 v4, v4, v7, vcc_lo
	v_lshlrev_b32_e32 v7, 2, v43
	v_dual_cndmask_b32 v5, v5, v8 :: v_dual_lshlrev_b32 v8, 4, v9
	v_sub_co_u32 v151, s0, v36, s4
	s_delay_alu instid0(VALU_DEP_3) | instskip(SKIP_1) | instid1(VALU_DEP_4)
	v_and_b32_e32 v7, 0x7ffc0, v7
	v_subrev_co_ci_u32_e64 v152, s0, s5, v37, s0
	v_mad_u32_u24 v155, 0x430, v6, v8
	v_and_b32_e32 v8, 0x1fff0, v43
	v_cmp_gt_u32_e64 s0, 64, v43
	v_mad_u32_u24 v156, 0x430, v6, v10
	v_mad_u32_u24 v157, 0x430, v6, v7
	v_or_b32_e32 v145, v9, v6
	v_mad_u32_u24 v160, 0x430, v6, v8
	s_lshl_b64 s[4:5], s[12:13], 4
	s_mulk_i32 s12, 0xd0
	s_mov_b32 s6, 0
	s_branch .LBB30_129
.LBB30_128:                             ;   in Loop: Header=BB30_129 Depth=1
	s_or_b32 exec_lo, exec_lo, s7
	v_mul_f64 v[108:109], v[10:11], v[38:39]
	v_mul_f64 v[38:39], v[8:9], v[38:39]
	;; [unrolled: 1-line block ×4, first 2 shown]
	v_add_nc_u32_e32 v145, 64, v145
	s_add_i32 s14, s14, -1
	s_add_i32 s6, s6, s10
	s_cmp_eq_u32 s14, 0
	s_waitcnt_vscnt null, 0x0
	s_barrier
	buffer_gl0_inv
	v_fma_f64 v[8:9], v[8:9], v[36:37], -v[108:109]
	v_fma_f64 v[10:11], v[10:11], v[36:37], v[38:39]
	v_mul_f64 v[36:37], v[14:15], v[46:47]
	v_mul_f64 v[38:39], v[12:13], v[46:47]
	v_fma_f64 v[16:17], v[16:17], v[48:49], -v[110:111]
	v_fma_f64 v[18:19], v[18:19], v[48:49], v[50:51]
	v_add_f64 v[0:1], v[0:1], v[8:9]
	v_add_f64 v[2:3], v[2:3], v[10:11]
	v_mul_f64 v[8:9], v[6:7], v[42:43]
	v_mul_f64 v[10:11], v[4:5], v[42:43]
	v_fma_f64 v[12:13], v[12:13], v[44:45], -v[36:37]
	v_fma_f64 v[14:15], v[14:15], v[44:45], v[38:39]
	v_add_f64 v[0:1], v[0:1], v[16:17]
	v_add_f64 v[2:3], v[2:3], v[18:19]
	v_mul_f64 v[16:17], v[34:35], v[74:75]
	v_mul_f64 v[18:19], v[32:33], v[74:75]
	v_fma_f64 v[4:5], v[4:5], v[40:41], -v[8:9]
	v_fma_f64 v[6:7], v[6:7], v[40:41], v[10:11]
	v_mul_f64 v[8:9], v[30:31], v[82:83]
	v_mul_f64 v[10:11], v[28:29], v[82:83]
	v_add_f64 v[0:1], v[0:1], v[12:13]
	v_add_f64 v[2:3], v[2:3], v[14:15]
	v_fma_f64 v[12:13], v[32:33], v[72:73], -v[16:17]
	v_fma_f64 v[14:15], v[34:35], v[72:73], v[18:19]
	v_fma_f64 v[8:9], v[28:29], v[80:81], -v[8:9]
	v_fma_f64 v[10:11], v[30:31], v[80:81], v[10:11]
	v_add_f64 v[0:1], v[0:1], v[4:5]
	v_add_f64 v[2:3], v[2:3], v[6:7]
	v_mul_f64 v[4:5], v[26:27], v[78:79]
	v_mul_f64 v[6:7], v[24:25], v[78:79]
	s_delay_alu instid0(VALU_DEP_4) | instskip(NEXT) | instid1(VALU_DEP_4)
	v_add_f64 v[0:1], v[0:1], v[12:13]
	v_add_f64 v[2:3], v[2:3], v[14:15]
	v_mul_f64 v[12:13], v[22:23], v[70:71]
	v_mul_f64 v[14:15], v[20:21], v[70:71]
	v_fma_f64 v[4:5], v[24:25], v[76:77], -v[4:5]
	v_fma_f64 v[6:7], v[26:27], v[76:77], v[6:7]
	v_add_f64 v[0:1], v[0:1], v[8:9]
	v_add_f64 v[2:3], v[2:3], v[10:11]
	v_mul_f64 v[8:9], v[66:67], v[102:103]
	v_mul_f64 v[10:11], v[64:65], v[102:103]
	v_fma_f64 v[12:13], v[20:21], v[68:69], -v[12:13]
	v_fma_f64 v[14:15], v[22:23], v[68:69], v[14:15]
	;; [unrolled: 6-line block ×9, first 2 shown]
	v_add_f64 v[0:1], v[0:1], v[12:13]
	v_add_f64 v[2:3], v[2:3], v[14:15]
	v_fma_f64 v[4:5], v[120:121], v[128:129], -v[4:5]
	v_fma_f64 v[6:7], v[122:123], v[128:129], v[6:7]
	s_delay_alu instid0(VALU_DEP_4) | instskip(NEXT) | instid1(VALU_DEP_4)
	v_add_f64 v[0:1], v[0:1], v[8:9]
	v_add_f64 v[2:3], v[2:3], v[10:11]
	s_delay_alu instid0(VALU_DEP_2) | instskip(NEXT) | instid1(VALU_DEP_2)
	v_add_f64 v[0:1], v[0:1], v[4:5]
	v_add_f64 v[2:3], v[2:3], v[6:7]
	v_add_co_u32 v4, s1, v147, s12
	s_delay_alu instid0(VALU_DEP_1)
	v_add_co_ci_u32_e64 v5, s1, s11, v148, s1
	s_cbranch_scc1 .LBB30_133
.LBB30_129:                             ; =>This Inner Loop Header: Depth=1
	s_and_saveexec_b32 s13, s3
	s_cbranch_execz .LBB30_131
; %bb.130:                              ;   in Loop: Header=BB30_129 Depth=1
	s_ashr_i32 s7, s6, 31
	s_delay_alu instid0(SALU_CYCLE_1) | instskip(NEXT) | instid1(SALU_CYCLE_1)
	s_lshl_b64 s[16:17], s[6:7], 4
	v_add_co_u32 v6, s1, v151, s16
	s_delay_alu instid0(VALU_DEP_1)
	v_add_co_ci_u32_e64 v7, s1, s17, v152, s1
	global_load_b128 v[6:9], v[6:7], off
	s_waitcnt vmcnt(0)
	ds_store_2addr_b64 v153, v[6:7], v[8:9] offset1:1
.LBB30_131:                             ;   in Loop: Header=BB30_129 Depth=1
	s_or_b32 exec_lo, exec_lo, s13
	v_add_co_u32 v6, s1, v4, s4
	s_delay_alu instid0(VALU_DEP_1) | instskip(SKIP_1) | instid1(VALU_DEP_2)
	v_add_co_ci_u32_e64 v7, s1, s5, v5, s1
	s_waitcnt lgkmcnt(0)
	v_add_co_u32 v12, s1, v6, s4
	s_delay_alu instid0(VALU_DEP_1) | instskip(SKIP_1) | instid1(VALU_DEP_2)
	v_add_co_ci_u32_e64 v13, s1, s5, v7, s1
	s_barrier
	v_add_co_u32 v40, s1, v12, s4
	buffer_gl0_inv
	global_load_b128 v[8:11], v[4:5], off
	v_add_co_ci_u32_e64 v41, s1, s5, v13, s1
	s_clause 0x2
	global_load_b128 v[16:19], v[6:7], off
	global_load_b128 v[12:15], v[12:13], off
	;; [unrolled: 1-line block ×3, first 2 shown]
	ds_load_b128 v[20:23], v154
	ds_load_b128 v[36:39], v158
	v_add_co_u32 v52, s1, v40, s12
	s_delay_alu instid0(VALU_DEP_1) | instskip(NEXT) | instid1(VALU_DEP_2)
	v_add_co_ci_u32_e64 v53, s1, s11, v41, s1
	v_add_co_u32 v54, s1, v52, s4
	s_delay_alu instid0(VALU_DEP_1) | instskip(NEXT) | instid1(VALU_DEP_2)
	v_add_co_ci_u32_e64 v55, s1, s5, v53, s1
	;; [unrolled: 3-line block ×11, first 2 shown]
	v_add_co_u32 v147, s1, v136, s4
	s_delay_alu instid0(VALU_DEP_1)
	v_add_co_ci_u32_e64 v148, s1, s5, v137, s1
	s_waitcnt vmcnt(3) lgkmcnt(1)
	v_mul_f64 v[24:25], v[10:11], v[22:23]
	v_mul_f64 v[26:27], v[10:11], v[20:21]
	s_waitcnt vmcnt(2)
	v_mul_f64 v[28:29], v[18:19], v[22:23]
	v_mul_f64 v[30:31], v[18:19], v[20:21]
	s_waitcnt vmcnt(1)
	;; [unrolled: 3-line block ×3, first 2 shown]
	v_mul_f64 v[42:43], v[6:7], v[22:23]
	v_mul_f64 v[44:45], v[6:7], v[20:21]
	v_fma_f64 v[24:25], v[8:9], v[20:21], v[24:25]
	v_fma_f64 v[26:27], v[8:9], v[22:23], -v[26:27]
	v_fma_f64 v[28:29], v[16:17], v[20:21], v[28:29]
	v_fma_f64 v[30:31], v[16:17], v[22:23], -v[30:31]
	;; [unrolled: 2-line block ×4, first 2 shown]
	ds_store_b128 v159, v[24:27]
	ds_load_b128 v[48:51], v158 offset:16
	ds_store_b128 v159, v[28:31] offset:1072
	ds_load_b128 v[44:47], v158 offset:32
	ds_store_b128 v159, v[32:35] offset:2144
	;; [unrolled: 2-line block ×3, first 2 shown]
	s_waitcnt lgkmcnt(0)
	s_barrier
	buffer_gl0_inv
	ds_load_b128 v[128:131], v157
	ds_load_b128 v[140:143], v157 offset:16
	ds_load_b128 v[116:119], v157 offset:32
	ds_load_b128 v[108:111], v157 offset:48
	s_waitcnt lgkmcnt(0)
	s_barrier
	buffer_gl0_inv
	s_clause 0x2
	global_load_b128 v[32:35], v[52:53], off
	global_load_b128 v[28:31], v[54:55], off
	;; [unrolled: 1-line block ×4, first 2 shown]
	ds_load_b128 v[52:55], v154
	ds_load_b128 v[72:75], v158 offset:256
	v_add_f64 v[205:206], v[128:129], 0
	v_add_f64 v[207:208], v[130:131], 0
	s_waitcnt vmcnt(2) lgkmcnt(1)
	v_mul_f64 v[60:61], v[30:31], v[54:55]
	v_mul_f64 v[56:57], v[34:35], v[54:55]
	;; [unrolled: 1-line block ×4, first 2 shown]
	s_waitcnt vmcnt(1)
	v_mul_f64 v[64:65], v[26:27], v[54:55]
	v_mul_f64 v[66:67], v[26:27], v[52:53]
	s_waitcnt vmcnt(0)
	v_mul_f64 v[70:71], v[22:23], v[54:55]
	v_mul_f64 v[76:77], v[22:23], v[52:53]
	v_fma_f64 v[60:61], v[28:29], v[52:53], v[60:61]
	v_fma_f64 v[56:57], v[32:33], v[52:53], v[56:57]
	v_fma_f64 v[58:59], v[32:33], v[54:55], -v[58:59]
	v_fma_f64 v[62:63], v[28:29], v[54:55], -v[62:63]
	v_fma_f64 v[64:65], v[24:25], v[52:53], v[64:65]
	v_fma_f64 v[66:67], v[24:25], v[54:55], -v[66:67]
	v_fma_f64 v[52:53], v[20:21], v[52:53], v[70:71]
	v_fma_f64 v[54:55], v[20:21], v[54:55], -v[76:77]
	ds_store_b128 v159, v[56:59]
	ds_load_b128 v[80:83], v158 offset:272
	ds_store_b128 v159, v[60:63] offset:1072
	ds_load_b128 v[76:79], v158 offset:288
	ds_store_b128 v159, v[64:67] offset:2144
	;; [unrolled: 2-line block ×3, first 2 shown]
	s_waitcnt lgkmcnt(0)
	s_barrier
	buffer_gl0_inv
	ds_load_b128 v[161:164], v157
	ds_load_b128 v[165:168], v157 offset:16
	ds_load_b128 v[169:172], v157 offset:32
	;; [unrolled: 1-line block ×3, first 2 shown]
	s_waitcnt lgkmcnt(0)
	s_barrier
	buffer_gl0_inv
	global_load_b128 v[64:67], v[84:85], off
	global_load_b128 v[60:63], v[86:87], off
	;; [unrolled: 1-line block ×4, first 2 shown]
	ds_load_b128 v[84:87], v154
	ds_load_b128 v[100:103], v158 offset:512
	v_add_f64 v[161:162], v[161:162], 0
	v_add_f64 v[163:164], v[163:164], 0
	s_delay_alu instid0(VALU_DEP_2) | instskip(NEXT) | instid1(VALU_DEP_2)
	v_add_f64 v[161:162], v[161:162], v[165:166]
	v_add_f64 v[163:164], v[163:164], v[167:168]
	s_delay_alu instid0(VALU_DEP_2) | instskip(NEXT) | instid1(VALU_DEP_2)
	v_add_f64 v[161:162], v[161:162], v[169:170]
	v_add_f64 v[163:164], v[163:164], v[171:172]
	s_waitcnt vmcnt(2) lgkmcnt(1)
	v_mul_f64 v[92:93], v[62:63], v[86:87]
	v_mul_f64 v[88:89], v[66:67], v[86:87]
	;; [unrolled: 1-line block ×4, first 2 shown]
	s_waitcnt vmcnt(1)
	v_mul_f64 v[96:97], v[58:59], v[86:87]
	v_mul_f64 v[98:99], v[58:59], v[84:85]
	s_waitcnt vmcnt(0)
	v_mul_f64 v[106:107], v[54:55], v[86:87]
	v_mul_f64 v[112:113], v[54:55], v[84:85]
	v_fma_f64 v[92:93], v[60:61], v[84:85], v[92:93]
	v_fma_f64 v[88:89], v[64:65], v[84:85], v[88:89]
	v_fma_f64 v[90:91], v[64:65], v[86:87], -v[90:91]
	v_fma_f64 v[94:95], v[60:61], v[86:87], -v[94:95]
	v_fma_f64 v[96:97], v[56:57], v[84:85], v[96:97]
	v_fma_f64 v[98:99], v[56:57], v[86:87], -v[98:99]
	v_fma_f64 v[84:85], v[52:53], v[84:85], v[106:107]
	v_fma_f64 v[86:87], v[52:53], v[86:87], -v[112:113]
	ds_store_b128 v159, v[88:91]
	ds_load_b128 v[112:115], v158 offset:528
	ds_store_b128 v159, v[92:95] offset:1072
	ds_load_b128 v[104:107], v158 offset:544
	ds_store_b128 v159, v[96:99] offset:2144
	ds_load_b128 v[96:99], v158 offset:560
	ds_store_b128 v159, v[84:87] offset:3216
	s_waitcnt lgkmcnt(0)
	s_barrier
	buffer_gl0_inv
	ds_load_b128 v[177:180], v157
	ds_load_b128 v[181:184], v157 offset:16
	ds_load_b128 v[185:188], v157 offset:32
	;; [unrolled: 1-line block ×3, first 2 shown]
	s_waitcnt lgkmcnt(0)
	s_barrier
	buffer_gl0_inv
	global_load_b128 v[88:91], v[120:121], off
	global_load_b128 v[84:87], v[122:123], off
	;; [unrolled: 1-line block ×3, first 2 shown]
	ds_load_b128 v[132:135], v154
	ds_load_b128 v[124:127], v158 offset:768
	v_add_f64 v[177:178], v[177:178], 0
	v_add_f64 v[179:180], v[179:180], 0
	s_delay_alu instid0(VALU_DEP_2) | instskip(NEXT) | instid1(VALU_DEP_2)
	v_add_f64 v[165:166], v[177:178], v[181:182]
	v_add_f64 v[167:168], v[179:180], v[183:184]
	s_delay_alu instid0(VALU_DEP_2) | instskip(NEXT) | instid1(VALU_DEP_2)
	v_add_f64 v[165:166], v[165:166], v[185:186]
	v_add_f64 v[167:168], v[167:168], v[187:188]
	s_waitcnt vmcnt(2) lgkmcnt(1)
	v_mul_f64 v[120:121], v[90:91], v[134:135]
	v_mul_f64 v[122:123], v[90:91], v[132:133]
	s_waitcnt vmcnt(1)
	v_mul_f64 v[193:194], v[86:87], v[134:135]
	v_mul_f64 v[195:196], v[86:87], v[132:133]
	s_waitcnt vmcnt(0)
	v_mul_f64 v[197:198], v[94:95], v[134:135]
	v_mul_f64 v[199:200], v[94:95], v[132:133]
	v_fma_f64 v[136:137], v[88:89], v[132:133], v[120:121]
	v_fma_f64 v[138:139], v[88:89], v[134:135], -v[122:123]
	global_load_b128 v[120:123], v[147:148], off
	v_fma_f64 v[193:194], v[84:85], v[132:133], v[193:194]
	v_fma_f64 v[195:196], v[84:85], v[134:135], -v[195:196]
	v_fma_f64 v[197:198], v[92:93], v[132:133], v[197:198]
	v_fma_f64 v[199:200], v[92:93], v[134:135], -v[199:200]
	ds_store_b128 v159, v[136:139]
	ds_load_b128 v[136:139], v158 offset:784
	ds_store_b128 v159, v[193:196] offset:1072
	s_waitcnt vmcnt(0)
	v_mul_f64 v[201:202], v[122:123], v[134:135]
	v_mul_f64 v[203:204], v[122:123], v[132:133]
	s_delay_alu instid0(VALU_DEP_2) | instskip(NEXT) | instid1(VALU_DEP_2)
	v_fma_f64 v[201:202], v[120:121], v[132:133], v[201:202]
	v_fma_f64 v[203:204], v[120:121], v[134:135], -v[203:204]
	ds_load_b128 v[132:135], v158 offset:800
	ds_store_b128 v159, v[197:200] offset:2144
	ds_load_b128 v[128:131], v158 offset:816
	v_add_f64 v[197:198], v[205:206], v[140:141]
	v_add_f64 v[199:200], v[207:208], v[142:143]
	ds_store_b128 v159, v[201:204] offset:3216
	s_waitcnt lgkmcnt(0)
	s_barrier
	buffer_gl0_inv
	ds_load_b128 v[193:196], v157
	ds_load_b128 v[140:143], v157 offset:16
	v_add_f64 v[181:182], v[197:198], v[116:117]
	v_add_f64 v[183:184], v[199:200], v[118:119]
	ds_load_b128 v[116:119], v157 offset:48
	s_waitcnt lgkmcnt(2)
	v_add_f64 v[193:194], v[193:194], 0
	v_add_f64 v[195:196], v[195:196], 0
	;; [unrolled: 1-line block ×4, first 2 shown]
	s_waitcnt lgkmcnt(1)
	s_delay_alu instid0(VALU_DEP_4) | instskip(NEXT) | instid1(VALU_DEP_4)
	v_add_f64 v[177:178], v[193:194], v[140:141]
	v_add_f64 v[179:180], v[195:196], v[142:143]
	ds_load_b128 v[140:143], v157 offset:32
	s_waitcnt lgkmcnt(0)
	s_barrier
	buffer_gl0_inv
	v_add_f64 v[169:170], v[177:178], v[140:141]
	v_add_f64 v[171:172], v[179:180], v[142:143]
	;; [unrolled: 1-line block ×8, first 2 shown]
	ds_store_b128 v160, v[108:111]
	ds_store_b128 v160, v[140:143] offset:256
	ds_store_b128 v160, v[161:164] offset:512
	;; [unrolled: 1-line block ×3, first 2 shown]
	s_waitcnt lgkmcnt(0)
	s_barrier
	buffer_gl0_inv
	s_and_saveexec_b32 s7, s0
	s_cbranch_execz .LBB30_128
; %bb.132:                              ;   in Loop: Header=BB30_129 Depth=1
	ds_load_b128 v[108:111], v155
	ds_load_b128 v[116:119], v155 offset:16
	s_waitcnt lgkmcnt(0)
	v_add_f64 v[140:141], v[116:117], v[108:109]
	v_add_f64 v[142:143], v[118:119], v[110:111]
	ds_load_b128 v[108:111], v155 offset:32
	ds_load_b128 v[116:119], v155 offset:48
	s_waitcnt lgkmcnt(1)
	v_add_f64 v[108:109], v[140:141], v[108:109]
	v_add_f64 v[110:111], v[142:143], v[110:111]
	s_waitcnt lgkmcnt(0)
	s_delay_alu instid0(VALU_DEP_2) | instskip(NEXT) | instid1(VALU_DEP_2)
	v_add_f64 v[140:141], v[108:109], v[116:117]
	v_add_f64 v[142:143], v[110:111], v[118:119]
	ds_load_b128 v[108:111], v155 offset:64
	ds_load_b128 v[116:119], v155 offset:80
	s_waitcnt lgkmcnt(1)
	v_add_f64 v[108:109], v[140:141], v[108:109]
	v_add_f64 v[110:111], v[142:143], v[110:111]
	s_waitcnt lgkmcnt(0)
	s_delay_alu instid0(VALU_DEP_2) | instskip(NEXT) | instid1(VALU_DEP_2)
	;; [unrolled: 9-line block ×6, first 2 shown]
	v_add_f64 v[140:141], v[108:109], v[116:117]
	v_add_f64 v[142:143], v[110:111], v[118:119]
	ds_load_b128 v[108:111], v155 offset:224
	ds_load_b128 v[116:119], v156
	s_waitcnt lgkmcnt(1)
	v_add_f64 v[108:109], v[140:141], v[108:109]
	v_add_f64 v[110:111], v[142:143], v[110:111]
	s_waitcnt lgkmcnt(0)
	s_delay_alu instid0(VALU_DEP_2) | instskip(NEXT) | instid1(VALU_DEP_2)
	v_add_f64 v[108:109], v[108:109], v[116:117]
	v_add_f64 v[110:111], v[110:111], v[118:119]
	v_lshlrev_b64 v[116:117], 4, v[145:146]
	s_delay_alu instid0(VALU_DEP_1) | instskip(NEXT) | instid1(VALU_DEP_1)
	v_add_co_u32 v116, s1, s8, v116
	v_add_co_ci_u32_e64 v117, s1, s9, v117, s1
	global_store_b128 v[116:117], v[108:111], off
	s_branch .LBB30_128
.LBB30_133:
	v_mad_u32_u24 v4, 0x430, v149, v150
	s_or_b32 s0, s2, vcc_lo
	s_delay_alu instid0(SALU_CYCLE_1)
	s_xor_b32 s0, s0, -1
	ds_store_b128 v4, v[0:3]
	s_waitcnt lgkmcnt(0)
	s_barrier
	buffer_gl0_inv
	s_and_saveexec_b32 s1, s0
	s_cbranch_execz .LBB30_135
; %bb.134:
	ds_load_b128 v[0:3], v150 offset:1072
	ds_load_b128 v[4:7], v150
	v_ashrrev_i32_e32 v145, 31, v144
	s_waitcnt lgkmcnt(0)
	v_add_f64 v[8:9], v[0:1], v[4:5]
	v_add_f64 v[10:11], v[2:3], v[6:7]
	ds_load_b128 v[0:3], v150 offset:2144
	ds_load_b128 v[4:7], v150 offset:3216
	s_waitcnt lgkmcnt(1)
	v_add_f64 v[0:1], v[8:9], v[0:1]
	v_add_f64 v[2:3], v[10:11], v[2:3]
	s_waitcnt lgkmcnt(0)
	s_delay_alu instid0(VALU_DEP_2) | instskip(NEXT) | instid1(VALU_DEP_2)
	v_add_f64 v[0:1], v[0:1], v[4:5]
	v_add_f64 v[2:3], v[2:3], v[6:7]
	v_lshlrev_b64 v[4:5], 4, v[144:145]
	s_delay_alu instid0(VALU_DEP_1) | instskip(NEXT) | instid1(VALU_DEP_2)
	v_add_co_u32 v4, vcc_lo, s8, v4
	v_add_co_ci_u32_e32 v5, vcc_lo, s9, v5, vcc_lo
	global_store_b128 v[4:5], v[0:3], off
.LBB30_135:
	s_nop 0
	s_sendmsg sendmsg(MSG_DEALLOC_VGPRS)
	s_endpgm
	.section	.rodata,"a",@progbits
	.p2align	6, 0x0
	.amdhsa_kernel _ZL26rocblas_hemvn_kernel_lowerILb1ELi64ELi4ELi33ELi32ELi16Ei19rocblas_complex_numIdEPKS1_PS1_EviT6_lT7_lT5_lS6_lS7_lS5_lT8_i
		.amdhsa_group_segment_fixed_size 19200
		.amdhsa_private_segment_fixed_size 0
		.amdhsa_kernarg_size 392
		.amdhsa_user_sgpr_count 14
		.amdhsa_user_sgpr_dispatch_ptr 0
		.amdhsa_user_sgpr_queue_ptr 0
		.amdhsa_user_sgpr_kernarg_segment_ptr 1
		.amdhsa_user_sgpr_dispatch_id 0
		.amdhsa_user_sgpr_private_segment_size 0
		.amdhsa_wavefront_size32 1
		.amdhsa_uses_dynamic_stack 0
		.amdhsa_enable_private_segment 0
		.amdhsa_system_sgpr_workgroup_id_x 1
		.amdhsa_system_sgpr_workgroup_id_y 0
		.amdhsa_system_sgpr_workgroup_id_z 1
		.amdhsa_system_sgpr_workgroup_info 0
		.amdhsa_system_vgpr_workitem_id 1
		.amdhsa_next_free_vgpr 209
		.amdhsa_next_free_sgpr 30
		.amdhsa_reserve_vcc 1
		.amdhsa_float_round_mode_32 0
		.amdhsa_float_round_mode_16_64 0
		.amdhsa_float_denorm_mode_32 3
		.amdhsa_float_denorm_mode_16_64 3
		.amdhsa_dx10_clamp 1
		.amdhsa_ieee_mode 1
		.amdhsa_fp16_overflow 0
		.amdhsa_workgroup_processor_mode 1
		.amdhsa_memory_ordered 1
		.amdhsa_forward_progress 0
		.amdhsa_shared_vgpr_count 0
		.amdhsa_exception_fp_ieee_invalid_op 0
		.amdhsa_exception_fp_denorm_src 0
		.amdhsa_exception_fp_ieee_div_zero 0
		.amdhsa_exception_fp_ieee_overflow 0
		.amdhsa_exception_fp_ieee_underflow 0
		.amdhsa_exception_fp_ieee_inexact 0
		.amdhsa_exception_int_div_zero 0
	.end_amdhsa_kernel
	.section	.text._ZL26rocblas_hemvn_kernel_lowerILb1ELi64ELi4ELi33ELi32ELi16Ei19rocblas_complex_numIdEPKS1_PS1_EviT6_lT7_lT5_lS6_lS7_lS5_lT8_i,"axG",@progbits,_ZL26rocblas_hemvn_kernel_lowerILb1ELi64ELi4ELi33ELi32ELi16Ei19rocblas_complex_numIdEPKS1_PS1_EviT6_lT7_lT5_lS6_lS7_lS5_lT8_i,comdat
.Lfunc_end30:
	.size	_ZL26rocblas_hemvn_kernel_lowerILb1ELi64ELi4ELi33ELi32ELi16Ei19rocblas_complex_numIdEPKS1_PS1_EviT6_lT7_lT5_lS6_lS7_lS5_lT8_i, .Lfunc_end30-_ZL26rocblas_hemvn_kernel_lowerILb1ELi64ELi4ELi33ELi32ELi16Ei19rocblas_complex_numIdEPKS1_PS1_EviT6_lT7_lT5_lS6_lS7_lS5_lT8_i
                                        ; -- End function
	.section	.AMDGPU.csdata,"",@progbits
; Kernel info:
; codeLenInByte = 11028
; NumSgprs: 32
; NumVgprs: 209
; ScratchSize: 0
; MemoryBound: 0
; FloatMode: 240
; IeeeMode: 1
; LDSByteSize: 19200 bytes/workgroup (compile time only)
; SGPRBlocks: 3
; VGPRBlocks: 26
; NumSGPRsForWavesPerEU: 32
; NumVGPRsForWavesPerEU: 209
; Occupancy: 7
; WaveLimiterHint : 1
; COMPUTE_PGM_RSRC2:SCRATCH_EN: 0
; COMPUTE_PGM_RSRC2:USER_SGPR: 14
; COMPUTE_PGM_RSRC2:TRAP_HANDLER: 0
; COMPUTE_PGM_RSRC2:TGID_X_EN: 1
; COMPUTE_PGM_RSRC2:TGID_Y_EN: 0
; COMPUTE_PGM_RSRC2:TGID_Z_EN: 1
; COMPUTE_PGM_RSRC2:TIDIG_COMP_CNT: 1
	.section	.text._ZL36rocblas_hemvn_kernel_lower_block_sumILi64Ei19rocblas_complex_numIdEPS1_S1_EviT1_lS3_lT2_lT0_lPT3_i,"axG",@progbits,_ZL36rocblas_hemvn_kernel_lower_block_sumILi64Ei19rocblas_complex_numIdEPS1_S1_EviT1_lS3_lT2_lT0_lPT3_i,comdat
	.globl	_ZL36rocblas_hemvn_kernel_lower_block_sumILi64Ei19rocblas_complex_numIdEPS1_S1_EviT1_lS3_lT2_lT0_lPT3_i ; -- Begin function _ZL36rocblas_hemvn_kernel_lower_block_sumILi64Ei19rocblas_complex_numIdEPS1_S1_EviT1_lS3_lT2_lT0_lPT3_i
	.p2align	8
	.type	_ZL36rocblas_hemvn_kernel_lower_block_sumILi64Ei19rocblas_complex_numIdEPS1_S1_EviT1_lS3_lT2_lT0_lPT3_i,@function
_ZL36rocblas_hemvn_kernel_lower_block_sumILi64Ei19rocblas_complex_numIdEPS1_S1_EviT1_lS3_lT2_lT0_lPT3_i: ; @_ZL36rocblas_hemvn_kernel_lower_block_sumILi64Ei19rocblas_complex_numIdEPS1_S1_EviT1_lS3_lT2_lT0_lPT3_i
; %bb.0:
	s_clause 0x1
	s_load_b128 s[8:11], s[0:1], 0x8
	s_load_b128 s[4:7], s[0:1], 0x20
	s_waitcnt lgkmcnt(0)
	v_cmp_neq_f64_e64 s2, s[8:9], 0
	v_cmp_neq_f64_e64 s3, s[10:11], 0
	s_delay_alu instid0(VALU_DEP_1)
	s_or_b32 s2, s2, s3
	s_mov_b32 s3, -1
	s_and_b32 vcc_lo, exec_lo, s2
	s_cbranch_vccnz .LBB31_2
; %bb.1:
	v_cmp_neq_f64_e64 s3, s[4:5], 1.0
	v_cmp_neq_f64_e64 s12, s[6:7], 0
	s_delay_alu instid0(VALU_DEP_1)
	s_or_b32 s3, s3, s12
.LBB31_2:
	s_delay_alu instid0(SALU_CYCLE_1)
	s_and_not1_b32 vcc_lo, exec_lo, s3
	s_cbranch_vccnz .LBB31_22
; %bb.3:
	s_clause 0x3
	s_load_b64 s[16:17], s[0:1], 0x50
	s_load_b128 s[20:23], s[0:1], 0x38
	s_load_b32 s18, s[0:1], 0x48
	s_load_b32 s12, s[0:1], 0x0
	s_xor_b32 s13, s2, -1
	v_lshl_or_b32 v4, s14, 6, v0
	s_waitcnt lgkmcnt(0)
	s_mul_i32 s3, s15, s17
	s_mul_hi_u32 s17, s15, s16
	s_mul_i32 s2, s15, s16
	s_add_i32 s3, s17, s3
	s_delay_alu instid0(SALU_CYCLE_1) | instskip(NEXT) | instid1(SALU_CYCLE_1)
	s_lshl_b64 s[2:3], s[2:3], 4
	s_add_u32 s19, s20, s2
	s_addc_u32 s20, s21, s3
	s_lshl_b64 s[16:17], s[22:23], 4
	v_cmp_gt_i32_e64 s2, s12, v4
	s_add_u32 s3, s19, s16
	s_addc_u32 s16, s20, s17
	s_and_not1_b32 vcc_lo, exec_lo, s13
	s_mov_b32 s17, 0
	s_cbranch_vccnz .LBB31_8
; %bb.4:
	s_mov_b32 s13, 0
                                        ; implicit-def: $vgpr2_vgpr3
                                        ; implicit-def: $vgpr5_vgpr6
	s_and_saveexec_b32 s19, s2
	s_cbranch_execz .LBB31_9
; %bb.5:
	v_cmp_neq_f64_e64 s2, s[4:5], 0
	v_cmp_neq_f64_e64 s17, s[6:7], 0
	v_mul_lo_u32 v5, v4, s18
	v_mov_b32_e32 v2, 0
	v_mov_b32_e32 v3, 0
	s_delay_alu instid0(VALU_DEP_1) | instskip(NEXT) | instid1(VALU_DEP_4)
	v_dual_mov_b32 v0, v2 :: v_dual_mov_b32 v1, v3
	v_ashrrev_i32_e32 v6, 31, v5
	s_or_b32 s2, s2, s17
	s_delay_alu instid0(SALU_CYCLE_1)
	s_and_not1_b32 vcc_lo, exec_lo, s2
	s_cbranch_vccnz .LBB31_7
; %bb.6:
	s_delay_alu instid0(VALU_DEP_1) | instskip(NEXT) | instid1(VALU_DEP_1)
	v_lshlrev_b64 v[0:1], 4, v[5:6]
	v_add_co_u32 v0, vcc_lo, s3, v0
	s_delay_alu instid0(VALU_DEP_2) | instskip(SKIP_4) | instid1(VALU_DEP_2)
	v_add_co_ci_u32_e32 v1, vcc_lo, s16, v1, vcc_lo
	global_load_b128 v[7:10], v[0:1], off
	s_waitcnt vmcnt(0)
	v_mul_f64 v[0:1], s[6:7], v[9:10]
	v_mul_f64 v[2:3], s[4:5], v[9:10]
	v_fma_f64 v[0:1], s[4:5], v[7:8], -v[0:1]
	s_delay_alu instid0(VALU_DEP_2)
	v_fma_f64 v[2:3], s[6:7], v[7:8], v[2:3]
.LBB31_7:
	s_mov_b32 s17, exec_lo
	s_or_b32 exec_lo, exec_lo, s19
	s_delay_alu instid0(SALU_CYCLE_1)
	s_and_b32 vcc_lo, exec_lo, s13
	s_cbranch_vccnz .LBB31_10
	s_branch .LBB31_20
.LBB31_8:
                                        ; implicit-def: $vgpr2_vgpr3
                                        ; implicit-def: $vgpr5_vgpr6
	s_cbranch_execnz .LBB31_10
	s_branch .LBB31_20
.LBB31_9:
	s_or_b32 exec_lo, exec_lo, s19
	s_delay_alu instid0(SALU_CYCLE_1)
	s_and_b32 vcc_lo, exec_lo, s13
	s_cbranch_vccz .LBB31_20
.LBB31_10:
	s_mov_b32 s2, exec_lo
                                        ; implicit-def: $vgpr2_vgpr3
                                        ; implicit-def: $vgpr5_vgpr6
	v_cmpx_gt_i32_e64 s12, v4
	s_cbranch_execz .LBB31_19
; %bb.11:
	s_load_b32 s19, s[0:1], 0x68
	v_mov_b32_e32 v0, 0
	v_mov_b32_e32 v1, 0
	s_delay_alu instid0(VALU_DEP_1)
	v_dual_mov_b32 v3, v1 :: v_dual_mov_b32 v2, v0
	s_waitcnt lgkmcnt(0)
	s_cmp_ge_i32 s14, s19
	s_cbranch_scc1 .LBB31_14
; %bb.12:
	s_load_b64 s[0:1], s[0:1], 0x58
	v_mad_u64_u32 v[0:1], null, s14, s12, v[4:5]
	s_ashr_i32 s13, s12, 31
	s_mul_hi_u32 s20, s12, s15
	s_mul_i32 s21, s13, s15
	s_mul_i32 s15, s12, s15
	s_add_i32 s20, s20, s21
	s_mul_hi_u32 s21, s15, s19
	s_delay_alu instid0(VALU_DEP_1) | instskip(SKIP_3) | instid1(VALU_DEP_1)
	v_ashrrev_i32_e32 v1, 31, v0
	s_mul_i32 s22, s20, s19
	s_mul_i32 s20, s15, s19
	s_add_i32 s21, s21, s22
	v_lshlrev_b64 v[2:3], 4, v[0:1]
	s_lshl_b64 s[20:21], s[20:21], 4
	v_mov_b32_e32 v0, 0
	v_mov_b32_e32 v1, 0
	s_waitcnt lgkmcnt(0)
	s_add_u32 s0, s0, s20
	s_addc_u32 s1, s1, s21
	v_add_co_u32 v2, vcc_lo, s0, v2
	v_add_co_ci_u32_e32 v3, vcc_lo, s1, v3, vcc_lo
	s_lshl_b64 s[0:1], s[12:13], 4
	s_delay_alu instid0(VALU_DEP_2) | instskip(NEXT) | instid1(VALU_DEP_2)
	v_add_co_u32 v5, vcc_lo, v2, 8
	v_add_co_ci_u32_e32 v6, vcc_lo, 0, v3, vcc_lo
	v_dual_mov_b32 v3, v1 :: v_dual_mov_b32 v2, v0
.LBB31_13:                              ; =>This Inner Loop Header: Depth=1
	global_load_b128 v[7:10], v[5:6], off offset:-8
	v_add_co_u32 v5, vcc_lo, v5, s0
	v_add_co_ci_u32_e32 v6, vcc_lo, s1, v6, vcc_lo
	s_add_i32 s14, s14, 1
	s_delay_alu instid0(SALU_CYCLE_1)
	s_cmp_ge_i32 s14, s19
	s_waitcnt vmcnt(0)
	v_add_f64 v[2:3], v[2:3], v[7:8]
	v_add_f64 v[0:1], v[0:1], v[9:10]
	s_cbranch_scc0 .LBB31_13
.LBB31_14:
	s_delay_alu instid0(VALU_DEP_1) | instskip(SKIP_3) | instid1(VALU_DEP_4)
	v_mul_f64 v[5:6], s[10:11], v[0:1]
	v_mul_f64 v[7:8], s[8:9], v[0:1]
	v_cmp_neq_f64_e64 s0, s[4:5], 0
	v_cmp_neq_f64_e64 s1, s[6:7], 0
	v_fma_f64 v[0:1], s[8:9], v[2:3], -v[5:6]
	s_delay_alu instid0(VALU_DEP_4) | instskip(SKIP_1) | instid1(VALU_DEP_4)
	v_fma_f64 v[2:3], s[10:11], v[2:3], v[7:8]
	v_mul_lo_u32 v5, v4, s18
	s_or_b32 s0, s0, s1
	s_delay_alu instid0(SALU_CYCLE_1) | instskip(NEXT) | instid1(VALU_DEP_1)
	s_and_not1_b32 vcc_lo, exec_lo, s0
	v_ashrrev_i32_e32 v6, 31, v5
	s_cbranch_vccz .LBB31_16
; %bb.15:
	s_cbranch_execz .LBB31_17
	s_branch .LBB31_18
.LBB31_16:
.LBB31_17:
	s_delay_alu instid0(VALU_DEP_1) | instskip(NEXT) | instid1(VALU_DEP_1)
	v_lshlrev_b64 v[7:8], 4, v[5:6]
	v_add_co_u32 v7, vcc_lo, s3, v7
	s_delay_alu instid0(VALU_DEP_2) | instskip(SKIP_4) | instid1(VALU_DEP_2)
	v_add_co_ci_u32_e32 v8, vcc_lo, s16, v8, vcc_lo
	global_load_b128 v[7:10], v[7:8], off
	s_waitcnt vmcnt(0)
	v_mul_f64 v[11:12], s[6:7], v[9:10]
	v_mul_f64 v[9:10], s[4:5], v[9:10]
	v_fma_f64 v[11:12], s[4:5], v[7:8], -v[11:12]
	s_delay_alu instid0(VALU_DEP_2) | instskip(NEXT) | instid1(VALU_DEP_2)
	v_fma_f64 v[7:8], s[6:7], v[7:8], v[9:10]
	v_add_f64 v[0:1], v[0:1], v[11:12]
	s_delay_alu instid0(VALU_DEP_2)
	v_add_f64 v[2:3], v[2:3], v[7:8]
.LBB31_18:
	s_or_b32 s17, s17, exec_lo
.LBB31_19:
	s_or_b32 exec_lo, exec_lo, s2
.LBB31_20:
	s_and_saveexec_b32 s0, s17
	s_cbranch_execz .LBB31_22
; %bb.21:
	v_lshlrev_b64 v[4:5], 4, v[5:6]
	s_delay_alu instid0(VALU_DEP_1) | instskip(NEXT) | instid1(VALU_DEP_2)
	v_add_co_u32 v4, vcc_lo, s3, v4
	v_add_co_ci_u32_e32 v5, vcc_lo, s16, v5, vcc_lo
	global_store_b128 v[4:5], v[0:3], off
.LBB31_22:
	s_nop 0
	s_sendmsg sendmsg(MSG_DEALLOC_VGPRS)
	s_endpgm
	.section	.rodata,"a",@progbits
	.p2align	6, 0x0
	.amdhsa_kernel _ZL36rocblas_hemvn_kernel_lower_block_sumILi64Ei19rocblas_complex_numIdEPS1_S1_EviT1_lS3_lT2_lT0_lPT3_i
		.amdhsa_group_segment_fixed_size 0
		.amdhsa_private_segment_fixed_size 0
		.amdhsa_kernarg_size 360
		.amdhsa_user_sgpr_count 14
		.amdhsa_user_sgpr_dispatch_ptr 0
		.amdhsa_user_sgpr_queue_ptr 0
		.amdhsa_user_sgpr_kernarg_segment_ptr 1
		.amdhsa_user_sgpr_dispatch_id 0
		.amdhsa_user_sgpr_private_segment_size 0
		.amdhsa_wavefront_size32 1
		.amdhsa_uses_dynamic_stack 0
		.amdhsa_enable_private_segment 0
		.amdhsa_system_sgpr_workgroup_id_x 1
		.amdhsa_system_sgpr_workgroup_id_y 0
		.amdhsa_system_sgpr_workgroup_id_z 1
		.amdhsa_system_sgpr_workgroup_info 0
		.amdhsa_system_vgpr_workitem_id 0
		.amdhsa_next_free_vgpr 13
		.amdhsa_next_free_sgpr 24
		.amdhsa_reserve_vcc 1
		.amdhsa_float_round_mode_32 0
		.amdhsa_float_round_mode_16_64 0
		.amdhsa_float_denorm_mode_32 3
		.amdhsa_float_denorm_mode_16_64 3
		.amdhsa_dx10_clamp 1
		.amdhsa_ieee_mode 1
		.amdhsa_fp16_overflow 0
		.amdhsa_workgroup_processor_mode 1
		.amdhsa_memory_ordered 1
		.amdhsa_forward_progress 0
		.amdhsa_shared_vgpr_count 0
		.amdhsa_exception_fp_ieee_invalid_op 0
		.amdhsa_exception_fp_denorm_src 0
		.amdhsa_exception_fp_ieee_div_zero 0
		.amdhsa_exception_fp_ieee_overflow 0
		.amdhsa_exception_fp_ieee_underflow 0
		.amdhsa_exception_fp_ieee_inexact 0
		.amdhsa_exception_int_div_zero 0
	.end_amdhsa_kernel
	.section	.text._ZL36rocblas_hemvn_kernel_lower_block_sumILi64Ei19rocblas_complex_numIdEPS1_S1_EviT1_lS3_lT2_lT0_lPT3_i,"axG",@progbits,_ZL36rocblas_hemvn_kernel_lower_block_sumILi64Ei19rocblas_complex_numIdEPS1_S1_EviT1_lS3_lT2_lT0_lPT3_i,comdat
.Lfunc_end31:
	.size	_ZL36rocblas_hemvn_kernel_lower_block_sumILi64Ei19rocblas_complex_numIdEPS1_S1_EviT1_lS3_lT2_lT0_lPT3_i, .Lfunc_end31-_ZL36rocblas_hemvn_kernel_lower_block_sumILi64Ei19rocblas_complex_numIdEPS1_S1_EviT1_lS3_lT2_lT0_lPT3_i
                                        ; -- End function
	.section	.AMDGPU.csdata,"",@progbits
; Kernel info:
; codeLenInByte = 904
; NumSgprs: 26
; NumVgprs: 13
; ScratchSize: 0
; MemoryBound: 0
; FloatMode: 240
; IeeeMode: 1
; LDSByteSize: 0 bytes/workgroup (compile time only)
; SGPRBlocks: 3
; VGPRBlocks: 1
; NumSGPRsForWavesPerEU: 26
; NumVGPRsForWavesPerEU: 13
; Occupancy: 16
; WaveLimiterHint : 0
; COMPUTE_PGM_RSRC2:SCRATCH_EN: 0
; COMPUTE_PGM_RSRC2:USER_SGPR: 14
; COMPUTE_PGM_RSRC2:TRAP_HANDLER: 0
; COMPUTE_PGM_RSRC2:TGID_X_EN: 1
; COMPUTE_PGM_RSRC2:TGID_Y_EN: 0
; COMPUTE_PGM_RSRC2:TGID_Z_EN: 1
; COMPUTE_PGM_RSRC2:TIDIG_COMP_CNT: 0
	.section	.text._ZL26rocblas_hemvn_kernel_upperILb1ELi64ELi4ELi33ELi32ELi16ElPK19rocblas_complex_numIfEPKS3_PS1_EviT6_lT7_lT5_lS8_lS9_lS7_lT8_i,"axG",@progbits,_ZL26rocblas_hemvn_kernel_upperILb1ELi64ELi4ELi33ELi32ELi16ElPK19rocblas_complex_numIfEPKS3_PS1_EviT6_lT7_lT5_lS8_lS9_lS7_lT8_i,comdat
	.globl	_ZL26rocblas_hemvn_kernel_upperILb1ELi64ELi4ELi33ELi32ELi16ElPK19rocblas_complex_numIfEPKS3_PS1_EviT6_lT7_lT5_lS8_lS9_lS7_lT8_i ; -- Begin function _ZL26rocblas_hemvn_kernel_upperILb1ELi64ELi4ELi33ELi32ELi16ElPK19rocblas_complex_numIfEPKS3_PS1_EviT6_lT7_lT5_lS8_lS9_lS7_lT8_i
	.p2align	8
	.type	_ZL26rocblas_hemvn_kernel_upperILb1ELi64ELi4ELi33ELi32ELi16ElPK19rocblas_complex_numIfEPKS3_PS1_EviT6_lT7_lT5_lS8_lS9_lS7_lT8_i,@function
_ZL26rocblas_hemvn_kernel_upperILb1ELi64ELi4ELi33ELi32ELi16ElPK19rocblas_complex_numIfEPKS3_PS1_EviT6_lT7_lT5_lS8_lS9_lS7_lT8_i: ; @_ZL26rocblas_hemvn_kernel_upperILb1ELi64ELi4ELi33ELi32ELi16ElPK19rocblas_complex_numIfEPKS3_PS1_EviT6_lT7_lT5_lS8_lS9_lS7_lT8_i
; %bb.0:
	s_load_b64 s[2:3], s[0:1], 0x84
	s_add_u32 s22, s0, 0x78
	s_addc_u32 s23, s1, 0
	s_waitcnt lgkmcnt(0)
	s_lshr_b32 s4, s2, 16
	s_and_b32 s2, s2, 0xffff
	s_and_b32 s3, s3, 0xffff
	s_mul_i32 s2, s4, s2
	s_delay_alu instid0(SALU_CYCLE_1) | instskip(NEXT) | instid1(SALU_CYCLE_1)
	s_mul_i32 s2, s2, s3
	s_cmpk_lg_i32 s2, 0x100
	s_cbranch_scc1 .LBB32_192
; %bb.1:
	s_load_b256 s[4:11], s[0:1], 0x8
	s_mov_b32 s18, s15
	s_mov_b32 s19, 0
	s_waitcnt lgkmcnt(0)
	s_mul_i32 s2, s15, s7
	s_mul_hi_u32 s3, s15, s6
	s_delay_alu instid0(SALU_CYCLE_1) | instskip(SKIP_1) | instid1(SALU_CYCLE_1)
	s_add_i32 s3, s3, s2
	s_mul_i32 s2, s15, s6
	s_lshl_b64 s[2:3], s[2:3], 3
	s_delay_alu instid0(SALU_CYCLE_1)
	s_add_u32 s2, s4, s2
	s_addc_u32 s3, s5, s3
	s_load_b64 s[2:3], s[2:3], 0x0
	s_clause 0x2
	s_load_b64 s[20:21], s[0:1], 0x68
	s_load_b64 s[12:13], s[0:1], 0x28
	s_load_b128 s[4:7], s[0:1], 0x58
	s_waitcnt lgkmcnt(0)
	s_or_b32 s2, s2, s3
	s_delay_alu instid0(SALU_CYCLE_1) | instskip(NEXT) | instid1(SALU_CYCLE_1)
	s_bitset0_b32 s2, 31
	s_cmp_lg_u32 s2, 0
	s_cselect_b32 s15, -1, 0
	s_delay_alu instid0(SALU_CYCLE_1)
	s_and_b32 vcc_lo, exec_lo, s15
	s_cbranch_vccnz .LBB32_4
; %bb.2:
	s_mul_i32 s3, s18, s7
	s_mul_hi_u32 s7, s18, s6
	s_mul_i32 s2, s18, s6
	s_add_i32 s3, s7, s3
	s_delay_alu instid0(SALU_CYCLE_1) | instskip(NEXT) | instid1(SALU_CYCLE_1)
	s_lshl_b64 s[2:3], s[2:3], 3
	s_add_u32 s2, s4, s2
	s_addc_u32 s3, s5, s3
	s_mov_b32 s5, 0
	s_load_b64 s[2:3], s[2:3], 0x0
	s_mov_b32 s4, 0
	s_waitcnt lgkmcnt(0)
	v_cmp_eq_f32_e64 s2, s2, 1.0
	v_cmp_eq_f32_e64 s3, s3, 0
	s_delay_alu instid0(VALU_DEP_1) | instskip(NEXT) | instid1(SALU_CYCLE_1)
	s_and_b32 s2, s2, s3
	s_and_not1_b32 vcc_lo, exec_lo, s2
                                        ; implicit-def: $sgpr2_sgpr3
	s_cbranch_vccz .LBB32_5
; %bb.3:
	s_mov_b32 s4, -1
	s_mov_b64 s[2:3], 0
	s_branch .LBB32_5
.LBB32_4:
	s_mov_b32 s5, -1
	s_mov_b32 s4, s19
                                        ; implicit-def: $sgpr2_sgpr3
.LBB32_5:
	s_and_b32 vcc_lo, exec_lo, s5
	s_cbranch_vccz .LBB32_7
; %bb.6:
	s_lshl_b64 s[2:3], s[18:19], 3
	s_delay_alu instid0(SALU_CYCLE_1)
	s_add_u32 s2, s8, s2
	s_addc_u32 s3, s9, s3
	s_lshl_b64 s[4:5], s[10:11], 3
	s_load_b64 s[2:3], s[2:3], 0x0
	s_waitcnt lgkmcnt(0)
	s_add_u32 s2, s2, s4
	s_addc_u32 s3, s3, s5
	s_mov_b32 s4, -1
.LBB32_7:
	s_delay_alu instid0(SALU_CYCLE_1)
	s_and_not1_b32 vcc_lo, exec_lo, s4
	s_cbranch_vccnz .LBB32_192
; %bb.8:
	s_clause 0x1
	s_load_b128 s[4:7], s[0:1], 0x38
	s_load_b64 s[8:9], s[0:1], 0x48
	v_cndmask_b32_e64 v1, 0, 1, s15
	s_and_not1_b32 vcc_lo, exec_lo, s15
	s_mov_b64 s[10:11], 0
	s_cbranch_vccnz .LBB32_10
; %bb.9:
	s_lshl_b64 s[10:11], s[18:19], 3
	s_waitcnt lgkmcnt(0)
	s_add_u32 s4, s4, s10
	s_addc_u32 s5, s5, s11
	s_lshl_b64 s[6:7], s[6:7], 3
	s_load_b64 s[4:5], s[4:5], 0x0
	s_waitcnt lgkmcnt(0)
	s_add_u32 s10, s4, s6
	s_addc_u32 s11, s5, s7
.LBB32_10:
	s_delay_alu instid0(VALU_DEP_1)
	v_cmp_ne_u32_e32 vcc_lo, 1, v1
	s_cbranch_vccnz .LBB32_192
; %bb.11:
	v_and_b32_e32 v93, 0x3ff, v0
	s_lshl_b32 s16, s14, 6
	s_load_b32 s24, s[0:1], 0x0
	s_waitcnt lgkmcnt(0)
	s_load_b32 s7, s[22:23], 0x0
	v_bfe_u32 v94, v0, 10, 10
	v_add_nc_u32_e32 v24, s16, v93
	s_mov_b32 s4, -1
	s_delay_alu instid0(VALU_DEP_1) | instskip(SKIP_2) | instid1(VALU_DEP_3)
	v_ashrrev_i32_e32 v25, 31, v24
	v_mul_lo_u32 v3, v24, s9
	v_mad_u64_u32 v[1:2], null, v24, s8, 0
	v_mul_lo_u32 v4, v25, s8
	s_ashr_i32 s25, s24, 31
	s_delay_alu instid0(VALU_DEP_1) | instskip(SKIP_4) | instid1(SALU_CYCLE_1)
	v_add3_u32 v2, v2, v3, v4
	s_lshr_b32 s0, s25, 26
	s_waitcnt lgkmcnt(0)
	s_add_i32 s1, s7, -1
	s_add_i32 s0, s24, s0
	s_and_not1_b32 s0, s0, 63
	v_lshlrev_b64 v[1:2], 3, v[1:2]
	s_sub_i32 s15, s24, s0
	v_cmp_eq_u32_e64 s0, 0, v94
	s_cmp_eq_u32 s14, s1
	s_delay_alu instid0(VALU_DEP_2) | instskip(NEXT) | instid1(VALU_DEP_3)
	v_add_co_u32 v14, vcc_lo, s10, v1
	v_add_co_ci_u32_e32 v15, vcc_lo, s11, v2, vcc_lo
	s_cselect_b32 s10, s15, 0
	s_and_saveexec_b32 s1, s0
	s_cbranch_execz .LBB32_16
; %bb.12:
	v_cmp_le_i32_e32 vcc_lo, s10, v93
	s_cmp_lg_u32 s10, 0
	v_lshl_add_u32 v0, v93, 3, 0x2380
	s_cselect_b32 s5, -1, 0
	s_delay_alu instid0(SALU_CYCLE_1) | instskip(NEXT) | instid1(SALU_CYCLE_1)
	s_and_b32 s5, s5, vcc_lo
	s_and_saveexec_b32 s6, s5
	s_delay_alu instid0(SALU_CYCLE_1)
	s_xor_b32 s5, exec_lo, s6
	s_cbranch_execz .LBB32_14
; %bb.13:
	v_mov_b32_e32 v1, 0
	s_delay_alu instid0(VALU_DEP_1)
	v_mov_b32_e32 v2, v1
	ds_store_b64 v0, v[1:2]
                                        ; implicit-def: $vgpr0
.LBB32_14:
	s_and_not1_saveexec_b32 s5, s5
	s_cbranch_execz .LBB32_16
; %bb.15:
	flat_load_b64 v[1:2], v[14:15]
	s_waitcnt vmcnt(0) lgkmcnt(0)
	ds_store_b64 v0, v[1:2]
.LBB32_16:
	s_or_b32 exec_lo, exec_lo, s1
	v_lshl_add_u32 v22, v94, 6, v93
	v_dual_mov_b32 v1, 0 :: v_dual_and_b32 v0, 31, v93
	s_ashr_i32 s17, s16, 31
	s_mul_i32 s1, s16, s13
	s_delay_alu instid0(VALU_DEP_2)
	v_lshrrev_b32_e32 v7, 5, v22
	s_lshl_b64 s[22:23], s[16:17], 3
	s_mul_hi_u32 s5, s16, s12
	s_add_u32 s11, s2, s22
	s_mul_i32 s6, s17, s12
	v_mad_u64_u32 v[2:3], null, v7, s12, v[0:1]
	s_addc_u32 s19, s3, s23
	s_add_i32 s1, s5, s1
	s_mul_i32 s2, s16, s12
	s_add_i32 s3, s1, s6
	v_cmp_gt_i32_e64 s1, s10, v0
	s_lshl_b64 s[2:3], s[2:3], 3
	s_delay_alu instid0(VALU_DEP_2)
	v_mov_b32_e32 v1, v3
	s_add_u32 s2, s2, s11
	s_addc_u32 s3, s3, s19
	s_cmp_eq_u32 s10, 0
	v_lshlrev_b32_e32 v9, 3, v0
	v_mad_u64_u32 v[3:4], null, v7, s13, v[1:2]
	s_cselect_b32 s19, -1, 0
	s_cmp_lg_u32 s10, 0
	v_mul_u32_u24_e32 v8, 33, v7
	s_cselect_b32 s26, -1, 0
	s_delay_alu instid0(SALU_CYCLE_1) | instskip(NEXT) | instid1(VALU_DEP_2)
	s_and_b32 vcc_lo, exec_lo, s26
	v_lshlrev_b64 v[12:13], 3, v[2:3]
	s_delay_alu instid0(VALU_DEP_1) | instskip(NEXT) | instid1(VALU_DEP_1)
	v_add_co_u32 v3, s2, s2, v12
	v_add_co_ci_u32_e64 v4, s2, s3, v13, s2
	s_cbranch_vccz .LBB32_34
; %bb.17:
	s_delay_alu instid0(VALU_DEP_2) | instskip(SKIP_1) | instid1(VALU_DEP_2)
	v_sub_co_u32 v1, vcc_lo, v3, v9
	s_ashr_i32 s11, s10, 31
	v_subrev_co_ci_u32_e32 v2, vcc_lo, 0, v4, vcc_lo
	s_lshl_b64 s[2:3], s[10:11], 3
	v_add_lshl_u32 v5, v8, v0, 3
	v_add_co_u32 v1, vcc_lo, v1, s2
	s_delay_alu instid0(VALU_DEP_3) | instskip(SKIP_1) | instid1(VALU_DEP_2)
	v_add_co_ci_u32_e32 v2, vcc_lo, s3, v2, vcc_lo
	s_mov_b32 s4, exec_lo
	v_add_co_u32 v1, vcc_lo, v1, -8
	s_delay_alu instid0(VALU_DEP_2) | instskip(NEXT) | instid1(VALU_DEP_2)
	v_add_co_ci_u32_e32 v2, vcc_lo, -1, v2, vcc_lo
	v_cndmask_b32_e64 v1, v1, v3, s1
	s_delay_alu instid0(VALU_DEP_2)
	v_cndmask_b32_e64 v2, v2, v4, s1
	v_cmpx_le_i32_e64 s10, v7
	s_xor_b32 s4, exec_lo, s4
	s_cbranch_execz .LBB32_19
; %bb.18:
	v_mov_b32_e32 v10, 0
	s_delay_alu instid0(VALU_DEP_1)
	v_mov_b32_e32 v11, v10
	ds_store_b64 v5, v[10:11]
.LBB32_19:
	s_and_not1_saveexec_b32 s4, s4
	s_cbranch_execz .LBB32_21
; %bb.20:
	flat_load_b64 v[10:11], v[1:2]
	s_waitcnt vmcnt(0) lgkmcnt(0)
	ds_store_b64 v5, v[10:11]
.LBB32_21:
	s_or_b32 exec_lo, exec_lo, s4
	v_add_nc_u32_e32 v6, 8, v7
	s_mov_b32 s4, exec_lo
	s_delay_alu instid0(VALU_DEP_1)
	v_cmpx_le_i32_e64 s10, v6
	s_xor_b32 s4, exec_lo, s4
	s_cbranch_execz .LBB32_23
; %bb.22:
	v_mul_u32_u24_e32 v6, 33, v6
	v_mov_b32_e32 v10, 0
	s_delay_alu instid0(VALU_DEP_2) | instskip(NEXT) | instid1(VALU_DEP_2)
	v_add_lshl_u32 v6, v6, v0, 3
	v_mov_b32_e32 v11, v10
	ds_store_b64 v6, v[10:11]
.LBB32_23:
	s_and_not1_saveexec_b32 s4, s4
	s_cbranch_execz .LBB32_25
; %bb.24:
	s_lshl_b64 s[22:23], s[12:13], 6
	s_delay_alu instid0(SALU_CYCLE_1)
	v_add_co_u32 v10, vcc_lo, v1, s22
	v_add_co_ci_u32_e32 v11, vcc_lo, s23, v2, vcc_lo
	flat_load_b64 v[10:11], v[10:11]
	s_waitcnt vmcnt(0) lgkmcnt(0)
	ds_store_b64 v5, v[10:11] offset:2112
.LBB32_25:
	s_or_b32 exec_lo, exec_lo, s4
	v_add_nc_u32_e32 v6, 16, v7
	s_mov_b32 s4, exec_lo
	s_delay_alu instid0(VALU_DEP_1)
	v_cmpx_le_i32_e64 s10, v6
	s_xor_b32 s4, exec_lo, s4
	s_cbranch_execz .LBB32_27
; %bb.26:
	v_mov_b32_e32 v10, 0
	s_delay_alu instid0(VALU_DEP_1)
	v_mov_b32_e32 v11, v10
	ds_store_b64 v5, v[10:11] offset:4224
.LBB32_27:
	s_and_not1_saveexec_b32 s4, s4
	s_cbranch_execz .LBB32_29
; %bb.28:
	s_lshl_b64 s[22:23], s[12:13], 7
	s_delay_alu instid0(SALU_CYCLE_1)
	v_add_co_u32 v10, vcc_lo, v1, s22
	v_add_co_ci_u32_e32 v11, vcc_lo, s23, v2, vcc_lo
	flat_load_b64 v[10:11], v[10:11]
	s_waitcnt vmcnt(0) lgkmcnt(0)
	ds_store_b64 v5, v[10:11] offset:4224
.LBB32_29:
	s_or_b32 exec_lo, exec_lo, s4
	v_add_nc_u32_e32 v6, 24, v7
	s_mov_b32 s4, exec_lo
	s_delay_alu instid0(VALU_DEP_1)
	v_cmpx_le_i32_e64 s10, v6
	s_xor_b32 s4, exec_lo, s4
	s_cbranch_execz .LBB32_31
; %bb.30:
	v_mov_b32_e32 v10, 0
	s_delay_alu instid0(VALU_DEP_1)
	v_mov_b32_e32 v11, v10
	ds_store_b64 v5, v[10:11] offset:6336
                                        ; implicit-def: $vgpr5
.LBB32_31:
	s_and_not1_saveexec_b32 s4, s4
	s_cbranch_execz .LBB32_33
; %bb.32:
	v_mad_u64_u32 v[10:11], null, 0xc0, s12, v[1:2]
	s_delay_alu instid0(VALU_DEP_1) | instskip(NEXT) | instid1(VALU_DEP_1)
	v_mov_b32_e32 v6, v11
	v_mad_u64_u32 v[16:17], null, 0xc0, s13, v[6:7]
	s_delay_alu instid0(VALU_DEP_1)
	v_mov_b32_e32 v11, v16
	flat_load_b64 v[10:11], v[10:11]
	s_waitcnt vmcnt(0) lgkmcnt(0)
	ds_store_b64 v5, v[10:11] offset:6336
.LBB32_33:
	s_or_b32 exec_lo, exec_lo, s4
	v_add_co_u32 v1, vcc_lo, v1, v9
	v_add_co_ci_u32_e32 v2, vcc_lo, 0, v2, vcc_lo
	s_delay_alu instid0(VALU_DEP_2) | instskip(NEXT) | instid1(VALU_DEP_2)
	v_sub_co_u32 v1, vcc_lo, v1, s2
	v_subrev_co_ci_u32_e32 v2, vcc_lo, s3, v2, vcc_lo
	s_delay_alu instid0(VALU_DEP_2) | instskip(NEXT) | instid1(VALU_DEP_2)
	v_add_co_u32 v1, vcc_lo, v1, 8
	v_add_co_ci_u32_e32 v2, vcc_lo, 0, v2, vcc_lo
	s_delay_alu instid0(VALU_DEP_2) | instskip(NEXT) | instid1(VALU_DEP_2)
	v_cndmask_b32_e64 v1, v1, v3, s1
	v_cndmask_b32_e64 v2, v2, v4, s1
	s_branch .LBB32_36
.LBB32_34:
                                        ; implicit-def: $vgpr1_vgpr2
	s_and_b32 vcc_lo, exec_lo, s4
	s_cbranch_vccz .LBB32_36
; %bb.35:
	flat_load_b64 v[1:2], v[3:4]
	s_lshl_b64 s[2:3], s[12:13], 6
	v_add_lshl_u32 v16, v8, v0, 3
	v_add_co_u32 v5, vcc_lo, v3, s2
	v_add_co_ci_u32_e32 v6, vcc_lo, s3, v4, vcc_lo
	s_waitcnt vmcnt(0) lgkmcnt(0)
	ds_store_b64 v16, v[1:2]
	flat_load_b64 v[1:2], v[5:6]
	v_add_co_u32 v5, vcc_lo, v5, s2
	v_add_co_ci_u32_e32 v6, vcc_lo, s3, v6, vcc_lo
	s_waitcnt vmcnt(0) lgkmcnt(0)
	ds_store_b64 v16, v[1:2] offset:2112
	flat_load_b64 v[1:2], v[5:6]
	v_mad_u64_u32 v[5:6], null, 0xc0, s12, v[3:4]
	s_delay_alu instid0(VALU_DEP_1) | instskip(NEXT) | instid1(VALU_DEP_1)
	v_mad_u64_u32 v[10:11], null, 0xc0, s13, v[6:7]
	v_mov_b32_e32 v6, v10
	s_waitcnt vmcnt(0) lgkmcnt(0)
	ds_store_b64 v16, v[1:2] offset:4224
	v_mov_b32_e32 v1, v3
	flat_load_b64 v[5:6], v[5:6]
	v_mov_b32_e32 v2, v4
	s_waitcnt vmcnt(0) lgkmcnt(0)
	ds_store_b64 v16, v[5:6] offset:6336
.LBB32_36:
	v_lshlrev_b32_e32 v19, 2, v7
	s_waitcnt lgkmcnt(0)
	s_barrier
	buffer_gl0_inv
	v_cmp_le_u32_e64 s2, v19, v0
	s_delay_alu instid0(VALU_DEP_1) | instskip(NEXT) | instid1(SALU_CYCLE_1)
	s_and_saveexec_b32 s1, s2
	s_xor_b32 s1, exec_lo, s1
	s_cbranch_execz .LBB32_40
; %bb.37:
	s_mov_b32 s3, exec_lo
	v_cmpx_eq_u32_e64 v19, v0
	s_cbranch_execz .LBB32_39
; %bb.38:
	v_mul_u32_u24_e32 v3, 34, v0
	s_delay_alu instid0(VALU_DEP_1)
	v_dual_mov_b32 v4, 0 :: v_dual_lshlrev_b32 v3, 3, v3
	ds_store_b32 v3, v4 offset:4
.LBB32_39:
	s_or_b32 exec_lo, exec_lo, s3
.LBB32_40:
	s_or_saveexec_b32 s1, s1
	v_mul_u32_u24_e32 v10, 33, v0
	v_mul_u32_u24_e32 v3, 0x84, v7
	s_delay_alu instid0(VALU_DEP_2)
	v_add_lshl_u32 v16, v19, v10, 3
	s_xor_b32 exec_lo, exec_lo, s1
	s_cbranch_execz .LBB32_42
; %bb.41:
	s_delay_alu instid0(VALU_DEP_2)
	v_add_lshl_u32 v4, v3, v0, 3
	ds_load_b64 v[4:5], v4
	s_waitcnt lgkmcnt(0)
	v_xor_b32_e32 v5, 0x80000000, v5
	ds_store_b64 v16, v[4:5]
.LBB32_42:
	s_or_b32 exec_lo, exec_lo, s1
	v_or_b32_e32 v17, 1, v19
	v_cmp_ge_u32_e64 s3, v19, v0
	s_delay_alu instid0(VALU_DEP_2) | instskip(NEXT) | instid1(VALU_DEP_2)
	v_mul_u32_u24_e32 v4, 33, v17
	s_and_saveexec_b32 s1, s3
	s_delay_alu instid0(SALU_CYCLE_1)
	s_xor_b32 s1, exec_lo, s1
	s_cbranch_execz .LBB32_44
; %bb.43:
	s_delay_alu instid0(VALU_DEP_1)
	v_add_lshl_u32 v5, v4, v0, 3
	ds_load_b64 v[5:6], v5
	s_waitcnt lgkmcnt(0)
	v_xor_b32_e32 v6, 0x80000000, v6
	ds_store_b64 v16, v[5:6] offset:8
.LBB32_44:
	s_and_not1_saveexec_b32 s1, s1
	s_cbranch_execz .LBB32_48
; %bb.45:
	s_mov_b32 s4, exec_lo
	v_cmpx_eq_u32_e64 v17, v0
	s_cbranch_execz .LBB32_47
; %bb.46:
	v_mul_u32_u24_e32 v5, 34, v0
	s_delay_alu instid0(VALU_DEP_1)
	v_dual_mov_b32 v6, 0 :: v_dual_lshlrev_b32 v5, 3, v5
	ds_store_b32 v5, v6 offset:4
.LBB32_47:
	s_or_b32 exec_lo, exec_lo, s4
.LBB32_48:
	s_delay_alu instid0(SALU_CYCLE_1) | instskip(SKIP_1) | instid1(VALU_DEP_1)
	s_or_b32 exec_lo, exec_lo, s1
	v_or_b32_e32 v20, 2, v19
	v_cmp_le_u32_e64 s4, v20, v0
	s_delay_alu instid0(VALU_DEP_1) | instskip(NEXT) | instid1(SALU_CYCLE_1)
	s_and_saveexec_b32 s1, s4
	s_xor_b32 s1, exec_lo, s1
	s_cbranch_execz .LBB32_52
; %bb.49:
	s_mov_b32 s5, exec_lo
	v_cmpx_eq_u32_e64 v20, v0
	s_cbranch_execz .LBB32_51
; %bb.50:
	v_mul_u32_u24_e32 v5, 34, v0
	s_delay_alu instid0(VALU_DEP_1)
	v_dual_mov_b32 v6, 0 :: v_dual_lshlrev_b32 v5, 3, v5
	ds_store_b32 v5, v6 offset:4
.LBB32_51:
	s_or_b32 exec_lo, exec_lo, s5
.LBB32_52:
	s_and_not1_saveexec_b32 s1, s1
	s_cbranch_execz .LBB32_54
; %bb.53:
	v_mul_u32_u24_e32 v5, 33, v20
	s_delay_alu instid0(VALU_DEP_1)
	v_add_lshl_u32 v5, v5, v0, 3
	ds_load_b64 v[5:6], v5
	s_waitcnt lgkmcnt(0)
	v_xor_b32_e32 v6, 0x80000000, v6
	ds_store_b64 v16, v[5:6] offset:16
.LBB32_54:
	s_or_b32 exec_lo, exec_lo, s1
	v_or_b32_e32 v21, 3, v19
	s_delay_alu instid0(VALU_DEP_1) | instskip(NEXT) | instid1(VALU_DEP_1)
	v_cmp_le_u32_e64 s5, v21, v0
	s_and_saveexec_b32 s1, s5
	s_delay_alu instid0(SALU_CYCLE_1)
	s_xor_b32 s1, exec_lo, s1
	s_cbranch_execz .LBB32_58
; %bb.55:
	s_mov_b32 s6, exec_lo
	v_cmpx_eq_u32_e64 v21, v0
	s_cbranch_execz .LBB32_57
; %bb.56:
	v_mul_u32_u24_e32 v5, 34, v0
	s_delay_alu instid0(VALU_DEP_1)
	v_dual_mov_b32 v6, 0 :: v_dual_lshlrev_b32 v5, 3, v5
	ds_store_b32 v5, v6 offset:4
.LBB32_57:
	s_or_b32 exec_lo, exec_lo, s6
.LBB32_58:
	s_and_not1_saveexec_b32 s1, s1
	s_cbranch_execz .LBB32_60
; %bb.59:
	v_mul_u32_u24_e32 v5, 33, v21
	s_delay_alu instid0(VALU_DEP_1)
	v_add_lshl_u32 v5, v5, v0, 3
	ds_load_b64 v[5:6], v5
	s_waitcnt lgkmcnt(0)
	v_xor_b32_e32 v6, 0x80000000, v6
	ds_store_b64 v16, v[5:6] offset:24
.LBB32_60:
	s_or_b32 exec_lo, exec_lo, s1
	v_add_lshl_u32 v11, v3, v0, 3
	v_lshlrev_b32_e32 v29, 3, v19
	v_add_lshl_u32 v18, v4, v0, 3
	s_waitcnt lgkmcnt(0)
	s_barrier
	buffer_gl0_inv
	ds_load_b64 v[26:27], v11
	ds_load_b128 v[3:6], v29 offset:9088
	ds_load_2addr_b64 v[30:33], v18 offset1:33
	ds_load_b128 v[34:37], v29 offset:9104
	ds_load_b64 v[38:39], v18 offset:528
	v_cmp_gt_u32_e64 s1, 32, v22
	s_waitcnt lgkmcnt(0)
	s_barrier
	buffer_gl0_inv
	v_mul_f32_e32 v23, v4, v27
	v_mul_f32_e32 v27, v3, v27
	;; [unrolled: 1-line block ×3, first 2 shown]
	v_dual_mul_f32 v31, v5, v31 :: v_dual_mul_f32 v40, v35, v33
	s_delay_alu instid0(VALU_DEP_4) | instskip(NEXT) | instid1(VALU_DEP_4)
	v_fma_f32 v3, v3, v26, -v23
	v_fmac_f32_e32 v27, v4, v26
	v_dual_mul_f32 v33, v34, v33 :: v_dual_mul_f32 v4, v37, v39
	v_fma_f32 v5, v5, v30, -v28
	s_delay_alu instid0(VALU_DEP_3)
	v_dual_fmac_f32 v31, v6, v30 :: v_dual_add_f32 v6, 0, v27
	v_add_f32_e32 v3, 0, v3
	v_mul_f32_e32 v27, v36, v39
	v_fma_f32 v23, v34, v32, -v40
	v_fma_f32 v4, v36, v38, -v4
	v_add_lshl_u32 v28, v7, v10, 3
	v_add_f32_e32 v3, v3, v5
	v_add_f32_e32 v5, v6, v31
	v_fmac_f32_e32 v27, v37, v38
	v_dual_fmac_f32 v33, v35, v32 :: v_dual_mov_b32 v26, 0
	s_delay_alu instid0(VALU_DEP_4) | instskip(SKIP_1) | instid1(VALU_DEP_3)
	v_add_f32_e32 v3, v3, v23
	v_lshlrev_b32_e32 v23, 3, v10
	v_add_f32_e32 v5, v5, v33
	s_delay_alu instid0(VALU_DEP_1)
	v_dual_add_f32 v3, v3, v4 :: v_dual_add_f32 v4, v5, v27
	v_mov_b32_e32 v27, 0
	ds_store_b64 v28, v[3:4]
	s_waitcnt lgkmcnt(0)
	s_barrier
	buffer_gl0_inv
	s_and_saveexec_b32 s6, s1
	s_cbranch_execz .LBB32_62
; %bb.61:
	ds_load_2addr_b64 v[3:6], v23 offset1:7
	ds_load_2addr_b64 v[30:33], v23 offset0:1 offset1:2
	ds_load_2addr_b64 v[34:37], v23 offset0:3 offset1:4
	;; [unrolled: 1-line block ×3, first 2 shown]
	s_waitcnt lgkmcnt(2)
	v_dual_add_f32 v3, v30, v3 :: v_dual_add_f32 v4, v31, v4
	s_delay_alu instid0(VALU_DEP_1) | instskip(SKIP_1) | instid1(VALU_DEP_1)
	v_dual_add_f32 v3, v3, v32 :: v_dual_add_f32 v4, v4, v33
	s_waitcnt lgkmcnt(1)
	v_dual_add_f32 v3, v3, v34 :: v_dual_add_f32 v4, v4, v35
	s_delay_alu instid0(VALU_DEP_1) | instskip(SKIP_1) | instid1(VALU_DEP_1)
	v_dual_add_f32 v3, v3, v36 :: v_dual_add_f32 v4, v4, v37
	s_waitcnt lgkmcnt(0)
	v_dual_add_f32 v3, v3, v38 :: v_dual_add_f32 v4, v4, v39
	s_delay_alu instid0(VALU_DEP_1) | instskip(NEXT) | instid1(VALU_DEP_1)
	v_dual_add_f32 v3, v3, v40 :: v_dual_add_f32 v4, v4, v41
	v_dual_add_f32 v26, v3, v5 :: v_dual_add_f32 v27, v4, v6
.LBB32_62:
	s_or_b32 exec_lo, exec_lo, s6
	s_lshl_b64 s[22:23], s[12:13], 8
	s_delay_alu instid0(SALU_CYCLE_1) | instskip(SKIP_2) | instid1(VALU_DEP_2)
	v_add_co_u32 v5, vcc_lo, v1, s22
	v_add_co_ci_u32_e32 v6, vcc_lo, s23, v2, vcc_lo
	s_barrier
	v_add_co_u32 v3, vcc_lo, 0x100, v5
	s_delay_alu instid0(VALU_DEP_2)
	v_add_co_ci_u32_e32 v4, vcc_lo, 0, v6, vcc_lo
	s_and_b32 vcc_lo, exec_lo, s26
	buffer_gl0_inv
	s_cbranch_vccz .LBB32_80
; %bb.63:
	v_or_b32_e32 v1, 32, v0
	s_ashr_i32 s11, s10, 31
	s_delay_alu instid0(SALU_CYCLE_1) | instskip(SKIP_1) | instid1(VALU_DEP_1)
	s_lshl_b64 s[22:23], s[10:11], 3
	s_sub_i32 s11, s10, 32
	v_lshlrev_b32_e32 v2, 3, v1
	v_cmp_le_i32_e64 s6, s11, v7
	s_delay_alu instid0(VALU_DEP_2) | instskip(SKIP_1) | instid1(VALU_DEP_2)
	v_sub_co_u32 v2, vcc_lo, v3, v2
	v_subrev_co_ci_u32_e32 v30, vcc_lo, 0, v4, vcc_lo
	v_add_co_u32 v2, vcc_lo, v2, s22
	s_delay_alu instid0(VALU_DEP_2) | instskip(NEXT) | instid1(VALU_DEP_2)
	v_add_co_ci_u32_e32 v30, vcc_lo, s23, v30, vcc_lo
	v_add_co_u32 v31, vcc_lo, v2, -8
	s_delay_alu instid0(VALU_DEP_2) | instskip(SKIP_2) | instid1(VALU_DEP_3)
	v_add_co_ci_u32_e32 v2, vcc_lo, -1, v30, vcc_lo
	v_cmp_gt_i32_e32 vcc_lo, s10, v1
	v_add_lshl_u32 v30, v8, v0, 3
	v_dual_cndmask_b32 v1, v31, v3 :: v_dual_cndmask_b32 v2, v2, v4
	s_and_saveexec_b32 s27, s6
	s_delay_alu instid0(SALU_CYCLE_1)
	s_xor_b32 s6, exec_lo, s27
	s_cbranch_execz .LBB32_65
; %bb.64:
	v_mov_b32_e32 v31, 0
	s_delay_alu instid0(VALU_DEP_1)
	v_mov_b32_e32 v32, v31
	ds_store_b64 v30, v[31:32]
.LBB32_65:
	s_and_not1_saveexec_b32 s6, s6
	s_cbranch_execz .LBB32_67
; %bb.66:
	flat_load_b64 v[31:32], v[1:2]
	s_waitcnt vmcnt(0) lgkmcnt(0)
	ds_store_b64 v30, v[31:32]
.LBB32_67:
	s_or_b32 exec_lo, exec_lo, s6
	v_add_nc_u32_e32 v31, 8, v7
	s_delay_alu instid0(VALU_DEP_1) | instskip(NEXT) | instid1(VALU_DEP_1)
	v_cmp_le_i32_e64 s6, s11, v31
	s_and_saveexec_b32 s27, s6
	s_delay_alu instid0(SALU_CYCLE_1)
	s_xor_b32 s6, exec_lo, s27
	s_cbranch_execz .LBB32_69
; %bb.68:
	v_mul_u32_u24_e32 v32, 33, v31
	v_mov_b32_e32 v31, 0
	s_delay_alu instid0(VALU_DEP_2) | instskip(NEXT) | instid1(VALU_DEP_2)
	v_add_lshl_u32 v33, v32, v0, 3
	v_mov_b32_e32 v32, v31
	ds_store_b64 v33, v[31:32]
.LBB32_69:
	s_and_not1_saveexec_b32 s27, s6
	s_cbranch_execz .LBB32_71
; %bb.70:
	s_lshl_b64 s[28:29], s[12:13], 6
	s_delay_alu instid0(SALU_CYCLE_1) | instskip(NEXT) | instid1(VALU_DEP_1)
	v_add_co_u32 v31, s6, v1, s28
	v_add_co_ci_u32_e64 v32, s6, s29, v2, s6
	flat_load_b64 v[31:32], v[31:32]
	s_waitcnt vmcnt(0) lgkmcnt(0)
	ds_store_b64 v30, v[31:32] offset:2112
.LBB32_71:
	s_or_b32 exec_lo, exec_lo, s27
	v_add_nc_u32_e32 v31, 16, v7
	s_delay_alu instid0(VALU_DEP_1) | instskip(NEXT) | instid1(VALU_DEP_1)
	v_cmp_le_i32_e64 s6, s11, v31
	s_and_saveexec_b32 s27, s6
	s_delay_alu instid0(SALU_CYCLE_1)
	s_xor_b32 s6, exec_lo, s27
	s_cbranch_execz .LBB32_73
; %bb.72:
	v_mov_b32_e32 v31, 0
	s_delay_alu instid0(VALU_DEP_1)
	v_mov_b32_e32 v32, v31
	ds_store_b64 v30, v[31:32] offset:4224
.LBB32_73:
	s_and_not1_saveexec_b32 s27, s6
	s_cbranch_execz .LBB32_75
; %bb.74:
	s_lshl_b64 s[28:29], s[12:13], 7
	s_delay_alu instid0(SALU_CYCLE_1) | instskip(NEXT) | instid1(VALU_DEP_1)
	v_add_co_u32 v31, s6, v1, s28
	v_add_co_ci_u32_e64 v32, s6, s29, v2, s6
	flat_load_b64 v[31:32], v[31:32]
	s_waitcnt vmcnt(0) lgkmcnt(0)
	ds_store_b64 v30, v[31:32] offset:4224
.LBB32_75:
	s_or_b32 exec_lo, exec_lo, s27
	v_add_nc_u32_e32 v31, 24, v7
	s_delay_alu instid0(VALU_DEP_1) | instskip(NEXT) | instid1(VALU_DEP_1)
	v_cmp_le_i32_e64 s6, s11, v31
	s_and_saveexec_b32 s11, s6
	s_delay_alu instid0(SALU_CYCLE_1)
	s_xor_b32 s6, exec_lo, s11
	s_cbranch_execz .LBB32_77
; %bb.76:
	v_mov_b32_e32 v31, 0
	s_delay_alu instid0(VALU_DEP_1)
	v_mov_b32_e32 v32, v31
	ds_store_b64 v30, v[31:32] offset:6336
                                        ; implicit-def: $vgpr30
.LBB32_77:
	s_and_not1_saveexec_b32 s6, s6
	s_cbranch_execz .LBB32_79
; %bb.78:
	v_mad_u64_u32 v[31:32], null, 0xc0, s12, v[1:2]
	s_delay_alu instid0(VALU_DEP_1) | instskip(NEXT) | instid1(VALU_DEP_1)
	v_mad_u64_u32 v[33:34], null, 0xc0, s13, v[32:33]
	v_mov_b32_e32 v32, v33
	flat_load_b64 v[31:32], v[31:32]
	s_waitcnt vmcnt(0) lgkmcnt(0)
	ds_store_b64 v30, v[31:32] offset:6336
.LBB32_79:
	s_or_b32 exec_lo, exec_lo, s6
	v_add_co_u32 v1, s6, v1, v9
	s_delay_alu instid0(VALU_DEP_1) | instskip(NEXT) | instid1(VALU_DEP_2)
	v_add_co_ci_u32_e64 v2, s6, 0, v2, s6
	v_sub_co_u32 v1, s6, v1, s22
	s_delay_alu instid0(VALU_DEP_1) | instskip(NEXT) | instid1(VALU_DEP_2)
	v_subrev_co_ci_u32_e64 v2, s6, s23, v2, s6
	v_add_co_u32 v1, s6, 0x108, v1
	s_delay_alu instid0(VALU_DEP_1) | instskip(NEXT) | instid1(VALU_DEP_1)
	v_add_co_ci_u32_e64 v2, s6, 0, v2, s6
	v_dual_cndmask_b32 v1, v1, v3 :: v_dual_cndmask_b32 v2, v2, v4
	s_branch .LBB32_82
.LBB32_80:
                                        ; implicit-def: $vgpr1_vgpr2
	s_cbranch_execz .LBB32_82
; %bb.81:
	flat_load_b64 v[1:2], v[5:6] offset:256
	s_lshl_b64 s[22:23], s[12:13], 6
	v_add_lshl_u32 v33, v8, v0, 3
	v_add_co_u32 v30, vcc_lo, v5, s22
	v_add_co_ci_u32_e32 v31, vcc_lo, s23, v6, vcc_lo
	s_waitcnt vmcnt(0) lgkmcnt(0)
	ds_store_b64 v33, v[1:2]
	flat_load_b64 v[1:2], v[30:31] offset:256
	v_add_co_u32 v30, vcc_lo, v30, s22
	v_add_co_ci_u32_e32 v31, vcc_lo, s23, v31, vcc_lo
	s_waitcnt vmcnt(0) lgkmcnt(0)
	ds_store_b64 v33, v[1:2] offset:2112
	flat_load_b64 v[1:2], v[30:31] offset:256
	v_mad_u64_u32 v[30:31], null, 0xc0, s12, v[5:6]
	s_delay_alu instid0(VALU_DEP_1)
	v_mov_b32_e32 v5, v31
	s_waitcnt vmcnt(0) lgkmcnt(0)
	ds_store_b64 v33, v[1:2] offset:4224
	v_dual_mov_b32 v1, v3 :: v_dual_mov_b32 v2, v4
	v_mad_u64_u32 v[31:32], null, 0xc0, s13, v[5:6]
	flat_load_b64 v[5:6], v[30:31] offset:256
	s_waitcnt vmcnt(0) lgkmcnt(0)
	ds_store_b64 v33, v[5:6] offset:6336
.LBB32_82:
	s_waitcnt lgkmcnt(0)
	s_barrier
	buffer_gl0_inv
	s_and_saveexec_b32 s6, s2
	s_delay_alu instid0(SALU_CYCLE_1)
	s_xor_b32 s2, exec_lo, s6
	s_cbranch_execnz .LBB32_111
; %bb.83:
	s_and_not1_saveexec_b32 s2, s2
	s_cbranch_execnz .LBB32_114
.LBB32_84:
	s_or_b32 exec_lo, exec_lo, s2
	s_and_saveexec_b32 s2, s3
	s_delay_alu instid0(SALU_CYCLE_1)
	s_xor_b32 s2, exec_lo, s2
	s_cbranch_execnz .LBB32_115
.LBB32_85:
	s_and_not1_saveexec_b32 s2, s2
	s_cbranch_execnz .LBB32_116
.LBB32_86:
	s_or_b32 exec_lo, exec_lo, s2
	s_and_saveexec_b32 s2, s4
	s_delay_alu instid0(SALU_CYCLE_1)
	s_xor_b32 s2, exec_lo, s2
	s_cbranch_execnz .LBB32_119
.LBB32_87:
	s_and_not1_saveexec_b32 s2, s2
	s_cbranch_execnz .LBB32_122
.LBB32_88:
	s_or_b32 exec_lo, exec_lo, s2
	s_and_saveexec_b32 s2, s5
	s_delay_alu instid0(SALU_CYCLE_1)
	s_xor_b32 s2, exec_lo, s2
	s_cbranch_execnz .LBB32_123
.LBB32_89:
	s_or_saveexec_b32 s2, s2
	v_add_nc_u32_e32 v19, 0x2380, v29
	s_xor_b32 exec_lo, exec_lo, s2
	s_cbranch_execz .LBB32_91
.LBB32_90:
	ds_load_b64 v[3:4], v18 offset:528
	s_waitcnt lgkmcnt(0)
	v_xor_b32_e32 v4, 0x80000000, v4
	ds_store_b64 v16, v[3:4] offset:24
.LBB32_91:
	s_or_b32 exec_lo, exec_lo, s2
	s_waitcnt lgkmcnt(0)
	s_barrier
	buffer_gl0_inv
	ds_load_b64 v[16:17], v11
	ds_load_b128 v[3:6], v19 offset:256
	ds_load_2addr_b64 v[29:32], v18 offset1:33
	ds_load_b128 v[33:36], v19 offset:272
	ds_load_b64 v[20:21], v18 offset:528
	v_cmp_eq_u32_e64 s2, 1, v7
	s_waitcnt lgkmcnt(0)
	s_barrier
	buffer_gl0_inv
	v_dual_mul_f32 v37, v4, v17 :: v_dual_mul_f32 v38, v6, v30
	v_dual_mul_f32 v17, v3, v17 :: v_dual_mul_f32 v30, v5, v30
	v_mul_f32_e32 v39, v34, v32
	s_delay_alu instid0(VALU_DEP_3) | instskip(SKIP_1) | instid1(VALU_DEP_4)
	v_fma_f32 v3, v3, v16, -v37
	v_mul_f32_e32 v32, v33, v32
	v_dual_fmac_f32 v17, v4, v16 :: v_dual_fmac_f32 v30, v6, v29
	v_fma_f32 v5, v5, v29, -v38
	s_delay_alu instid0(VALU_DEP_4) | instskip(NEXT) | instid1(VALU_DEP_4)
	v_add_f32_e32 v3, 0, v3
	v_fmac_f32_e32 v32, v34, v31
	v_mul_f32_e32 v4, v36, v21
	s_delay_alu instid0(VALU_DEP_3) | instskip(SKIP_4) | instid1(VALU_DEP_3)
	v_add_f32_e32 v3, v3, v5
	v_add_f32_e32 v6, 0, v17
	v_mul_f32_e32 v16, v35, v21
	v_fma_f32 v17, v33, v31, -v39
	v_fma_f32 v4, v35, v20, -v4
	v_dual_add_f32 v5, v6, v30 :: v_dual_fmac_f32 v16, v36, v20
	s_delay_alu instid0(VALU_DEP_3) | instskip(NEXT) | instid1(VALU_DEP_2)
	v_add_f32_e32 v3, v3, v17
	v_add_f32_e32 v5, v5, v32
	s_delay_alu instid0(VALU_DEP_2) | instskip(NEXT) | instid1(VALU_DEP_2)
	v_add_f32_e32 v3, v3, v4
	v_add_f32_e32 v4, v5, v16
	ds_store_b64 v28, v[3:4]
	s_waitcnt lgkmcnt(0)
	s_barrier
	buffer_gl0_inv
	s_and_saveexec_b32 s3, s2
	s_cbranch_execz .LBB32_93
; %bb.92:
	ds_load_2addr_b64 v[3:6], v23 offset1:7
	ds_load_2addr_b64 v[29:32], v23 offset0:1 offset1:2
	ds_load_2addr_b64 v[33:36], v23 offset0:3 offset1:4
	ds_load_2addr_b64 v[37:40], v23 offset0:5 offset1:6
	s_waitcnt lgkmcnt(2)
	v_dual_add_f32 v3, v29, v3 :: v_dual_add_f32 v4, v30, v4
	s_delay_alu instid0(VALU_DEP_1) | instskip(SKIP_1) | instid1(VALU_DEP_1)
	v_dual_add_f32 v3, v3, v31 :: v_dual_add_f32 v4, v4, v32
	s_waitcnt lgkmcnt(1)
	v_dual_add_f32 v3, v3, v33 :: v_dual_add_f32 v4, v4, v34
	s_delay_alu instid0(VALU_DEP_1) | instskip(SKIP_1) | instid1(VALU_DEP_1)
	v_dual_add_f32 v3, v3, v35 :: v_dual_add_f32 v4, v4, v36
	s_waitcnt lgkmcnt(0)
	v_dual_add_f32 v3, v3, v37 :: v_dual_add_f32 v4, v4, v38
	s_delay_alu instid0(VALU_DEP_1) | instskip(NEXT) | instid1(VALU_DEP_1)
	v_dual_add_f32 v3, v3, v39 :: v_dual_add_f32 v4, v4, v40
	v_dual_add_f32 v26, v3, v5 :: v_dual_add_f32 v27, v4, v6
.LBB32_93:
	s_or_b32 exec_lo, exec_lo, s3
	v_add_co_u32 v1, vcc_lo, 0xffffff00, v1
	v_add_co_ci_u32_e32 v2, vcc_lo, -1, v2, vcc_lo
	s_and_b32 vcc_lo, exec_lo, s26
	s_barrier
	buffer_gl0_inv
	s_cbranch_vccz .LBB32_126
; %bb.94:
	v_sub_co_u32 v3, vcc_lo, v1, v9
	s_ashr_i32 s11, s10, 31
	v_subrev_co_ci_u32_e32 v4, vcc_lo, 0, v2, vcc_lo
	s_lshl_b64 s[4:5], s[10:11], 3
	s_sub_i32 s6, s10, 32
	v_add_co_u32 v3, vcc_lo, v3, s4
	s_delay_alu instid0(VALU_DEP_2) | instskip(SKIP_1) | instid1(VALU_DEP_3)
	v_add_co_ci_u32_e32 v4, vcc_lo, s5, v4, vcc_lo
	v_cmp_le_i32_e64 s3, s6, v7
	v_add_co_u32 v3, vcc_lo, v3, -8
	s_delay_alu instid0(VALU_DEP_3) | instskip(SKIP_2) | instid1(VALU_DEP_3)
	v_add_co_ci_u32_e32 v4, vcc_lo, -1, v4, vcc_lo
	v_cmp_gt_i32_e32 vcc_lo, s10, v0
	v_add_lshl_u32 v16, v8, v0, 3
	v_dual_cndmask_b32 v4, v4, v2 :: v_dual_cndmask_b32 v3, v3, v1
	s_and_saveexec_b32 s11, s3
	s_delay_alu instid0(SALU_CYCLE_1)
	s_xor_b32 s3, exec_lo, s11
	s_cbranch_execz .LBB32_96
; %bb.95:
	v_mov_b32_e32 v5, 0
	s_delay_alu instid0(VALU_DEP_1)
	v_mov_b32_e32 v6, v5
	ds_store_b64 v16, v[5:6]
.LBB32_96:
	s_and_not1_saveexec_b32 s3, s3
	s_cbranch_execz .LBB32_98
; %bb.97:
	flat_load_b64 v[5:6], v[3:4]
	s_waitcnt vmcnt(0) lgkmcnt(0)
	ds_store_b64 v16, v[5:6]
.LBB32_98:
	s_or_b32 exec_lo, exec_lo, s3
	v_add_nc_u32_e32 v5, 8, v7
	s_delay_alu instid0(VALU_DEP_1) | instskip(NEXT) | instid1(VALU_DEP_1)
	v_cmp_le_i32_e64 s3, s6, v5
	s_and_saveexec_b32 s11, s3
	s_delay_alu instid0(SALU_CYCLE_1)
	s_xor_b32 s3, exec_lo, s11
	s_cbranch_execz .LBB32_100
; %bb.99:
	v_mul_u32_u24_e32 v6, 33, v5
	v_mov_b32_e32 v20, 0
	s_delay_alu instid0(VALU_DEP_2) | instskip(NEXT) | instid1(VALU_DEP_2)
	v_add_lshl_u32 v6, v6, v0, 3
	v_mov_b32_e32 v21, v20
	ds_store_b64 v6, v[20:21]
.LBB32_100:
	s_and_not1_saveexec_b32 s11, s3
	s_cbranch_execz .LBB32_102
; %bb.101:
	s_lshl_b64 s[22:23], s[12:13], 6
	s_delay_alu instid0(SALU_CYCLE_1) | instskip(NEXT) | instid1(VALU_DEP_1)
	v_add_co_u32 v20, s3, v3, s22
	v_add_co_ci_u32_e64 v21, s3, s23, v4, s3
	flat_load_b64 v[20:21], v[20:21]
	s_waitcnt vmcnt(0) lgkmcnt(0)
	ds_store_b64 v16, v[20:21] offset:2112
.LBB32_102:
	s_or_b32 exec_lo, exec_lo, s11
	v_add_nc_u32_e32 v6, 16, v7
	s_delay_alu instid0(VALU_DEP_1) | instskip(NEXT) | instid1(VALU_DEP_1)
	v_cmp_le_i32_e64 s3, s6, v6
	s_and_saveexec_b32 s11, s3
	s_delay_alu instid0(SALU_CYCLE_1)
	s_xor_b32 s3, exec_lo, s11
	s_cbranch_execz .LBB32_104
; %bb.103:
	v_mov_b32_e32 v20, 0
	s_delay_alu instid0(VALU_DEP_1)
	v_mov_b32_e32 v21, v20
	ds_store_b64 v16, v[20:21] offset:4224
.LBB32_104:
	s_and_not1_saveexec_b32 s11, s3
	s_cbranch_execz .LBB32_106
; %bb.105:
	s_lshl_b64 s[22:23], s[12:13], 7
	s_delay_alu instid0(SALU_CYCLE_1) | instskip(NEXT) | instid1(VALU_DEP_1)
	v_add_co_u32 v20, s3, v3, s22
	v_add_co_ci_u32_e64 v21, s3, s23, v4, s3
	flat_load_b64 v[20:21], v[20:21]
	s_waitcnt vmcnt(0) lgkmcnt(0)
	ds_store_b64 v16, v[20:21] offset:4224
.LBB32_106:
	s_or_b32 exec_lo, exec_lo, s11
	v_add_nc_u32_e32 v20, 24, v7
	s_delay_alu instid0(VALU_DEP_1) | instskip(NEXT) | instid1(VALU_DEP_1)
	v_cmp_le_i32_e64 s3, s6, v20
	s_and_saveexec_b32 s6, s3
	s_delay_alu instid0(SALU_CYCLE_1)
	s_xor_b32 s3, exec_lo, s6
	s_cbranch_execz .LBB32_108
; %bb.107:
	v_mov_b32_e32 v29, 0
	s_delay_alu instid0(VALU_DEP_1)
	v_mov_b32_e32 v30, v29
	ds_store_b64 v16, v[29:30] offset:6336
                                        ; implicit-def: $vgpr16
.LBB32_108:
	s_and_not1_saveexec_b32 s3, s3
	s_cbranch_execz .LBB32_110
; %bb.109:
	v_mad_u64_u32 v[29:30], null, 0xc0, s12, v[3:4]
	s_delay_alu instid0(VALU_DEP_1) | instskip(NEXT) | instid1(VALU_DEP_1)
	v_mov_b32_e32 v17, v30
	v_mad_u64_u32 v[30:31], null, 0xc0, s13, v[17:18]
	flat_load_b64 v[29:30], v[29:30]
	s_waitcnt vmcnt(0) lgkmcnt(0)
	ds_store_b64 v16, v[29:30] offset:6336
.LBB32_110:
	s_or_b32 exec_lo, exec_lo, s3
	v_add_co_u32 v3, s3, v3, v9
	s_delay_alu instid0(VALU_DEP_1) | instskip(NEXT) | instid1(VALU_DEP_2)
	v_add_co_ci_u32_e64 v4, s3, 0, v4, s3
	v_sub_co_u32 v3, s3, v3, s4
	s_delay_alu instid0(VALU_DEP_1) | instskip(NEXT) | instid1(VALU_DEP_2)
	v_subrev_co_ci_u32_e64 v4, s3, s5, v4, s3
	v_add_co_u32 v3, s3, v3, 8
	s_delay_alu instid0(VALU_DEP_1) | instskip(NEXT) | instid1(VALU_DEP_1)
	v_add_co_ci_u32_e64 v4, s3, 0, v4, s3
	v_dual_cndmask_b32 v16, v3, v1 :: v_dual_cndmask_b32 v17, v4, v2
	s_branch .LBB32_128
.LBB32_111:
	s_mov_b32 s6, exec_lo
	v_cmpx_eq_u32_e64 v19, v0
	s_cbranch_execz .LBB32_113
; %bb.112:
	v_mul_u32_u24_e32 v3, 34, v0
	s_delay_alu instid0(VALU_DEP_1)
	v_dual_mov_b32 v4, 0 :: v_dual_lshlrev_b32 v3, 3, v3
	ds_store_b32 v3, v4 offset:4
.LBB32_113:
	s_or_b32 exec_lo, exec_lo, s6
	s_and_not1_saveexec_b32 s2, s2
	s_cbranch_execz .LBB32_84
.LBB32_114:
	ds_load_b64 v[3:4], v11
	s_waitcnt lgkmcnt(0)
	v_xor_b32_e32 v4, 0x80000000, v4
	ds_store_b64 v16, v[3:4]
	s_or_b32 exec_lo, exec_lo, s2
	s_and_saveexec_b32 s2, s3
	s_delay_alu instid0(SALU_CYCLE_1)
	s_xor_b32 s2, exec_lo, s2
	s_cbranch_execz .LBB32_85
.LBB32_115:
	ds_load_b64 v[3:4], v18
                                        ; implicit-def: $vgpr17
	s_waitcnt lgkmcnt(0)
	v_xor_b32_e32 v4, 0x80000000, v4
	ds_store_b64 v16, v[3:4] offset:8
	s_and_not1_saveexec_b32 s2, s2
	s_cbranch_execz .LBB32_86
.LBB32_116:
	s_mov_b32 s3, exec_lo
	v_cmpx_eq_u32_e64 v17, v0
	s_cbranch_execz .LBB32_118
; %bb.117:
	v_mul_u32_u24_e32 v3, 34, v0
	s_delay_alu instid0(VALU_DEP_1)
	v_dual_mov_b32 v4, 0 :: v_dual_lshlrev_b32 v3, 3, v3
	ds_store_b32 v3, v4 offset:4
.LBB32_118:
	s_or_b32 exec_lo, exec_lo, s3
	s_delay_alu instid0(SALU_CYCLE_1) | instskip(SKIP_1) | instid1(SALU_CYCLE_1)
	s_or_b32 exec_lo, exec_lo, s2
	s_and_saveexec_b32 s2, s4
	s_xor_b32 s2, exec_lo, s2
	s_cbranch_execz .LBB32_87
.LBB32_119:
	s_mov_b32 s3, exec_lo
	v_cmpx_eq_u32_e64 v20, v0
	s_cbranch_execz .LBB32_121
; %bb.120:
	v_mul_u32_u24_e32 v3, 34, v0
	s_delay_alu instid0(VALU_DEP_1)
	v_dual_mov_b32 v4, 0 :: v_dual_lshlrev_b32 v3, 3, v3
	ds_store_b32 v3, v4 offset:4
.LBB32_121:
	s_or_b32 exec_lo, exec_lo, s3
	s_and_not1_saveexec_b32 s2, s2
	s_cbranch_execz .LBB32_88
.LBB32_122:
	ds_load_b64 v[3:4], v18 offset:264
	s_waitcnt lgkmcnt(0)
	v_xor_b32_e32 v4, 0x80000000, v4
	ds_store_b64 v16, v[3:4] offset:16
	s_or_b32 exec_lo, exec_lo, s2
	s_and_saveexec_b32 s2, s5
	s_delay_alu instid0(SALU_CYCLE_1)
	s_xor_b32 s2, exec_lo, s2
	s_cbranch_execz .LBB32_89
.LBB32_123:
	s_mov_b32 s3, exec_lo
	v_cmpx_eq_u32_e64 v21, v0
	s_cbranch_execz .LBB32_125
; %bb.124:
	v_mul_u32_u24_e32 v3, 34, v0
	s_delay_alu instid0(VALU_DEP_1)
	v_dual_mov_b32 v4, 0 :: v_dual_lshlrev_b32 v3, 3, v3
	ds_store_b32 v3, v4 offset:4
.LBB32_125:
	s_or_b32 exec_lo, exec_lo, s3
                                        ; implicit-def: $vgpr16
	s_or_saveexec_b32 s2, s2
	v_add_nc_u32_e32 v19, 0x2380, v29
	s_xor_b32 exec_lo, exec_lo, s2
	s_cbranch_execnz .LBB32_90
	s_branch .LBB32_91
.LBB32_126:
                                        ; implicit-def: $vgpr16_vgpr17
                                        ; implicit-def: $vgpr5
                                        ; implicit-def: $vgpr6
                                        ; implicit-def: $vgpr20
	s_cbranch_execz .LBB32_128
; %bb.127:
	flat_load_b64 v[3:4], v[1:2]
	s_lshl_b64 s[4:5], s[12:13], 6
	v_add_lshl_u32 v21, v8, v0, 3
	v_add_co_u32 v5, vcc_lo, v1, s4
	v_add_co_ci_u32_e32 v6, vcc_lo, s5, v2, vcc_lo
	v_dual_mov_b32 v17, v2 :: v_dual_add_nc_u32 v20, 24, v7
	v_mov_b32_e32 v16, v1
	s_waitcnt vmcnt(0) lgkmcnt(0)
	ds_store_b64 v21, v[3:4]
	flat_load_b64 v[3:4], v[5:6]
	v_add_co_u32 v5, vcc_lo, v5, s4
	v_add_co_ci_u32_e32 v6, vcc_lo, s5, v6, vcc_lo
	s_waitcnt vmcnt(0) lgkmcnt(0)
	ds_store_b64 v21, v[3:4] offset:2112
	flat_load_b64 v[3:4], v[5:6]
	v_mad_u64_u32 v[5:6], null, 0xc0, s12, v[1:2]
	s_delay_alu instid0(VALU_DEP_1) | instskip(NEXT) | instid1(VALU_DEP_1)
	v_mov_b32_e32 v0, v6
	v_mad_u64_u32 v[8:9], null, 0xc0, s13, v[0:1]
	s_delay_alu instid0(VALU_DEP_1)
	v_mov_b32_e32 v6, v8
	s_waitcnt vmcnt(0) lgkmcnt(0)
	ds_store_b64 v21, v[3:4] offset:4224
	flat_load_b64 v[3:4], v[5:6]
	v_add_nc_u32_e32 v5, 8, v7
	v_add_nc_u32_e32 v6, 16, v7
	s_waitcnt vmcnt(0) lgkmcnt(0)
	ds_store_b64 v21, v[3:4] offset:6336
.LBB32_128:
	v_lshlrev_b32_e32 v0, 3, v7
	v_add_lshl_u32 v1, v5, v10, 3
	v_lshlrev_b32_e32 v2, 3, v5
	s_waitcnt lgkmcnt(0)
	s_barrier
	buffer_gl0_inv
	ds_load_b64 v[29:30], v28
	ds_load_b64 v[31:32], v0 offset:9088
	ds_load_b64 v[33:34], v1
	ds_load_b64 v[35:36], v2 offset:9088
	v_add_lshl_u32 v3, v6, v10, 3
	v_add_lshl_u32 v0, v20, v10, 3
	v_lshlrev_b32_e32 v1, 3, v20
	s_waitcnt lgkmcnt(2)
	v_mul_f32_e32 v45, v30, v32
	v_mul_f32_e32 v30, v30, v31
	s_delay_alu instid0(VALU_DEP_2)
	v_dual_fmac_f32 v45, v29, v31 :: v_dual_lshlrev_b32 v4, 3, v6
	ds_load_b64 v[37:38], v3
	ds_load_b64 v[39:40], v4 offset:9088
	ds_load_b64 v[41:42], v0
	ds_load_b64 v[43:44], v1 offset:9088
	ds_load_b64 v[20:21], v11
	ds_load_b128 v[8:11], v19 offset:256
	ds_load_2addr_b64 v[4:7], v18 offset1:33
	ds_load_b128 v[0:3], v19 offset:272
	ds_load_b64 v[18:19], v18 offset:528
	v_fma_f32 v29, v29, v32, -v30
	s_waitcnt lgkmcnt(9)
	v_mul_f32_e32 v46, v34, v36
	s_waitcnt lgkmcnt(0)
	v_add_f32_e32 v32, 0, v45
	s_barrier
	s_delay_alu instid0(VALU_DEP_2) | instskip(SKIP_2) | instid1(VALU_DEP_1)
	v_dual_add_f32 v29, 0, v29 :: v_dual_fmac_f32 v46, v33, v35
	buffer_gl0_inv
	v_dual_add_f32 v32, v32, v46 :: v_dual_mul_f32 v47, v38, v40
	v_dual_mul_f32 v30, v42, v44 :: v_dual_fmac_f32 v47, v37, v39
	s_delay_alu instid0(VALU_DEP_1) | instskip(NEXT) | instid1(VALU_DEP_2)
	v_fmac_f32_e32 v30, v41, v43
	v_add_f32_e32 v32, v32, v47
	v_mul_f32_e32 v34, v34, v35
	s_delay_alu instid0(VALU_DEP_1) | instskip(SKIP_1) | instid1(VALU_DEP_2)
	v_fma_f32 v31, v33, v36, -v34
	v_mul_f32_e32 v33, v42, v43
	v_add_f32_e32 v29, v29, v31
	v_mul_f32_e32 v38, v38, v39
	s_delay_alu instid0(VALU_DEP_3) | instskip(NEXT) | instid1(VALU_DEP_2)
	v_fma_f32 v31, v41, v44, -v33
	v_fma_f32 v34, v37, v40, -v38
	s_delay_alu instid0(VALU_DEP_1) | instskip(NEXT) | instid1(VALU_DEP_1)
	v_add_f32_e32 v33, v29, v34
	v_dual_add_f32 v29, v32, v30 :: v_dual_add_f32 v30, v33, v31
	ds_store_b64 v28, v[29:30]
	s_waitcnt lgkmcnt(0)
	s_barrier
	buffer_gl0_inv
	s_and_saveexec_b32 s3, s2
	s_cbranch_execz .LBB32_130
; %bb.129:
	ds_load_2addr_b64 v[29:32], v23 offset1:1
	ds_load_2addr_b64 v[33:36], v23 offset0:2 offset1:3
	ds_load_2addr_b64 v[37:40], v23 offset0:4 offset1:5
	s_waitcnt lgkmcnt(2)
	v_dual_add_f32 v26, v26, v29 :: v_dual_add_f32 v27, v27, v30
	s_delay_alu instid0(VALU_DEP_1) | instskip(SKIP_3) | instid1(VALU_DEP_1)
	v_dual_add_f32 v26, v26, v31 :: v_dual_add_f32 v27, v27, v32
	ds_load_2addr_b64 v[29:32], v23 offset0:6 offset1:7
	s_waitcnt lgkmcnt(2)
	v_dual_add_f32 v26, v26, v33 :: v_dual_add_f32 v27, v27, v34
	v_dual_add_f32 v26, v26, v35 :: v_dual_add_f32 v27, v27, v36
	s_waitcnt lgkmcnt(1)
	s_delay_alu instid0(VALU_DEP_1) | instskip(NEXT) | instid1(VALU_DEP_1)
	v_dual_add_f32 v26, v26, v37 :: v_dual_add_f32 v27, v27, v38
	v_dual_add_f32 v26, v26, v39 :: v_dual_add_f32 v27, v27, v40
	s_waitcnt lgkmcnt(0)
	s_delay_alu instid0(VALU_DEP_1) | instskip(NEXT) | instid1(VALU_DEP_1)
	v_dual_add_f32 v26, v26, v29 :: v_dual_add_f32 v27, v27, v30
	v_dual_add_f32 v26, v26, v31 :: v_dual_add_f32 v27, v27, v32
.LBB32_130:
	s_or_b32 exec_lo, exec_lo, s3
	v_mul_f32_e32 v29, v9, v21
	v_mul_f32_e32 v21, v8, v21
	v_dual_mul_f32 v30, v11, v5 :: v_dual_mul_f32 v31, v1, v7
	s_delay_alu instid0(VALU_DEP_3) | instskip(NEXT) | instid1(VALU_DEP_3)
	v_fma_f32 v8, v8, v20, -v29
	v_fmac_f32_e32 v21, v9, v20
	v_mul_f32_e32 v7, v0, v7
	s_delay_alu instid0(VALU_DEP_4)
	v_fma_f32 v0, v0, v6, -v31
	s_barrier
	v_dual_add_f32 v8, 0, v8 :: v_dual_mul_f32 v5, v10, v5
	v_fma_f32 v10, v10, v4, -v30
	buffer_gl0_inv
	v_dual_add_f32 v8, v8, v10 :: v_dual_mul_f32 v9, v3, v19
	v_fmac_f32_e32 v5, v11, v4
	s_delay_alu instid0(VALU_DEP_2) | instskip(NEXT) | instid1(VALU_DEP_3)
	v_dual_mul_f32 v11, v2, v19 :: v_dual_add_f32 v0, v8, v0
	v_fma_f32 v2, v2, v18, -v9
	s_delay_alu instid0(VALU_DEP_2) | instskip(NEXT) | instid1(VALU_DEP_2)
	v_fmac_f32_e32 v11, v3, v18
	v_add_f32_e32 v0, v0, v2
	v_dual_add_f32 v4, 0, v21 :: v_dual_fmac_f32 v7, v1, v6
	s_delay_alu instid0(VALU_DEP_1) | instskip(NEXT) | instid1(VALU_DEP_1)
	v_add_f32_e32 v1, v4, v5
	v_add_f32_e32 v1, v1, v7
	s_delay_alu instid0(VALU_DEP_1)
	v_add_f32_e32 v1, v1, v11
	ds_store_b64 v28, v[0:1]
	s_waitcnt lgkmcnt(0)
	s_barrier
	buffer_gl0_inv
	s_and_saveexec_b32 s2, s1
	s_cbranch_execz .LBB32_132
; %bb.131:
	ds_load_2addr_b64 v[0:3], v23 offset1:1
	ds_load_2addr_b64 v[4:7], v23 offset0:2 offset1:3
	ds_load_2addr_b64 v[8:11], v23 offset0:4 offset1:5
	s_waitcnt lgkmcnt(2)
	v_dual_add_f32 v0, v26, v0 :: v_dual_add_f32 v1, v27, v1
	s_delay_alu instid0(VALU_DEP_1) | instskip(SKIP_3) | instid1(VALU_DEP_1)
	v_dual_add_f32 v18, v0, v2 :: v_dual_add_f32 v19, v1, v3
	ds_load_2addr_b64 v[0:3], v23 offset0:6 offset1:7
	s_waitcnt lgkmcnt(2)
	v_dual_add_f32 v4, v18, v4 :: v_dual_add_f32 v5, v19, v5
	v_dual_add_f32 v4, v4, v6 :: v_dual_add_f32 v5, v5, v7
	s_waitcnt lgkmcnt(1)
	s_delay_alu instid0(VALU_DEP_1) | instskip(NEXT) | instid1(VALU_DEP_1)
	v_dual_add_f32 v4, v4, v8 :: v_dual_add_f32 v5, v5, v9
	v_dual_add_f32 v4, v4, v10 :: v_dual_add_f32 v5, v5, v11
	s_waitcnt lgkmcnt(0)
	s_delay_alu instid0(VALU_DEP_1) | instskip(NEXT) | instid1(VALU_DEP_1)
	v_dual_add_f32 v0, v4, v0 :: v_dual_add_f32 v1, v5, v1
	v_dual_add_f32 v26, v0, v2 :: v_dual_add_f32 v27, v1, v3
.LBB32_132:
	s_or_b32 exec_lo, exec_lo, s2
	s_mul_hi_u32 s1, s24, s18
	s_mul_i32 s25, s25, s18
	s_mul_i32 s2, s24, s18
	s_add_i32 s1, s1, s25
	s_mul_hi_u32 s3, s2, s7
	s_mul_i32 s1, s1, s7
	s_mul_i32 s2, s2, s7
	s_add_i32 s3, s3, s1
	s_mul_hi_i32 s5, s24, s14
	s_lshl_b64 s[2:3], s[2:3], 3
	s_mul_i32 s4, s24, s14
	s_add_u32 s1, s20, s2
	s_addc_u32 s2, s21, s3
	s_lshl_b64 s[4:5], s[4:5], 3
	v_lshlrev_b32_e32 v95, 3, v93
	s_add_u32 s3, s1, s4
	s_addc_u32 s6, s2, s5
	s_add_i32 s1, s14, 1
	s_delay_alu instid0(SALU_CYCLE_1)
	s_cmp_ge_u32 s1, s7
	s_barrier
	buffer_gl0_inv
	s_cbranch_scc1 .LBB32_190
; %bb.133:
	v_and_b32_e32 v6, 48, v93
	v_lshrrev_b32_e32 v8, 4, v22
	v_lshlrev_b32_e32 v9, 5, v94
	v_dual_mov_b32 v28, 0 :: v_dual_and_b32 v7, 15, v93
	s_delay_alu instid0(VALU_DEP_4)
	v_lshlrev_b32_e32 v0, 3, v6
	v_or_b32_e32 v1, 0x78, v95
	v_lshlrev_b32_e32 v2, 5, v8
	v_add_nc_u32_e32 v10, 0x110, v9
	v_add_nc_u32_e32 v11, 0x298, v9
	v_mad_u32_u24 v101, 0x218, v7, v0
	v_mad_u32_u24 v102, 0x218, v7, v1
	;; [unrolled: 1-line block ×3, first 2 shown]
	v_mad_u64_u32 v[0:1], null, s12, v10, 0
	v_mad_u64_u32 v[2:3], null, s12, v11, 0
	s_mul_i32 s1, s16, s9
	s_mul_hi_u32 s2, s16, s8
	s_mul_i32 s4, s17, s8
	s_add_i32 s1, s2, s1
	v_lshlrev_b32_e32 v96, 2, v94
	s_add_i32 s5, s1, s4
	s_delay_alu instid0(VALU_DEP_2)
	v_mad_u64_u32 v[4:5], null, s13, v10, v[1:2]
	v_mov_b32_e32 v1, v3
	v_mul_i32_i24_e32 v10, 0xffffffe8, v8
	v_add_nc_u32_e32 v8, 0x108, v9
	s_mul_i32 s4, s16, s8
	v_or_b32_e32 v121, v6, v7
	s_lshl_b64 s[4:5], s[4:5], 3
	v_mov_b32_e32 v7, v4
	v_mad_u64_u32 v[5:6], null, s12, v8, 0
	v_sub_co_u32 v97, vcc_lo, v14, s4
	v_mad_u64_u32 v[3:4], null, s13, v11, v[1:2]
	v_subrev_co_ci_u32_e32 v98, vcc_lo, s5, v15, vcc_lo
	v_sub_co_u32 v1, vcc_lo, v0, v12
	v_dual_mov_b32 v0, v6 :: v_dual_add_nc_u32 v99, 0x2180, v95
	v_sub_co_ci_u32_e32 v4, vcc_lo, v7, v13, vcc_lo
	s_delay_alu instid0(VALU_DEP_3) | instskip(SKIP_1) | instid1(VALU_DEP_3)
	v_add_co_u32 v122, vcc_lo, v16, v1
	v_mov_b32_e32 v7, v3
	v_add_co_ci_u32_e32 v123, vcc_lo, v17, v4, vcc_lo
	v_mad_u64_u32 v[3:4], null, s13, v8, v[0:1]
	v_sub_co_u32 v2, vcc_lo, v2, v12
	s_delay_alu instid0(VALU_DEP_4) | instskip(SKIP_1) | instid1(VALU_DEP_3)
	v_sub_co_ci_u32_e32 v4, vcc_lo, v7, v13, vcc_lo
	v_cmp_gt_u32_e64 s1, 64, v22
	v_add_co_u32 v124, vcc_lo, v16, v2
	s_delay_alu instid0(VALU_DEP_3)
	v_add_co_ci_u32_e32 v125, vcc_lo, v17, v4, vcc_lo
	v_mov_b32_e32 v4, v3
	v_add_nc_u32_e32 v6, 0x280, v9
	v_add_nc_u32_e32 v11, 0x100, v9
	;; [unrolled: 1-line block ×3, first 2 shown]
	v_sub_co_u32 v7, vcc_lo, v5, v12
	s_delay_alu instid0(VALU_DEP_4) | instskip(NEXT) | instid1(VALU_DEP_4)
	v_mad_u64_u32 v[0:1], null, s12, v6, 0
	v_mad_u64_u32 v[2:3], null, s12, v11, 0
	v_sub_co_ci_u32_e32 v8, vcc_lo, v4, v13, vcc_lo
	v_add_nc_u32_e32 v100, 0x2380, v95
	v_add_co_u32 v126, vcc_lo, v16, v7
	s_delay_alu instid0(VALU_DEP_3)
	v_add_co_ci_u32_e32 v127, vcc_lo, v17, v8, vcc_lo
	v_mad_u64_u32 v[4:5], null, s13, v6, v[1:2]
	v_mov_b32_e32 v1, v3
	v_mad_u64_u32 v[5:6], null, s12, v14, 0
	v_add_nc_u32_e32 v110, 17, v96
	v_add_nc_u32_e32 v15, 0x180, v9
	s_delay_alu instid0(VALU_DEP_4) | instskip(SKIP_4) | instid1(VALU_DEP_4)
	v_mad_u64_u32 v[7:8], null, s13, v11, v[1:2]
	v_mov_b32_e32 v3, v4
	v_add_nc_u32_e32 v11, 0x118, v9
	v_mov_b32_e32 v1, v6
	v_sub_co_u32 v6, vcc_lo, v0, v12
	v_sub_co_ci_u32_e32 v8, vcc_lo, v3, v13, vcc_lo
	s_delay_alu instid0(VALU_DEP_3) | instskip(SKIP_1) | instid1(VALU_DEP_4)
	v_mad_u64_u32 v[3:4], null, s13, v14, v[1:2]
	v_mad_u64_u32 v[0:1], null, s12, v11, 0
	v_add_co_u32 v128, vcc_lo, v16, v6
	s_delay_alu instid0(VALU_DEP_4)
	v_add_co_ci_u32_e32 v129, vcc_lo, v17, v8, vcc_lo
	v_add_nc_u32_e32 v107, 0x2180, v9
	v_sub_co_u32 v6, vcc_lo, v2, v12
	v_mov_b32_e32 v2, v3
	v_add_nc_u32_e32 v8, 0x190, v9
	v_sub_co_ci_u32_e32 v7, vcc_lo, v7, v13, vcc_lo
	v_sub_co_u32 v5, vcc_lo, v5, v12
	s_delay_alu instid0(VALU_DEP_4)
	v_sub_co_ci_u32_e32 v14, vcc_lo, v2, v13, vcc_lo
	v_mad_u64_u32 v[2:3], null, s13, v11, v[1:2]
	v_mad_u64_u32 v[3:4], null, s12, v8, 0
	v_add_co_u32 v130, vcc_lo, v16, v6
	v_add_co_ci_u32_e32 v131, vcc_lo, v17, v7, vcc_lo
	v_add_co_u32 v132, vcc_lo, v16, v5
	v_add_co_ci_u32_e32 v133, vcc_lo, v17, v14, vcc_lo
	v_sub_co_u32 v0, vcc_lo, v0, v12
	v_mov_b32_e32 v1, v4
	v_sub_co_ci_u32_e32 v2, vcc_lo, v2, v13, vcc_lo
	v_add_nc_u32_e32 v11, 0x290, v9
	s_delay_alu instid0(VALU_DEP_4) | instskip(NEXT) | instid1(VALU_DEP_3)
	v_add_co_u32 v134, vcc_lo, v16, v0
	v_mad_u64_u32 v[6:7], null, s13, v8, v[1:2]
	s_delay_alu instid0(VALU_DEP_3) | instskip(SKIP_4) | instid1(VALU_DEP_4)
	v_mad_u64_u32 v[4:5], null, s12, v11, 0
	v_add_nc_u32_e32 v7, 0x218, v9
	v_add_co_ci_u32_e32 v135, vcc_lo, v17, v2, vcc_lo
	v_add_nc_u32_e32 v109, 16, v96
	v_dual_mov_b32 v8, v6 :: v_dual_add_nc_u32 v111, 18, v96
	v_mad_u64_u32 v[1:2], null, s12, v7, 0
	v_mov_b32_e32 v0, v5
	v_sub_co_u32 v3, vcc_lo, v3, v12
	v_add_nc_u32_e32 v113, 32, v96
	v_or_b32_e32 v104, 1, v96
	v_or_b32_e32 v105, 2, v96
	v_mad_u64_u32 v[5:6], null, s13, v11, v[0:1]
	v_mov_b32_e32 v0, v2
	v_sub_co_ci_u32_e32 v6, vcc_lo, v8, v13, vcc_lo
	v_add_nc_u32_e32 v112, 19, v96
	v_add_co_u32 v136, vcc_lo, v16, v3
	v_dual_mov_b32 v11, v5 :: v_dual_add_nc_u32 v8, 0x188, v9
	s_delay_alu instid0(VALU_DEP_4) | instskip(SKIP_2) | instid1(VALU_DEP_4)
	v_add_co_ci_u32_e32 v137, vcc_lo, v17, v6, vcc_lo
	v_mad_u64_u32 v[2:3], null, s13, v7, v[0:1]
	v_sub_co_u32 v0, vcc_lo, v4, v12
	v_mad_u64_u32 v[5:6], null, s12, v8, 0
	v_sub_co_ci_u32_e32 v3, vcc_lo, v11, v13, vcc_lo
	v_add_nc_u32_e32 v11, 0x200, v9
	s_delay_alu instid0(VALU_DEP_4) | instskip(SKIP_1) | instid1(VALU_DEP_4)
	v_add_co_u32 v138, vcc_lo, v16, v0
	v_dual_mov_b32 v4, v2 :: v_dual_add_nc_u32 v115, 34, v96
	v_add_co_ci_u32_e32 v139, vcc_lo, v17, v3, vcc_lo
	s_delay_alu instid0(VALU_DEP_4) | instskip(SKIP_4) | instid1(VALU_DEP_3)
	v_mad_u64_u32 v[2:3], null, s12, v11, 0
	v_dual_mov_b32 v0, v6 :: v_dual_add_nc_u32 v117, 48, v96
	v_sub_co_u32 v1, vcc_lo, v1, v12
	v_sub_co_ci_u32_e32 v14, vcc_lo, v4, v13, vcc_lo
	v_or_b32_e32 v106, 3, v96
	v_mad_u64_u32 v[6:7], null, s13, v8, v[0:1]
	v_mov_b32_e32 v0, v3
	v_mad_u64_u32 v[3:4], null, s12, v15, 0
	v_add_nc_u32_e32 v114, 33, v96
	v_add_nc_u32_e32 v119, 50, v96
	v_add_co_u32 v140, vcc_lo, v16, v1
	v_mad_u64_u32 v[7:8], null, s13, v11, v[0:1]
	v_dual_mov_b32 v0, v4 :: v_dual_mov_b32 v1, v6
	v_add_nc_u32_e32 v11, 0x208, v9
	v_add_co_ci_u32_e32 v141, vcc_lo, v17, v14, vcc_lo
	v_sub_co_u32 v6, vcc_lo, v5, v12
	s_delay_alu instid0(VALU_DEP_4) | instskip(SKIP_2) | instid1(VALU_DEP_4)
	v_sub_co_ci_u32_e32 v8, vcc_lo, v1, v13, vcc_lo
	v_mad_u64_u32 v[4:5], null, s13, v15, v[0:1]
	v_mad_u64_u32 v[0:1], null, s12, v11, 0
	v_add_co_u32 v142, vcc_lo, v16, v6
	v_add_nc_u32_e32 v15, 0x198, v9
	v_add_nc_u32_e32 v9, 0x210, v9
	v_add_co_ci_u32_e32 v143, vcc_lo, v17, v8, vcc_lo
	v_sub_co_u32 v8, vcc_lo, v2, v12
	v_mov_b32_e32 v14, v4
	v_mad_u64_u32 v[4:5], null, s13, v11, v[1:2]
	v_sub_co_ci_u32_e32 v7, vcc_lo, v7, v13, vcc_lo
	v_mad_u64_u32 v[5:6], null, s12, v9, 0
	v_add_co_u32 v144, vcc_lo, v16, v8
	v_mad_u64_u32 v[1:2], null, s12, v15, 0
	s_delay_alu instid0(VALU_DEP_4)
	v_add_co_ci_u32_e32 v145, vcc_lo, v17, v7, vcc_lo
	v_sub_co_u32 v11, vcc_lo, v3, v12
	v_dual_mov_b32 v3, v6 :: v_dual_add_nc_u32 v116, 35, v96
	v_sub_co_ci_u32_e32 v14, vcc_lo, v14, v13, vcc_lo
	v_sub_co_u32 v0, vcc_lo, v0, v12
	v_sub_co_ci_u32_e32 v4, vcc_lo, v4, v13, vcc_lo
	s_delay_alu instid0(VALU_DEP_4) | instskip(SKIP_1) | instid1(VALU_DEP_3)
	v_mad_u64_u32 v[6:7], null, s13, v15, v[2:3]
	v_add_co_u32 v146, vcc_lo, v16, v11
	v_mad_u64_u32 v[7:8], null, s13, v9, v[3:4]
	v_add_co_ci_u32_e32 v147, vcc_lo, v17, v14, vcc_lo
	v_add_co_u32 v148, vcc_lo, v16, v0
	v_mov_b32_e32 v0, v6
	v_add_co_ci_u32_e32 v149, vcc_lo, v17, v4, vcc_lo
	v_mov_b32_e32 v2, v7
	v_sub_co_u32 v1, vcc_lo, v1, v12
	s_delay_alu instid0(VALU_DEP_4) | instskip(SKIP_1) | instid1(VALU_DEP_4)
	v_sub_co_ci_u32_e32 v0, vcc_lo, v0, v13, vcc_lo
	v_sub_co_u32 v3, vcc_lo, v5, v12
	v_sub_co_ci_u32_e32 v2, vcc_lo, v2, v13, vcc_lo
	s_delay_alu instid0(VALU_DEP_4) | instskip(NEXT) | instid1(VALU_DEP_4)
	v_add_co_u32 v150, vcc_lo, v16, v1
	v_add_co_ci_u32_e32 v151, vcc_lo, v17, v0, vcc_lo
	s_delay_alu instid0(VALU_DEP_4)
	v_add_co_u32 v152, vcc_lo, v16, v3
	v_mad_u32_u24 v108, 0x860, v94, v95
	v_add_nc_u32_e32 v118, 49, v96
	v_add_nc_u32_e32 v120, 51, v96
	v_add_co_ci_u32_e32 v153, vcc_lo, v17, v2, vcc_lo
	v_add_nc_u32_e32 v154, v103, v10
	s_add_i32 s11, s7, -2
	s_add_i32 s16, s16, 64
	s_lshl_b64 s[4:5], s[12:13], 9
	s_cmp_eq_u32 s11, s14
	s_cselect_b32 s12, s15, 0
	s_and_saveexec_b32 s2, s0
	s_cbranch_execz .LBB32_138
.LBB32_134:
	v_cmp_le_i32_e32 vcc_lo, s12, v93
	s_cmp_lg_u32 s12, 0
	s_cselect_b32 s13, -1, 0
	s_delay_alu instid0(SALU_CYCLE_1) | instskip(NEXT) | instid1(SALU_CYCLE_1)
	s_and_b32 s13, s13, vcc_lo
	s_and_saveexec_b32 s17, s13
	s_delay_alu instid0(SALU_CYCLE_1)
	s_xor_b32 s13, exec_lo, s17
	s_cbranch_execz .LBB32_136
; %bb.135:
	v_mov_b32_e32 v29, v28
	ds_store_b64 v99, v[28:29]
.LBB32_136:
	s_and_not1_saveexec_b32 s13, s13
	s_cbranch_execz .LBB32_138
; %bb.137:
	s_mul_i32 s13, s16, s9
	s_mul_hi_u32 s17, s16, s8
	s_ashr_i32 s18, s16, 31
	s_add_i32 s13, s17, s13
	s_mul_i32 s18, s18, s8
	s_mul_i32 s20, s16, s8
	s_add_i32 s21, s13, s18
	s_delay_alu instid0(SALU_CYCLE_1) | instskip(NEXT) | instid1(SALU_CYCLE_1)
	s_lshl_b64 s[20:21], s[20:21], 3
	v_add_co_u32 v0, vcc_lo, v97, s20
	v_add_co_ci_u32_e32 v1, vcc_lo, s21, v98, vcc_lo
	flat_load_b64 v[0:1], v[0:1]
	s_waitcnt vmcnt(0) lgkmcnt(0)
	ds_store_b64 v99, v[0:1]
.LBB32_138:                             ; =>This Inner Loop Header: Depth=1
	s_or_b32 exec_lo, exec_lo, s2
	s_cmp_eq_u32 s12, 0
	v_add_co_u32 v0, vcc_lo, v130, v95
	s_cselect_b32 s13, -1, 0
	s_cmp_lg_u32 s12, 0
	v_add_co_ci_u32_e32 v1, vcc_lo, 0, v131, vcc_lo
	s_cselect_b32 s2, -1, 0
	s_waitcnt lgkmcnt(0)
	s_and_b32 vcc_lo, exec_lo, s2
	s_barrier
	buffer_gl0_inv
	s_cbranch_vccz .LBB32_146
; %bb.139:                              ;   in Loop: Header=BB32_138 Depth=1
	v_dual_mov_b32 v31, 0 :: v_dual_mov_b32 v30, 0
	v_mov_b32_e32 v29, 0
	s_mov_b32 s17, exec_lo
	v_cmpx_gt_i32_e64 s12, v96
	s_cbranch_execz .LBB32_141
; %bb.140:                              ;   in Loop: Header=BB32_138 Depth=1
	flat_load_b64 v[29:30], v[0:1]
.LBB32_141:                             ;   in Loop: Header=BB32_138 Depth=1
	s_or_b32 exec_lo, exec_lo, s17
	v_mov_b32_e32 v32, 0
	s_mov_b32 s17, exec_lo
	v_cmpx_gt_i32_e64 s12, v104
	s_cbranch_execz .LBB32_143
; %bb.142:                              ;   in Loop: Header=BB32_138 Depth=1
	v_add_co_u32 v2, vcc_lo, v126, v95
	v_add_co_ci_u32_e32 v3, vcc_lo, 0, v127, vcc_lo
	flat_load_b64 v[31:32], v[2:3]
.LBB32_143:                             ;   in Loop: Header=BB32_138 Depth=1
	s_or_b32 exec_lo, exec_lo, s17
	v_dual_mov_b32 v33, 0 :: v_dual_mov_b32 v34, 0
	s_mov_b32 s20, 0
	s_mov_b32 s17, exec_lo
	v_cmpx_gt_i32_e64 s12, v105
	s_cbranch_execz .LBB32_145
; %bb.144:                              ;   in Loop: Header=BB32_138 Depth=1
	v_add_co_u32 v2, vcc_lo, v122, v95
	v_add_co_ci_u32_e32 v3, vcc_lo, 0, v123, vcc_lo
	flat_load_b64 v[33:34], v[2:3]
.LBB32_145:                             ;   in Loop: Header=BB32_138 Depth=1
	s_or_b32 exec_lo, exec_lo, s17
	v_cmp_gt_i32_e64 s17, s12, v106
	s_mov_b32 s18, 0
	s_and_b32 vcc_lo, exec_lo, s20
	s_cbranch_vccnz .LBB32_147
	s_branch .LBB32_148
.LBB32_146:                             ;   in Loop: Header=BB32_138 Depth=1
	s_mov_b32 s17, 0
                                        ; implicit-def: $vgpr30
                                        ; implicit-def: $vgpr32
                                        ; implicit-def: $vgpr34
                                        ; implicit-def: $sgpr18
	s_cbranch_execz .LBB32_148
.LBB32_147:                             ;   in Loop: Header=BB32_138 Depth=1
	v_add_co_u32 v2, vcc_lo, v126, v95
	v_add_co_ci_u32_e32 v3, vcc_lo, 0, v127, vcc_lo
	v_add_co_u32 v4, vcc_lo, v122, v95
	v_add_co_ci_u32_e32 v5, vcc_lo, 0, v123, vcc_lo
	s_waitcnt vmcnt(0) lgkmcnt(0)
	flat_load_b64 v[29:30], v[0:1]
	flat_load_b64 v[31:32], v[2:3]
	;; [unrolled: 1-line block ×3, first 2 shown]
	s_or_b32 s17, s17, exec_lo
                                        ; implicit-def: $sgpr18
.LBB32_148:                             ;   in Loop: Header=BB32_138 Depth=1
	v_dual_mov_b32 v35, s18 :: v_dual_mov_b32 v36, s18
	s_and_saveexec_b32 s18, s17
	s_cbranch_execz .LBB32_150
; %bb.149:                              ;   in Loop: Header=BB32_138 Depth=1
	v_add_co_u32 v0, vcc_lo, v134, v95
	v_add_co_ci_u32_e32 v1, vcc_lo, 0, v135, vcc_lo
	flat_load_b64 v[35:36], v[0:1]
.LBB32_150:                             ;   in Loop: Header=BB32_138 Depth=1
	s_or_b32 exec_lo, exec_lo, s18
	ds_load_b64 v[0:1], v100
	ds_load_b64 v[37:38], v107
	v_cndmask_b32_e64 v77, 0, 1, s2
	s_waitcnt vmcnt(0) lgkmcnt(1)
	v_dual_mul_f32 v2, v30, v1 :: v_dual_mul_f32 v5, v32, v0
	v_dual_mul_f32 v3, v30, v0 :: v_dual_mul_f32 v4, v32, v1
	;; [unrolled: 1-line block ×4, first 2 shown]
	s_delay_alu instid0(VALU_DEP_4) | instskip(NEXT) | instid1(VALU_DEP_4)
	v_fmac_f32_e32 v2, v29, v0
	v_fma_f32 v3, v29, v1, -v3
	v_fmac_f32_e32 v4, v31, v0
	v_fma_f32 v5, v31, v1, -v5
	;; [unrolled: 2-line block ×4, first 2 shown]
	ds_store_b64 v108, v[2:3]
	ds_load_b64 v[43:44], v107 offset:8
	ds_store_b64 v108, v[4:5] offset:536
	ds_load_b64 v[41:42], v107 offset:16
	ds_store_b64 v108, v[6:7] offset:1072
	;; [unrolled: 2-line block ×3, first 2 shown]
	s_waitcnt lgkmcnt(0)
	s_barrier
	buffer_gl0_inv
	ds_load_2addr_b64 v[4:7], v103 offset1:1
	ds_load_2addr_b64 v[0:3], v103 offset0:2 offset1:3
	v_add_co_u32 v8, vcc_lo, v146, v95
	v_add_co_ci_u32_e32 v9, vcc_lo, 0, v147, vcc_lo
	s_and_not1_b32 vcc_lo, exec_lo, s2
	s_waitcnt lgkmcnt(0)
	s_barrier
	buffer_gl0_inv
	s_cbranch_vccnz .LBB32_158
; %bb.151:                              ;   in Loop: Header=BB32_138 Depth=1
	v_dual_mov_b32 v45, 0 :: v_dual_mov_b32 v48, 0
	v_mov_b32_e32 v47, 0
	s_mov_b32 s2, exec_lo
	v_cmpx_gt_i32_e64 s12, v109
	s_cbranch_execz .LBB32_153
; %bb.152:                              ;   in Loop: Header=BB32_138 Depth=1
	flat_load_b64 v[47:48], v[8:9]
.LBB32_153:                             ;   in Loop: Header=BB32_138 Depth=1
	s_or_b32 exec_lo, exec_lo, s2
	v_mov_b32_e32 v46, 0
	s_mov_b32 s2, exec_lo
	v_cmpx_gt_i32_e64 s12, v110
	s_cbranch_execz .LBB32_155
; %bb.154:                              ;   in Loop: Header=BB32_138 Depth=1
	v_add_co_u32 v10, vcc_lo, v142, v95
	v_add_co_ci_u32_e32 v11, vcc_lo, 0, v143, vcc_lo
	flat_load_b64 v[45:46], v[10:11]
.LBB32_155:                             ;   in Loop: Header=BB32_138 Depth=1
	s_or_b32 exec_lo, exec_lo, s2
	v_dual_mov_b32 v49, 0 :: v_dual_mov_b32 v50, 0
	s_mov_b32 s18, 0
	s_mov_b32 s2, exec_lo
	v_cmpx_gt_i32_e64 s12, v111
	s_cbranch_execz .LBB32_157
; %bb.156:                              ;   in Loop: Header=BB32_138 Depth=1
	v_add_co_u32 v10, vcc_lo, v136, v95
	v_add_co_ci_u32_e32 v11, vcc_lo, 0, v137, vcc_lo
	flat_load_b64 v[49:50], v[10:11]
.LBB32_157:                             ;   in Loop: Header=BB32_138 Depth=1
	s_or_b32 exec_lo, exec_lo, s2
	v_cmp_gt_i32_e64 s2, s12, v112
	s_mov_b32 s17, 0
	s_and_b32 vcc_lo, exec_lo, s18
	s_cbranch_vccnz .LBB32_159
	s_branch .LBB32_160
.LBB32_158:                             ;   in Loop: Header=BB32_138 Depth=1
	s_mov_b32 s2, 0
                                        ; implicit-def: $vgpr48
                                        ; implicit-def: $vgpr46
                                        ; implicit-def: $vgpr50
                                        ; implicit-def: $sgpr17
	s_cbranch_execz .LBB32_160
.LBB32_159:                             ;   in Loop: Header=BB32_138 Depth=1
	v_add_co_u32 v10, vcc_lo, v142, v95
	v_add_co_ci_u32_e32 v11, vcc_lo, 0, v143, vcc_lo
	v_add_co_u32 v12, vcc_lo, v136, v95
	v_add_co_ci_u32_e32 v13, vcc_lo, 0, v137, vcc_lo
	s_waitcnt vmcnt(0) lgkmcnt(0)
	flat_load_b64 v[47:48], v[8:9]
	flat_load_b64 v[45:46], v[10:11]
	;; [unrolled: 1-line block ×3, first 2 shown]
	s_or_b32 s2, s2, exec_lo
                                        ; implicit-def: $sgpr17
.LBB32_160:                             ;   in Loop: Header=BB32_138 Depth=1
	v_dual_mov_b32 v51, s17 :: v_dual_mov_b32 v52, s17
	s_and_saveexec_b32 s17, s2
	s_cbranch_execz .LBB32_162
; %bb.161:                              ;   in Loop: Header=BB32_138 Depth=1
	v_add_co_u32 v8, vcc_lo, v150, v95
	v_add_co_ci_u32_e32 v9, vcc_lo, 0, v151, vcc_lo
	flat_load_b64 v[51:52], v[8:9]
.LBB32_162:                             ;   in Loop: Header=BB32_138 Depth=1
	s_or_b32 exec_lo, exec_lo, s17
	ds_load_b64 v[8:9], v100
	ds_load_b64 v[53:54], v107 offset:128
	v_cmp_ne_u32_e32 vcc_lo, 1, v77
	s_and_b32 vcc_lo, exec_lo, vcc_lo
	s_waitcnt vmcnt(0) lgkmcnt(1)
	v_dual_mul_f32 v10, v48, v9 :: v_dual_mul_f32 v13, v46, v8
	v_dual_mul_f32 v11, v48, v8 :: v_dual_mul_f32 v12, v46, v9
	;; [unrolled: 1-line block ×4, first 2 shown]
	s_delay_alu instid0(VALU_DEP_4) | instskip(NEXT) | instid1(VALU_DEP_4)
	v_fmac_f32_e32 v10, v47, v8
	v_fma_f32 v11, v47, v9, -v11
	v_fmac_f32_e32 v12, v45, v8
	v_fma_f32 v13, v45, v9, -v13
	;; [unrolled: 2-line block ×4, first 2 shown]
	ds_store_b64 v108, v[10:11]
	ds_load_b64 v[59:60], v107 offset:136
	ds_store_b64 v108, v[12:13] offset:536
	ds_load_b64 v[57:58], v107 offset:144
	ds_store_b64 v108, v[14:15] offset:1072
	;; [unrolled: 2-line block ×3, first 2 shown]
	s_waitcnt lgkmcnt(0)
	s_barrier
	buffer_gl0_inv
	ds_load_2addr_b64 v[12:15], v103 offset1:1
	ds_load_2addr_b64 v[8:11], v103 offset0:2 offset1:3
	v_add_co_u32 v16, s2, v144, v95
	s_delay_alu instid0(VALU_DEP_1)
	v_add_co_ci_u32_e64 v17, s2, 0, v145, s2
	s_waitcnt lgkmcnt(0)
	s_barrier
	buffer_gl0_inv
	s_cbranch_vccnz .LBB32_170
; %bb.163:                              ;   in Loop: Header=BB32_138 Depth=1
	v_dual_mov_b32 v61, 0 :: v_dual_mov_b32 v64, 0
	v_mov_b32_e32 v63, 0
	s_mov_b32 s2, exec_lo
	v_cmpx_gt_i32_e64 s12, v113
	s_cbranch_execz .LBB32_165
; %bb.164:                              ;   in Loop: Header=BB32_138 Depth=1
	flat_load_b64 v[63:64], v[16:17]
.LBB32_165:                             ;   in Loop: Header=BB32_138 Depth=1
	s_or_b32 exec_lo, exec_lo, s2
	v_mov_b32_e32 v62, 0
	s_mov_b32 s2, exec_lo
	v_cmpx_gt_i32_e64 s12, v114
	s_cbranch_execz .LBB32_167
; %bb.166:                              ;   in Loop: Header=BB32_138 Depth=1
	v_add_co_u32 v18, vcc_lo, v148, v95
	v_add_co_ci_u32_e32 v19, vcc_lo, 0, v149, vcc_lo
	flat_load_b64 v[61:62], v[18:19]
.LBB32_167:                             ;   in Loop: Header=BB32_138 Depth=1
	s_or_b32 exec_lo, exec_lo, s2
	v_dual_mov_b32 v65, 0 :: v_dual_mov_b32 v66, 0
	s_mov_b32 s18, 0
	s_mov_b32 s2, exec_lo
	v_cmpx_gt_i32_e64 s12, v115
	s_cbranch_execz .LBB32_169
; %bb.168:                              ;   in Loop: Header=BB32_138 Depth=1
	v_add_co_u32 v18, vcc_lo, v152, v95
	v_add_co_ci_u32_e32 v19, vcc_lo, 0, v153, vcc_lo
	flat_load_b64 v[65:66], v[18:19]
.LBB32_169:                             ;   in Loop: Header=BB32_138 Depth=1
	s_or_b32 exec_lo, exec_lo, s2
	v_cmp_gt_i32_e64 s2, s12, v116
	s_mov_b32 s17, 0
	s_and_b32 vcc_lo, exec_lo, s18
	s_cbranch_vccnz .LBB32_171
	s_branch .LBB32_172
.LBB32_170:                             ;   in Loop: Header=BB32_138 Depth=1
	s_mov_b32 s2, 0
                                        ; implicit-def: $vgpr64
                                        ; implicit-def: $vgpr62
                                        ; implicit-def: $vgpr66
                                        ; implicit-def: $sgpr17
	s_cbranch_execz .LBB32_172
.LBB32_171:                             ;   in Loop: Header=BB32_138 Depth=1
	v_add_co_u32 v18, vcc_lo, v148, v95
	v_add_co_ci_u32_e32 v19, vcc_lo, 0, v149, vcc_lo
	v_add_co_u32 v20, vcc_lo, v152, v95
	v_add_co_ci_u32_e32 v21, vcc_lo, 0, v153, vcc_lo
	s_waitcnt vmcnt(0) lgkmcnt(0)
	flat_load_b64 v[63:64], v[16:17]
	flat_load_b64 v[61:62], v[18:19]
	;; [unrolled: 1-line block ×3, first 2 shown]
	s_or_b32 s2, s2, exec_lo
                                        ; implicit-def: $sgpr17
.LBB32_172:                             ;   in Loop: Header=BB32_138 Depth=1
	v_dual_mov_b32 v67, s17 :: v_dual_mov_b32 v68, s17
	s_and_saveexec_b32 s17, s2
	s_cbranch_execz .LBB32_174
; %bb.173:                              ;   in Loop: Header=BB32_138 Depth=1
	v_add_co_u32 v16, vcc_lo, v140, v95
	v_add_co_ci_u32_e32 v17, vcc_lo, 0, v141, vcc_lo
	flat_load_b64 v[67:68], v[16:17]
.LBB32_174:                             ;   in Loop: Header=BB32_138 Depth=1
	s_or_b32 exec_lo, exec_lo, s17
	ds_load_b64 v[16:17], v100
	ds_load_b64 v[69:70], v107 offset:256
	v_cmp_ne_u32_e32 vcc_lo, 1, v77
	v_add_co_u32 v83, s2, v128, v95
	s_delay_alu instid0(VALU_DEP_1)
	v_add_co_ci_u32_e64 v84, s2, 0, v129, s2
	s_and_b32 vcc_lo, exec_lo, vcc_lo
	s_waitcnt vmcnt(0) lgkmcnt(1)
	v_dual_mul_f32 v18, v64, v17 :: v_dual_mul_f32 v21, v62, v16
	v_dual_mul_f32 v19, v64, v16 :: v_dual_mul_f32 v20, v62, v17
	;; [unrolled: 1-line block ×4, first 2 shown]
	s_delay_alu instid0(VALU_DEP_4) | instskip(NEXT) | instid1(VALU_DEP_4)
	v_fmac_f32_e32 v18, v63, v16
	v_fma_f32 v19, v63, v17, -v19
	v_fmac_f32_e32 v20, v61, v16
	v_fma_f32 v21, v61, v17, -v21
	;; [unrolled: 2-line block ×4, first 2 shown]
	ds_store_b64 v108, v[18:19]
	ds_load_b64 v[75:76], v107 offset:264
	ds_store_b64 v108, v[20:21] offset:536
	ds_load_b64 v[73:74], v107 offset:272
	ds_store_b64 v108, v[22:23] offset:1072
	;; [unrolled: 2-line block ×3, first 2 shown]
	s_waitcnt lgkmcnt(0)
	s_barrier
	buffer_gl0_inv
	ds_load_2addr_b64 v[20:23], v103 offset1:1
	ds_load_2addr_b64 v[16:19], v103 offset0:2 offset1:3
	s_waitcnt lgkmcnt(0)
	s_barrier
	buffer_gl0_inv
	s_cbranch_vccnz .LBB32_182
; %bb.175:                              ;   in Loop: Header=BB32_138 Depth=1
	v_dual_mov_b32 v79, 0 :: v_dual_mov_b32 v78, 0
	v_mov_b32_e32 v77, 0
	s_mov_b32 s2, exec_lo
	v_cmpx_gt_i32_e64 s12, v117
	s_cbranch_execz .LBB32_177
; %bb.176:                              ;   in Loop: Header=BB32_138 Depth=1
	flat_load_b64 v[77:78], v[83:84]
.LBB32_177:                             ;   in Loop: Header=BB32_138 Depth=1
	s_or_b32 exec_lo, exec_lo, s2
	v_mov_b32_e32 v80, 0
	s_mov_b32 s2, exec_lo
	v_cmpx_gt_i32_e64 s12, v118
	s_cbranch_execz .LBB32_179
; %bb.178:                              ;   in Loop: Header=BB32_138 Depth=1
	v_add_co_u32 v79, vcc_lo, v132, v95
	v_add_co_ci_u32_e32 v80, vcc_lo, 0, v133, vcc_lo
	flat_load_b64 v[79:80], v[79:80]
.LBB32_179:                             ;   in Loop: Header=BB32_138 Depth=1
	s_or_b32 exec_lo, exec_lo, s2
	v_dual_mov_b32 v81, 0 :: v_dual_mov_b32 v82, 0
	s_mov_b32 s18, 0
	s_mov_b32 s2, exec_lo
	v_cmpx_gt_i32_e64 s12, v119
	s_cbranch_execz .LBB32_181
; %bb.180:                              ;   in Loop: Header=BB32_138 Depth=1
	v_add_co_u32 v81, vcc_lo, v138, v95
	v_add_co_ci_u32_e32 v82, vcc_lo, 0, v139, vcc_lo
	flat_load_b64 v[81:82], v[81:82]
.LBB32_181:                             ;   in Loop: Header=BB32_138 Depth=1
	s_or_b32 exec_lo, exec_lo, s2
	v_cmp_gt_i32_e64 s2, s12, v120
	s_mov_b32 s17, 0
	s_and_b32 vcc_lo, exec_lo, s18
	s_cbranch_vccnz .LBB32_183
	s_branch .LBB32_184
.LBB32_182:                             ;   in Loop: Header=BB32_138 Depth=1
	s_mov_b32 s2, 0
                                        ; implicit-def: $vgpr78
                                        ; implicit-def: $vgpr80
                                        ; implicit-def: $vgpr82
                                        ; implicit-def: $sgpr17
	s_cbranch_execz .LBB32_184
.LBB32_183:                             ;   in Loop: Header=BB32_138 Depth=1
	s_waitcnt vmcnt(0) lgkmcnt(0)
	v_add_co_u32 v79, vcc_lo, v132, v95
	v_add_co_ci_u32_e32 v80, vcc_lo, 0, v133, vcc_lo
	v_add_co_u32 v81, vcc_lo, v138, v95
	v_add_co_ci_u32_e32 v82, vcc_lo, 0, v139, vcc_lo
	flat_load_b64 v[77:78], v[83:84]
	flat_load_b64 v[79:80], v[79:80]
	;; [unrolled: 1-line block ×3, first 2 shown]
	s_or_b32 s2, s2, exec_lo
                                        ; implicit-def: $sgpr17
.LBB32_184:                             ;   in Loop: Header=BB32_138 Depth=1
	v_dual_mov_b32 v83, s17 :: v_dual_mov_b32 v84, s17
	s_and_saveexec_b32 s17, s2
	s_cbranch_execz .LBB32_186
; %bb.185:                              ;   in Loop: Header=BB32_138 Depth=1
	v_add_co_u32 v83, vcc_lo, v124, v95
	v_add_co_ci_u32_e32 v84, vcc_lo, 0, v125, vcc_lo
	flat_load_b64 v[83:84], v[83:84]
.LBB32_186:                             ;   in Loop: Header=BB32_138 Depth=1
	s_or_b32 exec_lo, exec_lo, s17
	ds_load_b64 v[87:88], v100
	ds_load_b64 v[85:86], v107 offset:384
	v_add_f32_e32 v21, 0, v21
	v_cmp_gt_i32_e32 vcc_lo, s12, v93
	v_add_f32_e32 v20, 0, v20
	v_add_f32_e32 v12, 0, v12
	;; [unrolled: 1-line block ×3, first 2 shown]
	s_or_b32 s2, s13, vcc_lo
	s_delay_alu instid0(SALU_CYCLE_1) | instskip(NEXT) | instid1(VALU_DEP_2)
	s_and_b32 s12, s1, s2
	v_add_f32_e32 v12, v12, v14
	s_delay_alu instid0(VALU_DEP_2) | instskip(NEXT) | instid1(VALU_DEP_2)
	v_dual_add_f32 v4, v4, v6 :: v_dual_add_f32 v13, 0, v13
	v_add_f32_e32 v8, v12, v8
	s_waitcnt vmcnt(0) lgkmcnt(1)
	v_dual_mul_f32 v89, v78, v88 :: v_dual_mul_f32 v160, v84, v87
	v_dual_mul_f32 v90, v78, v87 :: v_dual_mul_f32 v155, v80, v88
	v_mul_f32_e32 v91, v80, v87
	v_mul_f32_e32 v157, v82, v88
	v_dual_mul_f32 v92, v82, v87 :: v_dual_mul_f32 v159, v84, v88
	v_fmac_f32_e32 v89, v77, v87
	v_fma_f32 v90, v77, v88, -v90
	v_fmac_f32_e32 v155, v79, v87
	v_fma_f32 v156, v79, v88, -v91
	;; [unrolled: 2-line block ×4, first 2 shown]
	ds_store_b64 v108, v[89:90]
	ds_load_b64 v[91:92], v107 offset:392
	ds_store_b64 v108, v[155:156] offset:536
	ds_load_b64 v[89:90], v107 offset:400
	ds_store_b64 v108, v[157:158] offset:1072
	;; [unrolled: 2-line block ×3, first 2 shown]
	s_waitcnt lgkmcnt(0)
	s_barrier
	buffer_gl0_inv
	ds_load_2addr_b64 v[155:158], v103 offset1:1
	v_add_f32_e32 v159, v20, v22
	s_delay_alu instid0(VALU_DEP_1)
	v_add_f32_e32 v6, v159, v16
	v_add_f32_e32 v160, v21, v23
	ds_load_2addr_b64 v[20:23], v103 offset0:2 offset1:3
	v_add_f32_e32 v5, 0, v5
	s_waitcnt lgkmcnt(0)
	s_barrier
	buffer_gl0_inv
	v_add_f32_e32 v12, 0, v155
	v_dual_add_f32 v5, v5, v7 :: v_dual_add_f32 v14, 0, v156
	v_add_f32_e32 v13, v13, v15
	s_delay_alu instid0(VALU_DEP_2) | instskip(NEXT) | instid1(VALU_DEP_4)
	v_add_f32_e32 v15, v5, v1
	v_add_f32_e32 v5, v12, v157
	s_delay_alu instid0(VALU_DEP_4) | instskip(NEXT) | instid1(VALU_DEP_4)
	v_dual_add_f32 v7, v160, v17 :: v_dual_add_f32 v12, v14, v158
	v_add_f32_e32 v9, v13, v9
	v_dual_add_f32 v13, v4, v0 :: v_dual_add_f32 v0, v6, v18
	s_delay_alu instid0(VALU_DEP_3) | instskip(NEXT) | instid1(VALU_DEP_4)
	v_dual_add_f32 v6, v5, v20 :: v_dual_add_f32 v1, v7, v19
	v_add_f32_e32 v7, v12, v21
	s_delay_alu instid0(VALU_DEP_4) | instskip(NEXT) | instid1(VALU_DEP_3)
	v_dual_add_f32 v4, v8, v10 :: v_dual_add_f32 v5, v9, v11
	v_add_f32_e32 v6, v6, v22
	v_dual_add_f32 v2, v13, v2 :: v_dual_add_f32 v3, v15, v3
	s_delay_alu instid0(VALU_DEP_4)
	v_add_f32_e32 v7, v7, v23
	ds_store_2addr_b64 v154, v[2:3], v[4:5] offset1:16
	ds_store_2addr_b64 v154, v[0:1], v[6:7] offset0:32 offset1:48
	s_waitcnt lgkmcnt(0)
	s_barrier
	buffer_gl0_inv
	s_and_saveexec_b32 s2, s12
	s_cbranch_execz .LBB32_188
; %bb.187:                              ;   in Loop: Header=BB32_138 Depth=1
	ds_load_b64 v[11:12], v101
	ds_load_2addr_b64 v[0:3], v101 offset0:1 offset1:2
	ds_load_2addr_b64 v[4:7], v101 offset0:3 offset1:4
	s_waitcnt lgkmcnt(1)
	v_dual_add_f32 v0, v0, v11 :: v_dual_add_f32 v1, v1, v12
	ds_load_2addr_b64 v[8:11], v101 offset0:5 offset1:6
	v_add_f32_e32 v0, v0, v2
	v_add_f32_e32 v12, v1, v3
	s_waitcnt lgkmcnt(1)
	s_delay_alu instid0(VALU_DEP_2) | instskip(SKIP_3) | instid1(VALU_DEP_2)
	v_add_f32_e32 v4, v0, v4
	ds_load_2addr_b64 v[0:3], v101 offset0:7 offset1:8
	v_add_f32_e32 v5, v12, v5
	v_add_f32_e32 v4, v4, v6
	;; [unrolled: 1-line block ×3, first 2 shown]
	s_waitcnt lgkmcnt(1)
	s_delay_alu instid0(VALU_DEP_2) | instskip(SKIP_3) | instid1(VALU_DEP_2)
	v_add_f32_e32 v8, v4, v8
	ds_load_2addr_b64 v[4:7], v101 offset0:9 offset1:10
	v_add_f32_e32 v9, v12, v9
	v_add_f32_e32 v8, v8, v10
	;; [unrolled: 1-line block ×3, first 2 shown]
	s_waitcnt lgkmcnt(1)
	s_delay_alu instid0(VALU_DEP_2) | instskip(SKIP_4) | instid1(VALU_DEP_1)
	v_add_f32_e32 v0, v8, v0
	ds_load_2addr_b64 v[8:11], v101 offset0:11 offset1:12
	v_add_f32_e32 v1, v12, v1
	v_add_f32_e32 v12, v0, v2
	s_waitcnt lgkmcnt(1)
	v_add_f32_e32 v4, v12, v4
	s_delay_alu instid0(VALU_DEP_1) | instskip(SKIP_1) | instid1(VALU_DEP_1)
	v_add_f32_e32 v6, v4, v6
	s_waitcnt lgkmcnt(0)
	v_add_f32_e32 v6, v6, v8
	s_delay_alu instid0(VALU_DEP_1) | instskip(SKIP_3) | instid1(VALU_DEP_1)
	v_dual_add_f32 v8, v6, v10 :: v_dual_add_f32 v13, v1, v3
	ds_load_2addr_b64 v[0:3], v101 offset0:13 offset1:14
	v_add_nc_u32_e32 v6, s16, v121
	v_add_f32_e32 v5, v13, v5
	v_add_f32_e32 v7, v5, v7
	ds_load_b64 v[4:5], v102
	v_add_f32_e32 v7, v7, v9
	s_waitcnt lgkmcnt(1)
	s_delay_alu instid0(VALU_DEP_1) | instskip(NEXT) | instid1(VALU_DEP_1)
	v_dual_add_f32 v7, v7, v11 :: v_dual_add_f32 v0, v8, v0
	v_add_f32_e32 v1, v7, v1
	v_ashrrev_i32_e32 v7, 31, v6
	s_delay_alu instid0(VALU_DEP_2) | instskip(NEXT) | instid1(VALU_DEP_2)
	v_dual_add_f32 v2, v0, v2 :: v_dual_add_f32 v3, v1, v3
	v_lshlrev_b64 v[0:1], 3, v[6:7]
	s_waitcnt lgkmcnt(0)
	s_delay_alu instid0(VALU_DEP_2) | instskip(NEXT) | instid1(VALU_DEP_2)
	v_dual_add_f32 v2, v2, v4 :: v_dual_add_f32 v3, v3, v5
	v_add_co_u32 v0, vcc_lo, s3, v0
	s_delay_alu instid0(VALU_DEP_3)
	v_add_co_ci_u32_e32 v1, vcc_lo, s6, v1, vcc_lo
	global_store_b64 v[0:1], v[2:3], off
.LBB32_188:                             ;   in Loop: Header=BB32_138 Depth=1
	s_or_b32 exec_lo, exec_lo, s2
	v_dual_mul_f32 v0, v30, v38 :: v_dual_mul_f32 v3, v31, v44
	v_dual_mul_f32 v1, v29, v38 :: v_dual_mul_f32 v2, v32, v44
	;; [unrolled: 1-line block ×3, first 2 shown]
	s_delay_alu instid0(VALU_DEP_3) | instskip(NEXT) | instid1(VALU_DEP_3)
	v_fma_f32 v0, v29, v37, -v0
	v_dual_mul_f32 v8, v48, v54 :: v_dual_fmac_f32 v1, v30, v37
	s_delay_alu instid0(VALU_DEP_4) | instskip(SKIP_1) | instid1(VALU_DEP_4)
	v_fma_f32 v2, v31, v43, -v2
	v_dual_mul_f32 v5, v33, v42 :: v_dual_mul_f32 v6, v36, v40
	v_dual_add_f32 v0, v26, v0 :: v_dual_mul_f32 v9, v47, v54
	v_fma_f32 v4, v33, v41, -v4
	v_fmac_f32_e32 v3, v32, v43
	s_delay_alu instid0(VALU_DEP_3)
	v_dual_add_f32 v1, v27, v1 :: v_dual_add_f32 v0, v0, v2
	v_mul_f32_e32 v2, v46, v60
	v_fma_f32 v6, v35, v39, -v6
	v_fmac_f32_e32 v5, v34, v41
	v_fmac_f32_e32 v7, v36, v39
	v_dual_add_f32 v0, v0, v4 :: v_dual_add_f32 v1, v1, v3
	v_mul_f32_e32 v4, v45, v60
	v_fma_f32 v3, v47, v53, -v8
	v_fma_f32 v2, v45, v59, -v2
	s_delay_alu instid0(VALU_DEP_4) | instskip(SKIP_3) | instid1(VALU_DEP_3)
	v_add_f32_e32 v0, v0, v6
	v_dual_mul_f32 v6, v50, v58 :: v_dual_add_f32 v1, v1, v5
	v_dual_fmac_f32 v9, v48, v53 :: v_dual_fmac_f32 v4, v46, v59
	v_add_co_u32 v122, vcc_lo, v122, s4
	v_add_f32_e32 v1, v1, v7
	v_add_f32_e32 v0, v0, v3
	v_mul_f32_e32 v3, v52, v56
	v_fma_f32 v5, v49, v57, -v6
	v_add_co_ci_u32_e32 v123, vcc_lo, s5, v123, vcc_lo
	s_delay_alu instid0(VALU_DEP_4) | instskip(SKIP_3) | instid1(VALU_DEP_4)
	v_dual_add_f32 v1, v1, v9 :: v_dual_add_f32 v0, v0, v2
	v_mul_f32_e32 v2, v49, v58
	v_fma_f32 v3, v51, v55, -v3
	v_add_co_u32 v124, vcc_lo, v124, s4
	v_dual_add_f32 v0, v0, v5 :: v_dual_add_f32 v1, v1, v4
	s_delay_alu instid0(VALU_DEP_4) | instskip(SKIP_1) | instid1(VALU_DEP_3)
	v_dual_mul_f32 v5, v64, v70 :: v_dual_fmac_f32 v2, v50, v57
	v_mul_f32_e32 v4, v51, v56
	v_add_f32_e32 v0, v0, v3
	v_add_co_ci_u32_e32 v125, vcc_lo, s5, v125, vcc_lo
	s_delay_alu instid0(VALU_DEP_4) | instskip(SKIP_3) | instid1(VALU_DEP_4)
	v_fma_f32 v3, v63, v69, -v5
	v_mul_f32_e32 v5, v62, v76
	v_dual_add_f32 v1, v1, v2 :: v_dual_fmac_f32 v4, v52, v55
	v_add_co_u32 v126, vcc_lo, v126, s4
	v_add_f32_e32 v0, v0, v3
	s_delay_alu instid0(VALU_DEP_4)
	v_fma_f32 v3, v61, v75, -v5
	v_mul_f32_e32 v5, v66, v74
	v_dual_mul_f32 v2, v63, v70 :: v_dual_add_f32 v1, v1, v4
	v_mul_f32_e32 v4, v61, v76
	v_add_co_ci_u32_e32 v127, vcc_lo, s5, v127, vcc_lo
	v_add_co_u32 v128, vcc_lo, v128, s4
	s_delay_alu instid0(VALU_DEP_3) | instskip(SKIP_3) | instid1(VALU_DEP_3)
	v_fmac_f32_e32 v4, v62, v75
	v_fmac_f32_e32 v2, v64, v69
	v_add_co_ci_u32_e32 v129, vcc_lo, s5, v129, vcc_lo
	v_add_co_u32 v130, vcc_lo, v130, s4
	v_dual_add_f32 v1, v1, v2 :: v_dual_add_f32 v0, v0, v3
	v_fma_f32 v3, v65, v73, -v5
	v_dual_mul_f32 v5, v68, v72 :: v_dual_mul_f32 v2, v65, v74
	s_delay_alu instid0(VALU_DEP_3) | instskip(SKIP_1) | instid1(VALU_DEP_3)
	v_dual_add_f32 v1, v1, v4 :: v_dual_mul_f32 v4, v78, v86
	v_add_co_ci_u32_e32 v131, vcc_lo, s5, v131, vcc_lo
	v_fmac_f32_e32 v2, v66, v73
	v_add_co_u32 v132, vcc_lo, v132, s4
	v_add_co_ci_u32_e32 v133, vcc_lo, s5, v133, vcc_lo
	s_delay_alu instid0(VALU_DEP_3)
	v_dual_add_f32 v1, v1, v2 :: v_dual_add_f32 v0, v0, v3
	v_fma_f32 v3, v67, v71, -v5
	v_mul_f32_e32 v5, v67, v72
	v_fma_f32 v2, v77, v85, -v4
	v_add_co_u32 v134, vcc_lo, v134, s4
	v_add_co_ci_u32_e32 v135, vcc_lo, s5, v135, vcc_lo
	s_delay_alu instid0(VALU_DEP_4) | instskip(SKIP_2) | instid1(VALU_DEP_3)
	v_fmac_f32_e32 v5, v68, v71
	v_add_co_u32 v136, vcc_lo, v136, s4
	v_add_co_ci_u32_e32 v137, vcc_lo, s5, v137, vcc_lo
	v_dual_add_f32 v1, v1, v5 :: v_dual_add_f32 v0, v0, v3
	v_mul_f32_e32 v5, v82, v90
	v_mul_f32_e32 v3, v80, v92
	v_add_co_u32 v138, vcc_lo, v138, s4
	s_delay_alu instid0(VALU_DEP_4) | instskip(SKIP_1) | instid1(VALU_DEP_4)
	v_add_f32_e32 v0, v0, v2
	v_add_co_ci_u32_e32 v139, vcc_lo, s5, v139, vcc_lo
	v_fma_f32 v2, v79, v91, -v3
	v_dual_mul_f32 v3, v79, v92 :: v_dual_mul_f32 v4, v77, v86
	v_add_co_u32 v140, vcc_lo, v140, s4
	v_add_co_ci_u32_e32 v141, vcc_lo, s5, v141, vcc_lo
	s_delay_alu instid0(VALU_DEP_3) | instskip(SKIP_2) | instid1(VALU_DEP_3)
	v_dual_fmac_f32 v3, v80, v91 :: v_dual_fmac_f32 v4, v78, v85
	v_add_co_u32 v142, vcc_lo, v142, s4
	v_add_co_ci_u32_e32 v143, vcc_lo, s5, v143, vcc_lo
	v_dual_add_f32 v1, v1, v4 :: v_dual_add_f32 v0, v0, v2
	v_mul_f32_e32 v2, v81, v90
	v_add_co_u32 v144, vcc_lo, v144, s4
	s_delay_alu instid0(VALU_DEP_3)
	v_add_f32_e32 v1, v1, v3
	v_add_co_ci_u32_e32 v145, vcc_lo, s5, v145, vcc_lo
	v_add_co_u32 v146, vcc_lo, v146, s4
	v_fma_f32 v4, v81, v89, -v5
	v_dual_mul_f32 v5, v84, v88 :: v_dual_fmac_f32 v2, v82, v89
	v_mul_f32_e32 v6, v83, v88
	v_add_co_ci_u32_e32 v147, vcc_lo, s5, v147, vcc_lo
	v_add_co_u32 v148, vcc_lo, v148, s4
	s_delay_alu instid0(VALU_DEP_4)
	v_add_f32_e32 v1, v1, v2
	v_add_co_ci_u32_e32 v149, vcc_lo, s5, v149, vcc_lo
	v_add_f32_e32 v0, v0, v4
	v_fma_f32 v3, v83, v87, -v5
	v_fmac_f32_e32 v6, v84, v87
	v_add_co_u32 v150, vcc_lo, v150, s4
	v_add_co_ci_u32_e32 v151, vcc_lo, s5, v151, vcc_lo
	v_add_co_u32 v152, vcc_lo, v152, s4
	s_delay_alu instid0(VALU_DEP_4)
	v_dual_add_f32 v26, v0, v3 :: v_dual_add_f32 v27, v1, v6
	v_add_co_ci_u32_e32 v153, vcc_lo, s5, v153, vcc_lo
	s_add_i32 s12, s14, 2
	s_add_i32 s2, s14, 1
	;; [unrolled: 1-line block ×3, first 2 shown]
	s_cmp_ge_u32 s12, s7
	s_waitcnt_vscnt null, 0x0
	s_barrier
	buffer_gl0_inv
	s_cbranch_scc1 .LBB32_190
; %bb.189:                              ;   in Loop: Header=BB32_138 Depth=1
	s_mov_b32 s14, s2
	s_delay_alu instid0(SALU_CYCLE_1)
	s_cmp_eq_u32 s11, s14
	s_cselect_b32 s12, s15, 0
	s_and_saveexec_b32 s2, s0
	s_cbranch_execnz .LBB32_134
	s_branch .LBB32_138
.LBB32_190:
	v_cmp_gt_i32_e32 vcc_lo, s10, v93
	v_mad_u32_u24 v0, 0x218, v94, v95
	s_or_b32 s1, s19, vcc_lo
	ds_store_b64 v0, v[26:27]
	s_and_b32 s0, s0, s1
	s_waitcnt lgkmcnt(0)
	s_barrier
	buffer_gl0_inv
	s_and_saveexec_b32 s1, s0
	s_cbranch_execz .LBB32_192
; %bb.191:
	ds_load_2addr_b64 v[0:3], v95 offset1:67
	ds_load_2addr_b64 v[4:7], v95 offset0:134 offset1:201
	s_waitcnt lgkmcnt(1)
	v_dual_add_f32 v0, v2, v0 :: v_dual_add_f32 v1, v3, v1
	s_waitcnt lgkmcnt(0)
	s_delay_alu instid0(VALU_DEP_1) | instskip(SKIP_1) | instid1(VALU_DEP_2)
	v_dual_add_f32 v2, v0, v4 :: v_dual_add_f32 v3, v1, v5
	v_lshlrev_b64 v[0:1], 3, v[24:25]
	v_dual_add_f32 v2, v2, v6 :: v_dual_add_f32 v3, v3, v7
	s_delay_alu instid0(VALU_DEP_2) | instskip(NEXT) | instid1(VALU_DEP_3)
	v_add_co_u32 v0, vcc_lo, s3, v0
	v_add_co_ci_u32_e32 v1, vcc_lo, s6, v1, vcc_lo
	global_store_b64 v[0:1], v[2:3], off
.LBB32_192:
	s_nop 0
	s_sendmsg sendmsg(MSG_DEALLOC_VGPRS)
	s_endpgm
	.section	.rodata,"a",@progbits
	.p2align	6, 0x0
	.amdhsa_kernel _ZL26rocblas_hemvn_kernel_upperILb1ELi64ELi4ELi33ELi32ELi16ElPK19rocblas_complex_numIfEPKS3_PS1_EviT6_lT7_lT5_lS8_lS9_lS7_lT8_i
		.amdhsa_group_segment_fixed_size 9600
		.amdhsa_private_segment_fixed_size 0
		.amdhsa_kernarg_size 376
		.amdhsa_user_sgpr_count 14
		.amdhsa_user_sgpr_dispatch_ptr 0
		.amdhsa_user_sgpr_queue_ptr 0
		.amdhsa_user_sgpr_kernarg_segment_ptr 1
		.amdhsa_user_sgpr_dispatch_id 0
		.amdhsa_user_sgpr_private_segment_size 0
		.amdhsa_wavefront_size32 1
		.amdhsa_uses_dynamic_stack 0
		.amdhsa_enable_private_segment 0
		.amdhsa_system_sgpr_workgroup_id_x 1
		.amdhsa_system_sgpr_workgroup_id_y 0
		.amdhsa_system_sgpr_workgroup_id_z 1
		.amdhsa_system_sgpr_workgroup_info 0
		.amdhsa_system_vgpr_workitem_id 1
		.amdhsa_next_free_vgpr 161
		.amdhsa_next_free_sgpr 30
		.amdhsa_reserve_vcc 1
		.amdhsa_float_round_mode_32 0
		.amdhsa_float_round_mode_16_64 0
		.amdhsa_float_denorm_mode_32 3
		.amdhsa_float_denorm_mode_16_64 3
		.amdhsa_dx10_clamp 1
		.amdhsa_ieee_mode 1
		.amdhsa_fp16_overflow 0
		.amdhsa_workgroup_processor_mode 1
		.amdhsa_memory_ordered 1
		.amdhsa_forward_progress 0
		.amdhsa_shared_vgpr_count 0
		.amdhsa_exception_fp_ieee_invalid_op 0
		.amdhsa_exception_fp_denorm_src 0
		.amdhsa_exception_fp_ieee_div_zero 0
		.amdhsa_exception_fp_ieee_overflow 0
		.amdhsa_exception_fp_ieee_underflow 0
		.amdhsa_exception_fp_ieee_inexact 0
		.amdhsa_exception_int_div_zero 0
	.end_amdhsa_kernel
	.section	.text._ZL26rocblas_hemvn_kernel_upperILb1ELi64ELi4ELi33ELi32ELi16ElPK19rocblas_complex_numIfEPKS3_PS1_EviT6_lT7_lT5_lS8_lS9_lS7_lT8_i,"axG",@progbits,_ZL26rocblas_hemvn_kernel_upperILb1ELi64ELi4ELi33ELi32ELi16ElPK19rocblas_complex_numIfEPKS3_PS1_EviT6_lT7_lT5_lS8_lS9_lS7_lT8_i,comdat
.Lfunc_end32:
	.size	_ZL26rocblas_hemvn_kernel_upperILb1ELi64ELi4ELi33ELi32ELi16ElPK19rocblas_complex_numIfEPKS3_PS1_EviT6_lT7_lT5_lS8_lS9_lS7_lT8_i, .Lfunc_end32-_ZL26rocblas_hemvn_kernel_upperILb1ELi64ELi4ELi33ELi32ELi16ElPK19rocblas_complex_numIfEPKS3_PS1_EviT6_lT7_lT5_lS8_lS9_lS7_lT8_i
                                        ; -- End function
	.section	.AMDGPU.csdata,"",@progbits
; Kernel info:
; codeLenInByte = 10748
; NumSgprs: 32
; NumVgprs: 161
; ScratchSize: 0
; MemoryBound: 1
; FloatMode: 240
; IeeeMode: 1
; LDSByteSize: 9600 bytes/workgroup (compile time only)
; SGPRBlocks: 3
; VGPRBlocks: 20
; NumSGPRsForWavesPerEU: 32
; NumVGPRsForWavesPerEU: 161
; Occupancy: 9
; WaveLimiterHint : 1
; COMPUTE_PGM_RSRC2:SCRATCH_EN: 0
; COMPUTE_PGM_RSRC2:USER_SGPR: 14
; COMPUTE_PGM_RSRC2:TRAP_HANDLER: 0
; COMPUTE_PGM_RSRC2:TGID_X_EN: 1
; COMPUTE_PGM_RSRC2:TGID_Y_EN: 0
; COMPUTE_PGM_RSRC2:TGID_Z_EN: 1
; COMPUTE_PGM_RSRC2:TIDIG_COMP_CNT: 1
	.section	.text._ZL36rocblas_hemvn_kernel_upper_block_sumILi64ElPK19rocblas_complex_numIfEPKPS1_S1_EviT1_lS7_lT2_lT0_lPT3_i,"axG",@progbits,_ZL36rocblas_hemvn_kernel_upper_block_sumILi64ElPK19rocblas_complex_numIfEPKPS1_S1_EviT1_lS7_lT2_lT0_lPT3_i,comdat
	.globl	_ZL36rocblas_hemvn_kernel_upper_block_sumILi64ElPK19rocblas_complex_numIfEPKPS1_S1_EviT1_lS7_lT2_lT0_lPT3_i ; -- Begin function _ZL36rocblas_hemvn_kernel_upper_block_sumILi64ElPK19rocblas_complex_numIfEPKPS1_S1_EviT1_lS7_lT2_lT0_lPT3_i
	.p2align	8
	.type	_ZL36rocblas_hemvn_kernel_upper_block_sumILi64ElPK19rocblas_complex_numIfEPKPS1_S1_EviT1_lS7_lT2_lT0_lPT3_i,@function
_ZL36rocblas_hemvn_kernel_upper_block_sumILi64ElPK19rocblas_complex_numIfEPKPS1_S1_EviT1_lS7_lT2_lT0_lPT3_i: ; @_ZL36rocblas_hemvn_kernel_upper_block_sumILi64ElPK19rocblas_complex_numIfEPKPS1_S1_EviT1_lS7_lT2_lT0_lPT3_i
; %bb.0:
	s_load_b256 s[16:23], s[0:1], 0x8
	s_mov_b32 s12, s15
	s_mov_b32 s13, 0
	s_waitcnt lgkmcnt(0)
	s_mul_i32 s3, s15, s19
	s_mul_hi_u32 s4, s15, s18
	s_mul_i32 s2, s15, s18
	s_add_i32 s3, s4, s3
	s_mul_i32 s4, s15, s23
	s_lshl_b64 s[2:3], s[2:3], 3
	s_delay_alu instid0(SALU_CYCLE_1)
	s_add_u32 s2, s16, s2
	s_addc_u32 s3, s17, s3
	s_load_b64 s[10:11], s[2:3], 0x0
	s_mul_hi_u32 s3, s15, s22
	s_mul_i32 s2, s15, s22
	s_add_i32 s3, s3, s4
	s_delay_alu instid0(SALU_CYCLE_1) | instskip(NEXT) | instid1(SALU_CYCLE_1)
	s_lshl_b64 s[2:3], s[2:3], 3
	s_add_u32 s2, s20, s2
	s_addc_u32 s3, s21, s3
	s_load_b64 s[8:9], s[2:3], 0x0
	s_waitcnt lgkmcnt(0)
	s_or_b32 s2, s10, s11
	s_delay_alu instid0(SALU_CYCLE_1) | instskip(NEXT) | instid1(SALU_CYCLE_1)
	s_bitset0_b32 s2, 31
	s_cmp_eq_u32 s2, 0
	s_cselect_b32 s15, -1, 0
	s_cmp_lg_u32 s2, 0
	s_mov_b32 s2, -1
	s_cbranch_scc1 .LBB33_2
; %bb.1:
	v_cmp_neq_f32_e64 s2, s8, 1.0
	v_cmp_neq_f32_e64 s3, s9, 0
	s_delay_alu instid0(VALU_DEP_1)
	s_or_b32 s2, s2, s3
.LBB33_2:
	s_delay_alu instid0(SALU_CYCLE_1)
	s_and_not1_b32 vcc_lo, exec_lo, s2
	s_cbranch_vccnz .LBB33_19
; %bb.3:
	s_clause 0x1
	s_load_b64 s[2:3], s[0:1], 0x28
	s_load_b32 s16, s[0:1], 0x0
	s_lshl_b64 s[18:19], s[12:13], 3
	s_load_b128 s[4:7], s[0:1], 0x30
	v_lshl_or_b32 v0, s14, 6, v0
	s_waitcnt lgkmcnt(0)
	s_add_u32 s2, s2, s18
	s_addc_u32 s3, s3, s19
	s_lshl_b64 s[4:5], s[4:5], 3
	s_load_b64 s[18:19], s[2:3], 0x0
	v_cmp_gt_i32_e64 s2, s16, v0
	s_waitcnt lgkmcnt(0)
	s_add_u32 s3, s18, s4
	s_addc_u32 s4, s19, s5
	s_and_not1_b32 vcc_lo, exec_lo, s15
	s_mov_b32 s5, -1
	s_cbranch_vccnz .LBB33_9
; %bb.4:
	s_and_saveexec_b32 s5, s2
	s_cbranch_execz .LBB33_8
; %bb.5:
	v_ashrrev_i32_e32 v1, 31, v0
	v_mul_lo_u32 v3, v0, s7
	v_cmp_neq_f32_e64 s2, s8, 0
	v_cmp_neq_f32_e64 s13, s9, 0
	s_delay_alu instid0(VALU_DEP_4) | instskip(SKIP_1) | instid1(VALU_DEP_3)
	v_mul_lo_u32 v4, v1, s6
	v_mad_u64_u32 v[1:2], null, v0, s6, 0
	s_or_b32 s2, s2, s13
	s_delay_alu instid0(SALU_CYCLE_1) | instskip(NEXT) | instid1(VALU_DEP_1)
	s_and_not1_b32 vcc_lo, exec_lo, s2
	v_add3_u32 v2, v2, v3, v4
	v_dual_mov_b32 v3, 0 :: v_dual_mov_b32 v4, 0
	s_delay_alu instid0(VALU_DEP_2)
	v_lshlrev_b64 v[1:2], 3, v[1:2]
	s_cbranch_vccnz .LBB33_7
; %bb.6:
	s_delay_alu instid0(VALU_DEP_1) | instskip(NEXT) | instid1(VALU_DEP_2)
	v_add_co_u32 v3, vcc_lo, s3, v1
	v_add_co_ci_u32_e32 v4, vcc_lo, s4, v2, vcc_lo
	global_load_b64 v[5:6], v[3:4], off
	s_waitcnt vmcnt(0)
	v_mul_f32_e32 v4, s8, v6
	s_delay_alu instid0(VALU_DEP_1) | instskip(NEXT) | instid1(VALU_DEP_1)
	v_dual_mul_f32 v3, s9, v6 :: v_dual_fmac_f32 v4, s9, v5
	v_fma_f32 v3, v5, s8, -v3
.LBB33_7:
	s_delay_alu instid0(VALU_DEP_1) | instskip(NEXT) | instid1(VALU_DEP_2)
	v_add_co_u32 v1, vcc_lo, s3, v1
	v_add_co_ci_u32_e32 v2, vcc_lo, s4, v2, vcc_lo
	global_store_b64 v[1:2], v[3:4], off
.LBB33_8:
	s_or_b32 exec_lo, exec_lo, s5
	s_mov_b32 s5, 0
.LBB33_9:
	s_delay_alu instid0(SALU_CYCLE_1)
	s_and_not1_b32 vcc_lo, exec_lo, s5
	s_cbranch_vccnz .LBB33_19
; %bb.10:
	s_mov_b32 s2, exec_lo
	v_cmpx_gt_i32_e64 s16, v0
	s_cbranch_execz .LBB33_19
; %bb.11:
	v_ashrrev_i32_e32 v1, 31, v0
	v_dual_mov_b32 v4, 0 :: v_dual_mov_b32 v5, 0
	s_cmp_lt_i32 s14, 0
	s_cbranch_scc1 .LBB33_14
; %bb.12:
	s_clause 0x1
	s_load_b32 s2, s[0:1], 0x58
	s_load_b64 s[0:1], s[0:1], 0x48
	s_ashr_i32 s17, s16, 31
	s_mul_hi_u32 s5, s16, s12
	s_mul_i32 s13, s17, s12
	s_mul_i32 s12, s16, s12
	s_add_i32 s5, s5, s13
	v_lshlrev_b64 v[2:3], 3, v[0:1]
	v_dual_mov_b32 v4, 0 :: v_dual_mov_b32 v5, 0
	s_waitcnt lgkmcnt(0)
	s_mul_i32 s5, s5, s2
	s_mul_hi_u32 s13, s12, s2
	s_mul_i32 s12, s12, s2
	s_add_i32 s13, s13, s5
	s_add_i32 s2, s14, 1
	s_lshl_b64 s[12:13], s[12:13], 3
	s_delay_alu instid0(SALU_CYCLE_1) | instskip(SKIP_4) | instid1(VALU_DEP_2)
	s_add_u32 s0, s0, s12
	s_addc_u32 s1, s1, s13
	v_add_co_u32 v2, vcc_lo, s0, v2
	v_add_co_ci_u32_e32 v3, vcc_lo, s1, v3, vcc_lo
	s_lshl_b64 s[0:1], s[16:17], 3
	v_add_co_u32 v2, vcc_lo, v2, 4
	s_delay_alu instid0(VALU_DEP_2)
	v_add_co_ci_u32_e32 v3, vcc_lo, 0, v3, vcc_lo
.LBB33_13:                              ; =>This Inner Loop Header: Depth=1
	global_load_b64 v[6:7], v[2:3], off offset:-4
	v_add_co_u32 v2, vcc_lo, v2, s0
	v_add_co_ci_u32_e32 v3, vcc_lo, s1, v3, vcc_lo
	s_add_i32 s2, s2, -1
	s_delay_alu instid0(SALU_CYCLE_1)
	s_cmp_eq_u32 s2, 0
	s_waitcnt vmcnt(0)
	v_dual_add_f32 v5, v5, v6 :: v_dual_add_f32 v4, v4, v7
	s_cbranch_scc0 .LBB33_13
.LBB33_14:
	s_delay_alu instid0(VALU_DEP_1)
	v_mul_f32_e32 v2, s10, v4
	v_mul_f32_e32 v3, s11, v4
	v_cmp_neq_f32_e64 s0, s8, 0
	v_cmp_neq_f32_e64 s1, s9, 0
	v_mul_lo_u32 v6, v1, s6
	v_fmac_f32_e32 v2, s11, v5
	v_mul_lo_u32 v7, v0, s7
	v_fma_f32 v1, v5, s10, -v3
	s_or_b32 s0, s0, s1
	s_delay_alu instid0(SALU_CYCLE_1)
	s_and_not1_b32 vcc_lo, exec_lo, s0
	s_mov_b32 s0, 0
	s_cbranch_vccz .LBB33_16
; %bb.15:
	v_mad_u64_u32 v[3:4], null, v0, s6, 0
	s_delay_alu instid0(VALU_DEP_1)
	v_add3_u32 v4, v4, v7, v6
	s_and_not1_b32 vcc_lo, exec_lo, s0
	s_cbranch_vccz .LBB33_17
	s_branch .LBB33_18
.LBB33_16:
                                        ; implicit-def: $vgpr3_vgpr4
.LBB33_17:
	v_mad_u64_u32 v[3:4], null, v0, s6, 0
	s_delay_alu instid0(VALU_DEP_1) | instskip(NEXT) | instid1(VALU_DEP_1)
	v_add3_u32 v4, v4, v7, v6
	v_lshlrev_b64 v[5:6], 3, v[3:4]
	s_delay_alu instid0(VALU_DEP_1) | instskip(NEXT) | instid1(VALU_DEP_2)
	v_add_co_u32 v5, vcc_lo, s3, v5
	v_add_co_ci_u32_e32 v6, vcc_lo, s4, v6, vcc_lo
	global_load_b64 v[5:6], v[5:6], off
	s_waitcnt vmcnt(0)
	v_mul_f32_e32 v0, s9, v6
	s_delay_alu instid0(VALU_DEP_1) | instskip(NEXT) | instid1(VALU_DEP_1)
	v_fma_f32 v0, v5, s8, -v0
	v_dual_mul_f32 v6, s8, v6 :: v_dual_add_f32 v1, v1, v0
	s_delay_alu instid0(VALU_DEP_1) | instskip(NEXT) | instid1(VALU_DEP_1)
	v_fmac_f32_e32 v6, s9, v5
	v_add_f32_e32 v2, v2, v6
.LBB33_18:
	s_delay_alu instid0(VALU_DEP_1) | instskip(NEXT) | instid1(VALU_DEP_1)
	v_lshlrev_b64 v[3:4], 3, v[3:4]
	v_add_co_u32 v3, vcc_lo, s3, v3
	s_delay_alu instid0(VALU_DEP_2)
	v_add_co_ci_u32_e32 v4, vcc_lo, s4, v4, vcc_lo
	global_store_b64 v[3:4], v[1:2], off
.LBB33_19:
	s_nop 0
	s_sendmsg sendmsg(MSG_DEALLOC_VGPRS)
	s_endpgm
	.section	.rodata,"a",@progbits
	.p2align	6, 0x0
	.amdhsa_kernel _ZL36rocblas_hemvn_kernel_upper_block_sumILi64ElPK19rocblas_complex_numIfEPKPS1_S1_EviT1_lS7_lT2_lT0_lPT3_i
		.amdhsa_group_segment_fixed_size 0
		.amdhsa_private_segment_fixed_size 0
		.amdhsa_kernarg_size 344
		.amdhsa_user_sgpr_count 14
		.amdhsa_user_sgpr_dispatch_ptr 0
		.amdhsa_user_sgpr_queue_ptr 0
		.amdhsa_user_sgpr_kernarg_segment_ptr 1
		.amdhsa_user_sgpr_dispatch_id 0
		.amdhsa_user_sgpr_private_segment_size 0
		.amdhsa_wavefront_size32 1
		.amdhsa_uses_dynamic_stack 0
		.amdhsa_enable_private_segment 0
		.amdhsa_system_sgpr_workgroup_id_x 1
		.amdhsa_system_sgpr_workgroup_id_y 0
		.amdhsa_system_sgpr_workgroup_id_z 1
		.amdhsa_system_sgpr_workgroup_info 0
		.amdhsa_system_vgpr_workitem_id 0
		.amdhsa_next_free_vgpr 8
		.amdhsa_next_free_sgpr 24
		.amdhsa_reserve_vcc 1
		.amdhsa_float_round_mode_32 0
		.amdhsa_float_round_mode_16_64 0
		.amdhsa_float_denorm_mode_32 3
		.amdhsa_float_denorm_mode_16_64 3
		.amdhsa_dx10_clamp 1
		.amdhsa_ieee_mode 1
		.amdhsa_fp16_overflow 0
		.amdhsa_workgroup_processor_mode 1
		.amdhsa_memory_ordered 1
		.amdhsa_forward_progress 0
		.amdhsa_shared_vgpr_count 0
		.amdhsa_exception_fp_ieee_invalid_op 0
		.amdhsa_exception_fp_denorm_src 0
		.amdhsa_exception_fp_ieee_div_zero 0
		.amdhsa_exception_fp_ieee_overflow 0
		.amdhsa_exception_fp_ieee_underflow 0
		.amdhsa_exception_fp_ieee_inexact 0
		.amdhsa_exception_int_div_zero 0
	.end_amdhsa_kernel
	.section	.text._ZL36rocblas_hemvn_kernel_upper_block_sumILi64ElPK19rocblas_complex_numIfEPKPS1_S1_EviT1_lS7_lT2_lT0_lPT3_i,"axG",@progbits,_ZL36rocblas_hemvn_kernel_upper_block_sumILi64ElPK19rocblas_complex_numIfEPKPS1_S1_EviT1_lS7_lT2_lT0_lPT3_i,comdat
.Lfunc_end33:
	.size	_ZL36rocblas_hemvn_kernel_upper_block_sumILi64ElPK19rocblas_complex_numIfEPKPS1_S1_EviT1_lS7_lT2_lT0_lPT3_i, .Lfunc_end33-_ZL36rocblas_hemvn_kernel_upper_block_sumILi64ElPK19rocblas_complex_numIfEPKPS1_S1_EviT1_lS7_lT2_lT0_lPT3_i
                                        ; -- End function
	.section	.AMDGPU.csdata,"",@progbits
; Kernel info:
; codeLenInByte = 924
; NumSgprs: 26
; NumVgprs: 8
; ScratchSize: 0
; MemoryBound: 0
; FloatMode: 240
; IeeeMode: 1
; LDSByteSize: 0 bytes/workgroup (compile time only)
; SGPRBlocks: 3
; VGPRBlocks: 0
; NumSGPRsForWavesPerEU: 26
; NumVGPRsForWavesPerEU: 8
; Occupancy: 16
; WaveLimiterHint : 1
; COMPUTE_PGM_RSRC2:SCRATCH_EN: 0
; COMPUTE_PGM_RSRC2:USER_SGPR: 14
; COMPUTE_PGM_RSRC2:TRAP_HANDLER: 0
; COMPUTE_PGM_RSRC2:TGID_X_EN: 1
; COMPUTE_PGM_RSRC2:TGID_Y_EN: 0
; COMPUTE_PGM_RSRC2:TGID_Z_EN: 1
; COMPUTE_PGM_RSRC2:TIDIG_COMP_CNT: 0
	.section	.text._ZL26rocblas_hemvn_kernel_upperILb1ELi64ELi4ELi33ELi32ELi16EiPK19rocblas_complex_numIfEPKS3_PS1_EviT6_lT7_lT5_lS8_lS9_lS7_lT8_i,"axG",@progbits,_ZL26rocblas_hemvn_kernel_upperILb1ELi64ELi4ELi33ELi32ELi16EiPK19rocblas_complex_numIfEPKS3_PS1_EviT6_lT7_lT5_lS8_lS9_lS7_lT8_i,comdat
	.globl	_ZL26rocblas_hemvn_kernel_upperILb1ELi64ELi4ELi33ELi32ELi16EiPK19rocblas_complex_numIfEPKS3_PS1_EviT6_lT7_lT5_lS8_lS9_lS7_lT8_i ; -- Begin function _ZL26rocblas_hemvn_kernel_upperILb1ELi64ELi4ELi33ELi32ELi16EiPK19rocblas_complex_numIfEPKS3_PS1_EviT6_lT7_lT5_lS8_lS9_lS7_lT8_i
	.p2align	8
	.type	_ZL26rocblas_hemvn_kernel_upperILb1ELi64ELi4ELi33ELi32ELi16EiPK19rocblas_complex_numIfEPKS3_PS1_EviT6_lT7_lT5_lS8_lS9_lS7_lT8_i,@function
_ZL26rocblas_hemvn_kernel_upperILb1ELi64ELi4ELi33ELi32ELi16EiPK19rocblas_complex_numIfEPKS3_PS1_EviT6_lT7_lT5_lS8_lS9_lS7_lT8_i: ; @_ZL26rocblas_hemvn_kernel_upperILb1ELi64ELi4ELi33ELi32ELi16EiPK19rocblas_complex_numIfEPKS3_PS1_EviT6_lT7_lT5_lS8_lS9_lS7_lT8_i
; %bb.0:
	s_load_b64 s[4:5], s[0:1], 0x84
	s_add_u32 s2, s0, 0x78
	s_addc_u32 s3, s1, 0
	s_waitcnt lgkmcnt(0)
	s_lshr_b32 s6, s4, 16
	s_and_b32 s4, s4, 0xffff
	s_and_b32 s5, s5, 0xffff
	s_mul_i32 s4, s6, s4
	s_delay_alu instid0(SALU_CYCLE_1) | instskip(NEXT) | instid1(SALU_CYCLE_1)
	s_mul_i32 s4, s4, s5
	s_cmpk_lg_i32 s4, 0x100
	s_cbranch_scc1 .LBB34_192
; %bb.1:
	s_load_b256 s[4:11], s[0:1], 0x8
	s_mov_b32 s12, s15
	s_waitcnt lgkmcnt(0)
	s_mul_i32 s7, s15, s7
	s_mul_hi_u32 s13, s15, s6
	s_mul_i32 s6, s15, s6
	s_add_i32 s7, s13, s7
	s_delay_alu instid0(SALU_CYCLE_1) | instskip(NEXT) | instid1(SALU_CYCLE_1)
	s_lshl_b64 s[6:7], s[6:7], 3
	s_add_u32 s4, s4, s6
	s_addc_u32 s5, s5, s7
	s_load_b64 s[18:19], s[4:5], 0x0
	s_clause 0x1
	s_load_b64 s[16:17], s[0:1], 0x68
	s_load_b128 s[4:7], s[0:1], 0x58
	s_waitcnt lgkmcnt(0)
	s_or_b32 s13, s18, s19
	s_delay_alu instid0(SALU_CYCLE_1) | instskip(NEXT) | instid1(SALU_CYCLE_1)
	s_bitset0_b32 s13, 31
	s_cmp_lg_u32 s13, 0
	s_mov_b32 s13, 0
	s_cselect_b32 s15, -1, 0
	s_delay_alu instid0(SALU_CYCLE_1)
	s_and_b32 vcc_lo, exec_lo, s15
	s_cbranch_vccnz .LBB34_4
; %bb.2:
	s_mul_i32 s7, s12, s7
	s_mul_hi_u32 s18, s12, s6
	s_mul_i32 s6, s12, s6
	s_add_i32 s7, s18, s7
	s_delay_alu instid0(SALU_CYCLE_1) | instskip(NEXT) | instid1(SALU_CYCLE_1)
	s_lshl_b64 s[6:7], s[6:7], 3
	s_add_u32 s4, s4, s6
	s_addc_u32 s5, s5, s7
	s_mov_b32 s7, 0
	s_load_b64 s[4:5], s[4:5], 0x0
	s_mov_b32 s6, 0
	s_waitcnt lgkmcnt(0)
	v_cmp_eq_f32_e64 s4, s4, 1.0
	v_cmp_eq_f32_e64 s5, s5, 0
	s_delay_alu instid0(VALU_DEP_1) | instskip(NEXT) | instid1(SALU_CYCLE_1)
	s_and_b32 s4, s4, s5
	s_and_not1_b32 vcc_lo, exec_lo, s4
                                        ; implicit-def: $sgpr4_sgpr5
	s_cbranch_vccz .LBB34_5
; %bb.3:
	s_mov_b32 s6, -1
	s_mov_b64 s[4:5], 0
	s_branch .LBB34_5
.LBB34_4:
	s_mov_b32 s7, -1
	s_mov_b32 s6, s13
                                        ; implicit-def: $sgpr4_sgpr5
.LBB34_5:
	s_and_b32 vcc_lo, exec_lo, s7
	s_cbranch_vccz .LBB34_7
; %bb.6:
	s_lshl_b64 s[4:5], s[12:13], 3
	s_delay_alu instid0(SALU_CYCLE_1)
	s_add_u32 s4, s8, s4
	s_addc_u32 s5, s9, s5
	s_lshl_b64 s[6:7], s[10:11], 3
	s_load_b64 s[4:5], s[4:5], 0x0
	s_waitcnt lgkmcnt(0)
	s_add_u32 s4, s4, s6
	s_addc_u32 s5, s5, s7
	s_mov_b32 s6, -1
.LBB34_7:
	s_delay_alu instid0(SALU_CYCLE_1)
	s_and_not1_b32 vcc_lo, exec_lo, s6
	s_cbranch_vccnz .LBB34_192
; %bb.8:
	v_cndmask_b32_e64 v1, 0, 1, s15
	s_and_not1_b32 vcc_lo, exec_lo, s15
	s_mov_b64 s[6:7], 0
	s_cbranch_vccnz .LBB34_10
; %bb.9:
	s_load_b128 s[8:11], s[0:1], 0x38
	s_lshl_b64 s[6:7], s[12:13], 3
	s_waitcnt lgkmcnt(0)
	s_add_u32 s6, s8, s6
	s_addc_u32 s7, s9, s7
	s_lshl_b64 s[8:9], s[10:11], 3
	s_load_b64 s[6:7], s[6:7], 0x0
	s_waitcnt lgkmcnt(0)
	s_add_u32 s6, s6, s8
	s_addc_u32 s7, s7, s9
.LBB34_10:
	s_delay_alu instid0(VALU_DEP_1)
	v_cmp_ne_u32_e32 vcc_lo, 1, v1
	s_cbranch_vccnz .LBB34_192
; %bb.11:
	s_clause 0x1
	s_load_b32 s28, s[0:1], 0x48
	s_load_b32 s13, s[0:1], 0x0
	v_and_b32_e32 v25, 0x3ff, v0
	s_lshl_b32 s10, s14, 6
	s_load_b32 s15, s[2:3], 0x0
	v_bfe_u32 v95, v0, 10, 10
	s_delay_alu instid0(VALU_DEP_2) | instskip(SKIP_1) | instid1(VALU_DEP_1)
	v_add_nc_u32_e32 v24, s10, v25
	s_waitcnt lgkmcnt(0)
	v_mul_lo_u32 v1, v24, s28
	s_ashr_i32 s29, s13, 31
	s_delay_alu instid0(SALU_CYCLE_1) | instskip(SKIP_2) | instid1(SALU_CYCLE_1)
	s_lshr_b32 s2, s29, 26
	s_add_i32 s3, s15, -1
	s_add_i32 s2, s13, s2
	s_and_not1_b32 s2, s2, 63
	s_delay_alu instid0(VALU_DEP_1)
	v_ashrrev_i32_e32 v2, 31, v1
	s_sub_i32 s26, s13, s2
	v_cmp_eq_u32_e64 s2, 0, v95
	s_cmp_eq_u32 s14, s3
	s_mov_b32 s3, -1
	v_lshlrev_b64 v[1:2], 3, v[1:2]
	s_cselect_b32 s8, s26, 0
	s_delay_alu instid0(VALU_DEP_1) | instskip(NEXT) | instid1(VALU_DEP_2)
	v_add_co_u32 v12, vcc_lo, s6, v1
	v_add_co_ci_u32_e32 v13, vcc_lo, s7, v2, vcc_lo
	s_and_saveexec_b32 s6, s2
	s_cbranch_execz .LBB34_16
; %bb.12:
	v_cmp_le_i32_e32 vcc_lo, s8, v25
	s_cmp_lg_u32 s8, 0
	v_lshl_add_u32 v0, v25, 3, 0x2380
	s_cselect_b32 s7, -1, 0
	s_delay_alu instid0(SALU_CYCLE_1) | instskip(NEXT) | instid1(SALU_CYCLE_1)
	s_and_b32 s7, s7, vcc_lo
	s_and_saveexec_b32 s9, s7
	s_delay_alu instid0(SALU_CYCLE_1)
	s_xor_b32 s7, exec_lo, s9
	s_cbranch_execz .LBB34_14
; %bb.13:
	v_mov_b32_e32 v1, 0
	s_delay_alu instid0(VALU_DEP_1)
	v_mov_b32_e32 v2, v1
	ds_store_b64 v0, v[1:2]
                                        ; implicit-def: $vgpr0
.LBB34_14:
	s_and_not1_saveexec_b32 s7, s7
	s_cbranch_execz .LBB34_16
; %bb.15:
	flat_load_b64 v[1:2], v[12:13]
	s_waitcnt vmcnt(0) lgkmcnt(0)
	ds_store_b64 v0, v[1:2]
.LBB34_16:
	s_or_b32 exec_lo, exec_lo, s6
	s_load_b32 s18, s[0:1], 0x28
	v_lshl_add_u32 v22, v95, 6, v25
	v_and_b32_e32 v0, 31, v25
	s_ashr_i32 s11, s10, 31
	s_delay_alu instid0(SALU_CYCLE_1) | instskip(NEXT) | instid1(VALU_DEP_2)
	s_lshl_b64 s[0:1], s[10:11], 3
	v_lshrrev_b32_e32 v7, 5, v22
	s_add_u32 s4, s4, s0
	s_addc_u32 s5, s5, s1
	v_lshlrev_b32_e32 v9, 3, v0
	s_delay_alu instid0(VALU_DEP_2) | instskip(SKIP_3) | instid1(SALU_CYCLE_1)
	v_mul_u32_u24_e32 v8, 33, v7
	s_waitcnt lgkmcnt(0)
	v_mad_u64_u32 v[1:2], null, v7, s18, v[0:1]
	s_mul_i32 s0, s10, s18
	s_ashr_i32 s1, s0, 31
	s_delay_alu instid0(SALU_CYCLE_1) | instskip(NEXT) | instid1(SALU_CYCLE_1)
	s_lshl_b64 s[0:1], s[0:1], 3
	s_add_u32 s4, s0, s4
	s_delay_alu instid0(VALU_DEP_1)
	v_ashrrev_i32_e32 v2, 31, v1
	s_addc_u32 s5, s1, s5
	s_cmp_eq_u32 s8, 0
	v_cmp_gt_i32_e64 s0, s8, v0
	s_cselect_b32 s27, -1, 0
	v_lshlrev_b64 v[14:15], 3, v[1:2]
	s_cmp_lg_u32 s8, 0
	s_cselect_b32 s7, -1, 0
	s_delay_alu instid0(SALU_CYCLE_1) | instskip(NEXT) | instid1(VALU_DEP_1)
	s_and_b32 vcc_lo, exec_lo, s7
	v_add_co_u32 v3, s1, s4, v14
	s_delay_alu instid0(VALU_DEP_1)
	v_add_co_ci_u32_e64 v4, s1, s5, v15, s1
	s_cbranch_vccz .LBB34_34
; %bb.17:
	s_delay_alu instid0(VALU_DEP_2) | instskip(SKIP_1) | instid1(VALU_DEP_2)
	v_sub_co_u32 v1, vcc_lo, v3, v9
	s_ashr_i32 s9, s8, 31
	v_subrev_co_ci_u32_e32 v2, vcc_lo, 0, v4, vcc_lo
	s_lshl_b64 s[4:5], s[8:9], 3
	v_add_lshl_u32 v5, v8, v0, 3
	v_add_co_u32 v1, vcc_lo, v1, s4
	s_delay_alu instid0(VALU_DEP_3) | instskip(SKIP_1) | instid1(VALU_DEP_2)
	v_add_co_ci_u32_e32 v2, vcc_lo, s5, v2, vcc_lo
	s_mov_b32 s1, exec_lo
	v_add_co_u32 v1, vcc_lo, v1, -8
	s_delay_alu instid0(VALU_DEP_2) | instskip(NEXT) | instid1(VALU_DEP_2)
	v_add_co_ci_u32_e32 v2, vcc_lo, -1, v2, vcc_lo
	v_cndmask_b32_e64 v1, v1, v3, s0
	s_delay_alu instid0(VALU_DEP_2)
	v_cndmask_b32_e64 v2, v2, v4, s0
	v_cmpx_le_i32_e64 s8, v7
	s_xor_b32 s1, exec_lo, s1
	s_cbranch_execz .LBB34_19
; %bb.18:
	v_mov_b32_e32 v10, 0
	s_delay_alu instid0(VALU_DEP_1)
	v_mov_b32_e32 v11, v10
	ds_store_b64 v5, v[10:11]
.LBB34_19:
	s_and_not1_saveexec_b32 s1, s1
	s_cbranch_execz .LBB34_21
; %bb.20:
	flat_load_b64 v[10:11], v[1:2]
	s_waitcnt vmcnt(0) lgkmcnt(0)
	ds_store_b64 v5, v[10:11]
.LBB34_21:
	s_or_b32 exec_lo, exec_lo, s1
	v_add_nc_u32_e32 v6, 8, v7
	s_mov_b32 s1, exec_lo
	s_delay_alu instid0(VALU_DEP_1)
	v_cmpx_le_i32_e64 s8, v6
	s_xor_b32 s1, exec_lo, s1
	s_cbranch_execz .LBB34_23
; %bb.22:
	v_mul_u32_u24_e32 v6, 33, v6
	v_mov_b32_e32 v10, 0
	s_delay_alu instid0(VALU_DEP_2) | instskip(NEXT) | instid1(VALU_DEP_2)
	v_add_lshl_u32 v6, v6, v0, 3
	v_mov_b32_e32 v11, v10
	ds_store_b64 v6, v[10:11]
.LBB34_23:
	s_and_not1_saveexec_b32 s1, s1
	s_cbranch_execz .LBB34_25
; %bb.24:
	s_lshl_b32 s20, s18, 3
	s_delay_alu instid0(SALU_CYCLE_1) | instskip(NEXT) | instid1(SALU_CYCLE_1)
	s_ashr_i32 s21, s20, 31
	s_lshl_b64 s[20:21], s[20:21], 3
	s_delay_alu instid0(SALU_CYCLE_1)
	v_add_co_u32 v10, vcc_lo, v1, s20
	v_add_co_ci_u32_e32 v11, vcc_lo, s21, v2, vcc_lo
	flat_load_b64 v[10:11], v[10:11]
	s_waitcnt vmcnt(0) lgkmcnt(0)
	ds_store_b64 v5, v[10:11] offset:2112
.LBB34_25:
	s_or_b32 exec_lo, exec_lo, s1
	v_add_nc_u32_e32 v6, 16, v7
	s_mov_b32 s1, exec_lo
	s_delay_alu instid0(VALU_DEP_1)
	v_cmpx_le_i32_e64 s8, v6
	s_xor_b32 s1, exec_lo, s1
	s_cbranch_execz .LBB34_27
; %bb.26:
	v_mul_u32_u24_e32 v6, 33, v6
	v_mov_b32_e32 v10, 0
	s_delay_alu instid0(VALU_DEP_2) | instskip(NEXT) | instid1(VALU_DEP_2)
	v_add_lshl_u32 v6, v6, v0, 3
	v_mov_b32_e32 v11, v10
	ds_store_b64 v6, v[10:11]
.LBB34_27:
	s_and_not1_saveexec_b32 s1, s1
	s_cbranch_execz .LBB34_29
; %bb.28:
	s_lshl_b32 s20, s18, 4
	s_delay_alu instid0(SALU_CYCLE_1) | instskip(NEXT) | instid1(SALU_CYCLE_1)
	s_ashr_i32 s21, s20, 31
	s_lshl_b64 s[20:21], s[20:21], 3
	s_delay_alu instid0(SALU_CYCLE_1)
	v_add_co_u32 v10, vcc_lo, v1, s20
	v_add_co_ci_u32_e32 v11, vcc_lo, s21, v2, vcc_lo
	flat_load_b64 v[10:11], v[10:11]
	s_waitcnt vmcnt(0) lgkmcnt(0)
	ds_store_b64 v5, v[10:11] offset:4224
.LBB34_29:
	s_or_b32 exec_lo, exec_lo, s1
	v_add_nc_u32_e32 v6, 24, v7
	s_mov_b32 s1, exec_lo
	s_delay_alu instid0(VALU_DEP_1)
	v_cmpx_le_i32_e64 s8, v6
	s_xor_b32 s1, exec_lo, s1
	s_cbranch_execz .LBB34_31
; %bb.30:
	v_mov_b32_e32 v10, 0
	s_delay_alu instid0(VALU_DEP_1)
	v_mov_b32_e32 v11, v10
	ds_store_b64 v5, v[10:11] offset:6336
                                        ; implicit-def: $vgpr5
.LBB34_31:
	s_and_not1_saveexec_b32 s1, s1
	s_cbranch_execz .LBB34_33
; %bb.32:
	s_mul_i32 s20, s18, 24
	s_delay_alu instid0(SALU_CYCLE_1) | instskip(NEXT) | instid1(SALU_CYCLE_1)
	s_ashr_i32 s21, s20, 31
	s_lshl_b64 s[20:21], s[20:21], 3
	s_delay_alu instid0(SALU_CYCLE_1)
	v_add_co_u32 v10, vcc_lo, v1, s20
	v_add_co_ci_u32_e32 v11, vcc_lo, s21, v2, vcc_lo
	flat_load_b64 v[10:11], v[10:11]
	s_waitcnt vmcnt(0) lgkmcnt(0)
	ds_store_b64 v5, v[10:11] offset:6336
.LBB34_33:
	s_or_b32 exec_lo, exec_lo, s1
	v_add_co_u32 v1, vcc_lo, v1, v9
	v_add_co_ci_u32_e32 v2, vcc_lo, 0, v2, vcc_lo
	s_delay_alu instid0(VALU_DEP_2) | instskip(NEXT) | instid1(VALU_DEP_2)
	v_sub_co_u32 v1, vcc_lo, v1, s4
	v_subrev_co_ci_u32_e32 v2, vcc_lo, s5, v2, vcc_lo
	s_delay_alu instid0(VALU_DEP_2) | instskip(NEXT) | instid1(VALU_DEP_2)
	v_add_co_u32 v1, vcc_lo, v1, 8
	v_add_co_ci_u32_e32 v2, vcc_lo, 0, v2, vcc_lo
	s_delay_alu instid0(VALU_DEP_2) | instskip(NEXT) | instid1(VALU_DEP_2)
	v_cndmask_b32_e64 v1, v1, v3, s0
	v_cndmask_b32_e64 v2, v2, v4, s0
	s_branch .LBB34_36
.LBB34_34:
                                        ; implicit-def: $vgpr1_vgpr2
	s_and_b32 vcc_lo, exec_lo, s3
	s_cbranch_vccz .LBB34_36
; %bb.35:
	flat_load_b64 v[1:2], v[3:4]
	s_lshl_b32 s0, s18, 3
	v_add_lshl_u32 v10, v8, v0, 3
	s_ashr_i32 s1, s0, 31
	s_ashr_i32 s19, s18, 31
	s_lshl_b64 s[0:1], s[0:1], 3
	s_delay_alu instid0(SALU_CYCLE_1)
	v_add_co_u32 v5, vcc_lo, v3, s0
	v_add_co_ci_u32_e32 v6, vcc_lo, s1, v4, vcc_lo
	s_lshl_b64 s[0:1], s[18:19], 6
	s_waitcnt vmcnt(0) lgkmcnt(0)
	ds_store_b64 v10, v[1:2]
	flat_load_b64 v[1:2], v[5:6]
	v_add_co_u32 v5, vcc_lo, v5, s0
	v_add_co_ci_u32_e32 v6, vcc_lo, s1, v6, vcc_lo
	s_waitcnt vmcnt(0) lgkmcnt(0)
	ds_store_b64 v10, v[1:2] offset:2112
	flat_load_b64 v[1:2], v[5:6]
	v_add_co_u32 v5, vcc_lo, v5, s0
	v_add_co_ci_u32_e32 v6, vcc_lo, s1, v6, vcc_lo
	s_waitcnt vmcnt(0) lgkmcnt(0)
	ds_store_b64 v10, v[1:2] offset:4224
	flat_load_b64 v[5:6], v[5:6]
	v_dual_mov_b32 v1, v3 :: v_dual_mov_b32 v2, v4
	s_waitcnt vmcnt(0) lgkmcnt(0)
	ds_store_b64 v10, v[5:6] offset:6336
.LBB34_36:
	v_lshlrev_b32_e32 v19, 2, v7
	s_waitcnt lgkmcnt(0)
	s_barrier
	buffer_gl0_inv
	v_cmp_le_u32_e64 s1, v19, v0
	s_delay_alu instid0(VALU_DEP_1) | instskip(NEXT) | instid1(SALU_CYCLE_1)
	s_and_saveexec_b32 s0, s1
	s_xor_b32 s0, exec_lo, s0
	s_cbranch_execz .LBB34_40
; %bb.37:
	s_mov_b32 s3, exec_lo
	v_cmpx_eq_u32_e64 v19, v0
	s_cbranch_execz .LBB34_39
; %bb.38:
	v_mul_u32_u24_e32 v3, 34, v0
	s_delay_alu instid0(VALU_DEP_1)
	v_dual_mov_b32 v4, 0 :: v_dual_lshlrev_b32 v3, 3, v3
	ds_store_b32 v3, v4 offset:4
.LBB34_39:
	s_or_b32 exec_lo, exec_lo, s3
.LBB34_40:
	s_or_saveexec_b32 s0, s0
	v_mul_u32_u24_e32 v10, 33, v0
	v_mul_u32_u24_e32 v3, 0x84, v7
	s_delay_alu instid0(VALU_DEP_2)
	v_add_lshl_u32 v16, v19, v10, 3
	s_xor_b32 exec_lo, exec_lo, s0
	s_cbranch_execz .LBB34_42
; %bb.41:
	s_delay_alu instid0(VALU_DEP_2)
	v_add_lshl_u32 v4, v3, v0, 3
	ds_load_b64 v[4:5], v4
	s_waitcnt lgkmcnt(0)
	v_xor_b32_e32 v5, 0x80000000, v5
	ds_store_b64 v16, v[4:5]
.LBB34_42:
	s_or_b32 exec_lo, exec_lo, s0
	v_or_b32_e32 v17, 1, v19
	v_cmp_ge_u32_e64 s3, v19, v0
	s_delay_alu instid0(VALU_DEP_2) | instskip(NEXT) | instid1(VALU_DEP_2)
	v_mul_u32_u24_e32 v4, 33, v17
	s_and_saveexec_b32 s0, s3
	s_delay_alu instid0(SALU_CYCLE_1)
	s_xor_b32 s0, exec_lo, s0
	s_cbranch_execz .LBB34_44
; %bb.43:
	s_delay_alu instid0(VALU_DEP_1)
	v_add_lshl_u32 v5, v4, v0, 3
	ds_load_b64 v[5:6], v5
	s_waitcnt lgkmcnt(0)
	v_xor_b32_e32 v6, 0x80000000, v6
	ds_store_b64 v16, v[5:6] offset:8
.LBB34_44:
	s_and_not1_saveexec_b32 s0, s0
	s_cbranch_execz .LBB34_48
; %bb.45:
	s_mov_b32 s4, exec_lo
	v_cmpx_eq_u32_e64 v17, v0
	s_cbranch_execz .LBB34_47
; %bb.46:
	v_mul_u32_u24_e32 v5, 34, v0
	s_delay_alu instid0(VALU_DEP_1)
	v_dual_mov_b32 v6, 0 :: v_dual_lshlrev_b32 v5, 3, v5
	ds_store_b32 v5, v6 offset:4
.LBB34_47:
	s_or_b32 exec_lo, exec_lo, s4
.LBB34_48:
	s_delay_alu instid0(SALU_CYCLE_1) | instskip(SKIP_1) | instid1(VALU_DEP_1)
	s_or_b32 exec_lo, exec_lo, s0
	v_or_b32_e32 v20, 2, v19
	v_cmp_le_u32_e64 s4, v20, v0
	s_delay_alu instid0(VALU_DEP_1) | instskip(NEXT) | instid1(SALU_CYCLE_1)
	s_and_saveexec_b32 s0, s4
	s_xor_b32 s0, exec_lo, s0
	s_cbranch_execz .LBB34_52
; %bb.49:
	s_mov_b32 s5, exec_lo
	v_cmpx_eq_u32_e64 v20, v0
	s_cbranch_execz .LBB34_51
; %bb.50:
	v_mul_u32_u24_e32 v5, 34, v0
	s_delay_alu instid0(VALU_DEP_1)
	v_dual_mov_b32 v6, 0 :: v_dual_lshlrev_b32 v5, 3, v5
	ds_store_b32 v5, v6 offset:4
.LBB34_51:
	s_or_b32 exec_lo, exec_lo, s5
.LBB34_52:
	s_and_not1_saveexec_b32 s0, s0
	s_cbranch_execz .LBB34_54
; %bb.53:
	v_mul_u32_u24_e32 v5, 33, v20
	s_delay_alu instid0(VALU_DEP_1)
	v_add_lshl_u32 v5, v5, v0, 3
	ds_load_b64 v[5:6], v5
	s_waitcnt lgkmcnt(0)
	v_xor_b32_e32 v6, 0x80000000, v6
	ds_store_b64 v16, v[5:6] offset:16
.LBB34_54:
	s_or_b32 exec_lo, exec_lo, s0
	v_or_b32_e32 v21, 3, v19
	s_delay_alu instid0(VALU_DEP_1) | instskip(NEXT) | instid1(VALU_DEP_1)
	v_cmp_le_u32_e64 s5, v21, v0
	s_and_saveexec_b32 s0, s5
	s_delay_alu instid0(SALU_CYCLE_1)
	s_xor_b32 s0, exec_lo, s0
	s_cbranch_execz .LBB34_58
; %bb.55:
	s_mov_b32 s6, exec_lo
	v_cmpx_eq_u32_e64 v21, v0
	s_cbranch_execz .LBB34_57
; %bb.56:
	v_mul_u32_u24_e32 v5, 34, v0
	s_delay_alu instid0(VALU_DEP_1)
	v_dual_mov_b32 v6, 0 :: v_dual_lshlrev_b32 v5, 3, v5
	ds_store_b32 v5, v6 offset:4
.LBB34_57:
	s_or_b32 exec_lo, exec_lo, s6
.LBB34_58:
	s_and_not1_saveexec_b32 s0, s0
	s_cbranch_execz .LBB34_60
; %bb.59:
	v_mul_u32_u24_e32 v5, 33, v21
	s_delay_alu instid0(VALU_DEP_1)
	v_add_lshl_u32 v5, v5, v0, 3
	ds_load_b64 v[5:6], v5
	s_waitcnt lgkmcnt(0)
	v_xor_b32_e32 v6, 0x80000000, v6
	ds_store_b64 v16, v[5:6] offset:24
.LBB34_60:
	s_or_b32 exec_lo, exec_lo, s0
	v_add_lshl_u32 v11, v3, v0, 3
	v_lshlrev_b32_e32 v29, 3, v19
	v_add_lshl_u32 v18, v4, v0, 3
	s_waitcnt lgkmcnt(0)
	s_barrier
	buffer_gl0_inv
	ds_load_b64 v[26:27], v11
	ds_load_b128 v[3:6], v29 offset:9088
	ds_load_2addr_b64 v[30:33], v18 offset1:33
	ds_load_b128 v[34:37], v29 offset:9104
	ds_load_b64 v[38:39], v18 offset:528
	v_cmp_gt_u32_e64 s0, 32, v22
	s_waitcnt lgkmcnt(0)
	s_barrier
	buffer_gl0_inv
	v_mul_f32_e32 v23, v4, v27
	v_mul_f32_e32 v27, v3, v27
	;; [unrolled: 1-line block ×3, first 2 shown]
	v_dual_mul_f32 v31, v5, v31 :: v_dual_mul_f32 v40, v35, v33
	s_delay_alu instid0(VALU_DEP_4) | instskip(NEXT) | instid1(VALU_DEP_4)
	v_fma_f32 v3, v3, v26, -v23
	v_fmac_f32_e32 v27, v4, v26
	v_dual_mul_f32 v33, v34, v33 :: v_dual_mul_f32 v4, v37, v39
	v_fma_f32 v5, v5, v30, -v28
	s_delay_alu instid0(VALU_DEP_3)
	v_dual_fmac_f32 v31, v6, v30 :: v_dual_add_f32 v6, 0, v27
	v_add_f32_e32 v3, 0, v3
	v_mul_f32_e32 v27, v36, v39
	v_fma_f32 v23, v34, v32, -v40
	v_fma_f32 v4, v36, v38, -v4
	v_add_lshl_u32 v28, v7, v10, 3
	v_add_f32_e32 v3, v3, v5
	v_add_f32_e32 v5, v6, v31
	v_fmac_f32_e32 v27, v37, v38
	v_dual_fmac_f32 v33, v35, v32 :: v_dual_mov_b32 v26, 0
	s_delay_alu instid0(VALU_DEP_4) | instskip(SKIP_1) | instid1(VALU_DEP_3)
	v_add_f32_e32 v3, v3, v23
	v_lshlrev_b32_e32 v23, 3, v10
	v_add_f32_e32 v5, v5, v33
	s_delay_alu instid0(VALU_DEP_1)
	v_dual_add_f32 v3, v3, v4 :: v_dual_add_f32 v4, v5, v27
	v_mov_b32_e32 v27, 0
	ds_store_b64 v28, v[3:4]
	s_waitcnt lgkmcnt(0)
	s_barrier
	buffer_gl0_inv
	s_and_saveexec_b32 s6, s0
	s_cbranch_execz .LBB34_62
; %bb.61:
	ds_load_2addr_b64 v[3:6], v23 offset1:7
	ds_load_2addr_b64 v[30:33], v23 offset0:1 offset1:2
	ds_load_2addr_b64 v[34:37], v23 offset0:3 offset1:4
	;; [unrolled: 1-line block ×3, first 2 shown]
	s_waitcnt lgkmcnt(2)
	v_dual_add_f32 v3, v30, v3 :: v_dual_add_f32 v4, v31, v4
	s_delay_alu instid0(VALU_DEP_1) | instskip(SKIP_1) | instid1(VALU_DEP_1)
	v_dual_add_f32 v3, v3, v32 :: v_dual_add_f32 v4, v4, v33
	s_waitcnt lgkmcnt(1)
	v_dual_add_f32 v3, v3, v34 :: v_dual_add_f32 v4, v4, v35
	s_delay_alu instid0(VALU_DEP_1) | instskip(SKIP_1) | instid1(VALU_DEP_1)
	v_dual_add_f32 v3, v3, v36 :: v_dual_add_f32 v4, v4, v37
	s_waitcnt lgkmcnt(0)
	v_dual_add_f32 v3, v3, v38 :: v_dual_add_f32 v4, v4, v39
	s_delay_alu instid0(VALU_DEP_1) | instskip(NEXT) | instid1(VALU_DEP_1)
	v_dual_add_f32 v3, v3, v40 :: v_dual_add_f32 v4, v4, v41
	v_dual_add_f32 v26, v3, v5 :: v_dual_add_f32 v27, v4, v6
.LBB34_62:
	s_or_b32 exec_lo, exec_lo, s6
	s_lshl_b32 s22, s18, 5
	s_delay_alu instid0(SALU_CYCLE_1)
	s_ashr_i32 s23, s22, 31
	s_barrier
	s_lshl_b64 s[20:21], s[22:23], 3
	buffer_gl0_inv
	v_add_co_u32 v5, vcc_lo, v1, s20
	v_add_co_ci_u32_e32 v6, vcc_lo, s21, v2, vcc_lo
	s_delay_alu instid0(VALU_DEP_2) | instskip(NEXT) | instid1(VALU_DEP_2)
	v_add_co_u32 v3, vcc_lo, 0x100, v5
	v_add_co_ci_u32_e32 v4, vcc_lo, 0, v6, vcc_lo
	s_and_b32 vcc_lo, exec_lo, s7
	s_cbranch_vccz .LBB34_80
; %bb.63:
	v_or_b32_e32 v1, 32, v0
	s_ashr_i32 s9, s8, 31
	s_delay_alu instid0(SALU_CYCLE_1) | instskip(SKIP_1) | instid1(VALU_DEP_1)
	s_lshl_b64 s[24:25], s[8:9], 3
	s_sub_i32 s9, s8, 32
	v_lshlrev_b32_e32 v2, 3, v1
	v_cmp_le_i32_e64 s6, s9, v7
	s_delay_alu instid0(VALU_DEP_2) | instskip(SKIP_1) | instid1(VALU_DEP_2)
	v_sub_co_u32 v2, vcc_lo, v3, v2
	v_subrev_co_ci_u32_e32 v30, vcc_lo, 0, v4, vcc_lo
	v_add_co_u32 v2, vcc_lo, v2, s24
	s_delay_alu instid0(VALU_DEP_2) | instskip(NEXT) | instid1(VALU_DEP_2)
	v_add_co_ci_u32_e32 v30, vcc_lo, s25, v30, vcc_lo
	v_add_co_u32 v31, vcc_lo, v2, -8
	s_delay_alu instid0(VALU_DEP_2) | instskip(SKIP_2) | instid1(VALU_DEP_3)
	v_add_co_ci_u32_e32 v2, vcc_lo, -1, v30, vcc_lo
	v_cmp_gt_i32_e32 vcc_lo, s8, v1
	v_add_lshl_u32 v30, v8, v0, 3
	v_dual_cndmask_b32 v1, v31, v3 :: v_dual_cndmask_b32 v2, v2, v4
	s_and_saveexec_b32 s11, s6
	s_delay_alu instid0(SALU_CYCLE_1)
	s_xor_b32 s6, exec_lo, s11
	s_cbranch_execz .LBB34_65
; %bb.64:
	v_mov_b32_e32 v31, 0
	s_delay_alu instid0(VALU_DEP_1)
	v_mov_b32_e32 v32, v31
	ds_store_b64 v30, v[31:32]
.LBB34_65:
	s_and_not1_saveexec_b32 s6, s6
	s_cbranch_execz .LBB34_67
; %bb.66:
	flat_load_b64 v[31:32], v[1:2]
	s_waitcnt vmcnt(0) lgkmcnt(0)
	ds_store_b64 v30, v[31:32]
.LBB34_67:
	s_or_b32 exec_lo, exec_lo, s6
	v_add_nc_u32_e32 v31, 8, v7
	s_delay_alu instid0(VALU_DEP_1) | instskip(NEXT) | instid1(VALU_DEP_1)
	v_cmp_le_i32_e64 s6, s9, v31
	s_and_saveexec_b32 s11, s6
	s_delay_alu instid0(SALU_CYCLE_1)
	s_xor_b32 s6, exec_lo, s11
	s_cbranch_execz .LBB34_69
; %bb.68:
	v_mul_u32_u24_e32 v32, 33, v31
	v_mov_b32_e32 v31, 0
	s_delay_alu instid0(VALU_DEP_2) | instskip(NEXT) | instid1(VALU_DEP_2)
	v_add_lshl_u32 v33, v32, v0, 3
	v_mov_b32_e32 v32, v31
	ds_store_b64 v33, v[31:32]
.LBB34_69:
	s_and_not1_saveexec_b32 s11, s6
	s_cbranch_execz .LBB34_71
; %bb.70:
	s_lshl_b32 s30, s18, 3
	s_delay_alu instid0(SALU_CYCLE_1) | instskip(NEXT) | instid1(SALU_CYCLE_1)
	s_ashr_i32 s31, s30, 31
	s_lshl_b64 s[30:31], s[30:31], 3
	s_delay_alu instid0(SALU_CYCLE_1) | instskip(NEXT) | instid1(VALU_DEP_1)
	v_add_co_u32 v31, s6, v1, s30
	v_add_co_ci_u32_e64 v32, s6, s31, v2, s6
	flat_load_b64 v[31:32], v[31:32]
	s_waitcnt vmcnt(0) lgkmcnt(0)
	ds_store_b64 v30, v[31:32] offset:2112
.LBB34_71:
	s_or_b32 exec_lo, exec_lo, s11
	v_add_nc_u32_e32 v31, 16, v7
	s_delay_alu instid0(VALU_DEP_1) | instskip(NEXT) | instid1(VALU_DEP_1)
	v_cmp_le_i32_e64 s6, s9, v31
	s_and_saveexec_b32 s11, s6
	s_delay_alu instid0(SALU_CYCLE_1)
	s_xor_b32 s6, exec_lo, s11
	s_cbranch_execz .LBB34_73
; %bb.72:
	v_mul_u32_u24_e32 v32, 33, v31
	v_mov_b32_e32 v31, 0
	s_delay_alu instid0(VALU_DEP_2) | instskip(NEXT) | instid1(VALU_DEP_2)
	v_add_lshl_u32 v33, v32, v0, 3
	v_mov_b32_e32 v32, v31
	ds_store_b64 v33, v[31:32]
.LBB34_73:
	s_and_not1_saveexec_b32 s11, s6
	s_cbranch_execz .LBB34_75
; %bb.74:
	s_lshl_b32 s30, s18, 4
	s_delay_alu instid0(SALU_CYCLE_1) | instskip(NEXT) | instid1(SALU_CYCLE_1)
	s_ashr_i32 s31, s30, 31
	s_lshl_b64 s[30:31], s[30:31], 3
	s_delay_alu instid0(SALU_CYCLE_1) | instskip(NEXT) | instid1(VALU_DEP_1)
	v_add_co_u32 v31, s6, v1, s30
	v_add_co_ci_u32_e64 v32, s6, s31, v2, s6
	flat_load_b64 v[31:32], v[31:32]
	s_waitcnt vmcnt(0) lgkmcnt(0)
	ds_store_b64 v30, v[31:32] offset:4224
.LBB34_75:
	s_or_b32 exec_lo, exec_lo, s11
	v_add_nc_u32_e32 v31, 24, v7
	s_delay_alu instid0(VALU_DEP_1) | instskip(NEXT) | instid1(VALU_DEP_1)
	v_cmp_le_i32_e64 s6, s9, v31
	s_and_saveexec_b32 s9, s6
	s_delay_alu instid0(SALU_CYCLE_1)
	s_xor_b32 s6, exec_lo, s9
	s_cbranch_execz .LBB34_77
; %bb.76:
	v_mov_b32_e32 v31, 0
	s_delay_alu instid0(VALU_DEP_1)
	v_mov_b32_e32 v32, v31
	ds_store_b64 v30, v[31:32] offset:6336
                                        ; implicit-def: $vgpr30
.LBB34_77:
	s_and_not1_saveexec_b32 s9, s6
	s_cbranch_execz .LBB34_79
; %bb.78:
	s_mul_i32 s30, s18, 24
	s_delay_alu instid0(SALU_CYCLE_1) | instskip(NEXT) | instid1(SALU_CYCLE_1)
	s_ashr_i32 s31, s30, 31
	s_lshl_b64 s[30:31], s[30:31], 3
	s_delay_alu instid0(SALU_CYCLE_1) | instskip(NEXT) | instid1(VALU_DEP_1)
	v_add_co_u32 v31, s6, v1, s30
	v_add_co_ci_u32_e64 v32, s6, s31, v2, s6
	flat_load_b64 v[31:32], v[31:32]
	s_waitcnt vmcnt(0) lgkmcnt(0)
	ds_store_b64 v30, v[31:32] offset:6336
.LBB34_79:
	s_or_b32 exec_lo, exec_lo, s9
	v_add_co_u32 v1, s6, v1, v9
	s_delay_alu instid0(VALU_DEP_1) | instskip(NEXT) | instid1(VALU_DEP_2)
	v_add_co_ci_u32_e64 v2, s6, 0, v2, s6
	v_sub_co_u32 v1, s6, v1, s24
	s_delay_alu instid0(VALU_DEP_1) | instskip(NEXT) | instid1(VALU_DEP_2)
	v_subrev_co_ci_u32_e64 v2, s6, s25, v2, s6
	v_add_co_u32 v1, s6, 0x108, v1
	s_delay_alu instid0(VALU_DEP_1) | instskip(NEXT) | instid1(VALU_DEP_1)
	v_add_co_ci_u32_e64 v2, s6, 0, v2, s6
	v_dual_cndmask_b32 v1, v1, v3 :: v_dual_cndmask_b32 v2, v2, v4
	s_branch .LBB34_82
.LBB34_80:
                                        ; implicit-def: $vgpr1_vgpr2
	s_cbranch_execz .LBB34_82
; %bb.81:
	flat_load_b64 v[1:2], v[5:6] offset:256
	s_lshl_b32 s24, s18, 3
	v_add_lshl_u32 v30, v8, v0, 3
	s_ashr_i32 s25, s24, 31
	s_ashr_i32 s19, s18, 31
	s_lshl_b64 s[24:25], s[24:25], 3
	s_delay_alu instid0(SALU_CYCLE_1)
	v_add_co_u32 v5, vcc_lo, v5, s24
	v_add_co_ci_u32_e32 v6, vcc_lo, s25, v6, vcc_lo
	s_lshl_b64 s[24:25], s[18:19], 6
	s_waitcnt vmcnt(0) lgkmcnt(0)
	ds_store_b64 v30, v[1:2]
	flat_load_b64 v[1:2], v[5:6] offset:256
	v_add_co_u32 v5, vcc_lo, v5, s24
	v_add_co_ci_u32_e32 v6, vcc_lo, s25, v6, vcc_lo
	s_waitcnt vmcnt(0) lgkmcnt(0)
	ds_store_b64 v30, v[1:2] offset:2112
	flat_load_b64 v[1:2], v[5:6] offset:256
	v_add_co_u32 v5, vcc_lo, v5, s24
	v_add_co_ci_u32_e32 v6, vcc_lo, s25, v6, vcc_lo
	s_waitcnt vmcnt(0) lgkmcnt(0)
	ds_store_b64 v30, v[1:2] offset:4224
	flat_load_b64 v[5:6], v[5:6] offset:256
	v_dual_mov_b32 v1, v3 :: v_dual_mov_b32 v2, v4
	s_waitcnt vmcnt(0) lgkmcnt(0)
	ds_store_b64 v30, v[5:6] offset:6336
.LBB34_82:
	s_waitcnt lgkmcnt(0)
	s_barrier
	buffer_gl0_inv
	s_and_saveexec_b32 s6, s1
	s_delay_alu instid0(SALU_CYCLE_1)
	s_xor_b32 s1, exec_lo, s6
	s_cbranch_execnz .LBB34_111
; %bb.83:
	s_and_not1_saveexec_b32 s1, s1
	s_cbranch_execnz .LBB34_114
.LBB34_84:
	s_or_b32 exec_lo, exec_lo, s1
	s_and_saveexec_b32 s1, s3
	s_delay_alu instid0(SALU_CYCLE_1)
	s_xor_b32 s1, exec_lo, s1
	s_cbranch_execnz .LBB34_115
.LBB34_85:
	s_and_not1_saveexec_b32 s1, s1
	s_cbranch_execnz .LBB34_116
.LBB34_86:
	s_or_b32 exec_lo, exec_lo, s1
	s_and_saveexec_b32 s1, s4
	s_delay_alu instid0(SALU_CYCLE_1)
	s_xor_b32 s1, exec_lo, s1
	s_cbranch_execnz .LBB34_119
.LBB34_87:
	s_and_not1_saveexec_b32 s1, s1
	s_cbranch_execnz .LBB34_122
.LBB34_88:
	s_or_b32 exec_lo, exec_lo, s1
	s_and_saveexec_b32 s1, s5
	s_delay_alu instid0(SALU_CYCLE_1)
	s_xor_b32 s1, exec_lo, s1
	s_cbranch_execnz .LBB34_123
.LBB34_89:
	s_or_saveexec_b32 s1, s1
	v_add_nc_u32_e32 v19, 0x2380, v29
	s_xor_b32 exec_lo, exec_lo, s1
	s_cbranch_execz .LBB34_91
.LBB34_90:
	ds_load_b64 v[3:4], v18 offset:528
	s_waitcnt lgkmcnt(0)
	v_xor_b32_e32 v4, 0x80000000, v4
	ds_store_b64 v16, v[3:4] offset:24
.LBB34_91:
	s_or_b32 exec_lo, exec_lo, s1
	s_waitcnt lgkmcnt(0)
	s_barrier
	buffer_gl0_inv
	ds_load_b64 v[16:17], v11
	ds_load_b128 v[3:6], v19 offset:256
	ds_load_2addr_b64 v[29:32], v18 offset1:33
	ds_load_b128 v[33:36], v19 offset:272
	ds_load_b64 v[20:21], v18 offset:528
	v_cmp_eq_u32_e64 s1, 1, v7
	s_waitcnt lgkmcnt(0)
	s_barrier
	buffer_gl0_inv
	v_dual_mul_f32 v37, v4, v17 :: v_dual_mul_f32 v38, v6, v30
	v_dual_mul_f32 v17, v3, v17 :: v_dual_mul_f32 v30, v5, v30
	v_mul_f32_e32 v39, v34, v32
	s_delay_alu instid0(VALU_DEP_3) | instskip(SKIP_1) | instid1(VALU_DEP_4)
	v_fma_f32 v3, v3, v16, -v37
	v_mul_f32_e32 v32, v33, v32
	v_dual_fmac_f32 v17, v4, v16 :: v_dual_fmac_f32 v30, v6, v29
	v_fma_f32 v5, v5, v29, -v38
	s_delay_alu instid0(VALU_DEP_4) | instskip(NEXT) | instid1(VALU_DEP_4)
	v_add_f32_e32 v3, 0, v3
	v_fmac_f32_e32 v32, v34, v31
	v_mul_f32_e32 v4, v36, v21
	s_delay_alu instid0(VALU_DEP_3) | instskip(SKIP_4) | instid1(VALU_DEP_3)
	v_add_f32_e32 v3, v3, v5
	v_add_f32_e32 v6, 0, v17
	v_mul_f32_e32 v16, v35, v21
	v_fma_f32 v17, v33, v31, -v39
	v_fma_f32 v4, v35, v20, -v4
	v_dual_add_f32 v5, v6, v30 :: v_dual_fmac_f32 v16, v36, v20
	s_delay_alu instid0(VALU_DEP_3) | instskip(NEXT) | instid1(VALU_DEP_2)
	v_add_f32_e32 v3, v3, v17
	v_add_f32_e32 v5, v5, v32
	s_delay_alu instid0(VALU_DEP_2) | instskip(NEXT) | instid1(VALU_DEP_2)
	v_add_f32_e32 v3, v3, v4
	v_add_f32_e32 v4, v5, v16
	ds_store_b64 v28, v[3:4]
	s_waitcnt lgkmcnt(0)
	s_barrier
	buffer_gl0_inv
	s_and_saveexec_b32 s3, s1
	s_cbranch_execz .LBB34_93
; %bb.92:
	ds_load_2addr_b64 v[3:6], v23 offset1:7
	ds_load_2addr_b64 v[29:32], v23 offset0:1 offset1:2
	ds_load_2addr_b64 v[33:36], v23 offset0:3 offset1:4
	;; [unrolled: 1-line block ×3, first 2 shown]
	s_waitcnt lgkmcnt(2)
	v_dual_add_f32 v3, v29, v3 :: v_dual_add_f32 v4, v30, v4
	s_delay_alu instid0(VALU_DEP_1) | instskip(SKIP_1) | instid1(VALU_DEP_1)
	v_dual_add_f32 v3, v3, v31 :: v_dual_add_f32 v4, v4, v32
	s_waitcnt lgkmcnt(1)
	v_dual_add_f32 v3, v3, v33 :: v_dual_add_f32 v4, v4, v34
	s_delay_alu instid0(VALU_DEP_1) | instskip(SKIP_1) | instid1(VALU_DEP_1)
	v_dual_add_f32 v3, v3, v35 :: v_dual_add_f32 v4, v4, v36
	s_waitcnt lgkmcnt(0)
	v_dual_add_f32 v3, v3, v37 :: v_dual_add_f32 v4, v4, v38
	s_delay_alu instid0(VALU_DEP_1) | instskip(NEXT) | instid1(VALU_DEP_1)
	v_dual_add_f32 v3, v3, v39 :: v_dual_add_f32 v4, v4, v40
	v_dual_add_f32 v26, v3, v5 :: v_dual_add_f32 v27, v4, v6
.LBB34_93:
	s_or_b32 exec_lo, exec_lo, s3
	v_add_co_u32 v1, vcc_lo, 0xffffff00, v1
	v_add_co_ci_u32_e32 v2, vcc_lo, -1, v2, vcc_lo
	s_and_b32 vcc_lo, exec_lo, s7
	s_barrier
	buffer_gl0_inv
	s_cbranch_vccz .LBB34_126
; %bb.94:
	v_sub_co_u32 v3, vcc_lo, v1, v9
	s_ashr_i32 s9, s8, 31
	v_subrev_co_ci_u32_e32 v4, vcc_lo, 0, v2, vcc_lo
	s_lshl_b64 s[4:5], s[8:9], 3
	s_sub_i32 s6, s8, 32
	v_add_co_u32 v3, vcc_lo, v3, s4
	s_delay_alu instid0(VALU_DEP_2) | instskip(SKIP_1) | instid1(VALU_DEP_3)
	v_add_co_ci_u32_e32 v4, vcc_lo, s5, v4, vcc_lo
	v_cmp_le_i32_e64 s3, s6, v7
	v_add_co_u32 v3, vcc_lo, v3, -8
	s_delay_alu instid0(VALU_DEP_3) | instskip(SKIP_2) | instid1(VALU_DEP_3)
	v_add_co_ci_u32_e32 v4, vcc_lo, -1, v4, vcc_lo
	v_cmp_gt_i32_e32 vcc_lo, s8, v0
	v_add_lshl_u32 v16, v8, v0, 3
	v_dual_cndmask_b32 v4, v4, v2 :: v_dual_cndmask_b32 v3, v3, v1
	s_and_saveexec_b32 s7, s3
	s_delay_alu instid0(SALU_CYCLE_1)
	s_xor_b32 s3, exec_lo, s7
	s_cbranch_execz .LBB34_96
; %bb.95:
	v_mov_b32_e32 v5, 0
	s_delay_alu instid0(VALU_DEP_1)
	v_mov_b32_e32 v6, v5
	ds_store_b64 v16, v[5:6]
.LBB34_96:
	s_and_not1_saveexec_b32 s3, s3
	s_cbranch_execz .LBB34_98
; %bb.97:
	flat_load_b64 v[5:6], v[3:4]
	s_waitcnt vmcnt(0) lgkmcnt(0)
	ds_store_b64 v16, v[5:6]
.LBB34_98:
	s_or_b32 exec_lo, exec_lo, s3
	v_add_nc_u32_e32 v5, 8, v7
	s_delay_alu instid0(VALU_DEP_1) | instskip(NEXT) | instid1(VALU_DEP_1)
	v_cmp_le_i32_e64 s3, s6, v5
	s_and_saveexec_b32 s7, s3
	s_delay_alu instid0(SALU_CYCLE_1)
	s_xor_b32 s3, exec_lo, s7
	s_cbranch_execz .LBB34_100
; %bb.99:
	v_mul_u32_u24_e32 v6, 33, v5
	v_mov_b32_e32 v20, 0
	s_delay_alu instid0(VALU_DEP_2) | instskip(NEXT) | instid1(VALU_DEP_2)
	v_add_lshl_u32 v6, v6, v0, 3
	v_mov_b32_e32 v21, v20
	ds_store_b64 v6, v[20:21]
.LBB34_100:
	s_and_not1_saveexec_b32 s7, s3
	s_cbranch_execz .LBB34_102
; %bb.101:
	s_lshl_b32 s24, s18, 3
	s_delay_alu instid0(SALU_CYCLE_1) | instskip(NEXT) | instid1(SALU_CYCLE_1)
	s_ashr_i32 s25, s24, 31
	s_lshl_b64 s[24:25], s[24:25], 3
	s_delay_alu instid0(SALU_CYCLE_1) | instskip(NEXT) | instid1(VALU_DEP_1)
	v_add_co_u32 v20, s3, v3, s24
	v_add_co_ci_u32_e64 v21, s3, s25, v4, s3
	flat_load_b64 v[20:21], v[20:21]
	s_waitcnt vmcnt(0) lgkmcnt(0)
	ds_store_b64 v16, v[20:21] offset:2112
.LBB34_102:
	s_or_b32 exec_lo, exec_lo, s7
	v_add_nc_u32_e32 v6, 16, v7
	s_delay_alu instid0(VALU_DEP_1) | instskip(NEXT) | instid1(VALU_DEP_1)
	v_cmp_le_i32_e64 s3, s6, v6
	s_and_saveexec_b32 s7, s3
	s_delay_alu instid0(SALU_CYCLE_1)
	s_xor_b32 s3, exec_lo, s7
	s_cbranch_execz .LBB34_104
; %bb.103:
	v_mul_u32_u24_e32 v17, 33, v6
	v_mov_b32_e32 v20, 0
	s_delay_alu instid0(VALU_DEP_2) | instskip(NEXT) | instid1(VALU_DEP_2)
	v_add_lshl_u32 v17, v17, v0, 3
	v_mov_b32_e32 v21, v20
	ds_store_b64 v17, v[20:21]
.LBB34_104:
	s_and_not1_saveexec_b32 s7, s3
	s_cbranch_execz .LBB34_106
; %bb.105:
	s_lshl_b32 s24, s18, 4
	s_delay_alu instid0(SALU_CYCLE_1) | instskip(NEXT) | instid1(SALU_CYCLE_1)
	s_ashr_i32 s25, s24, 31
	s_lshl_b64 s[24:25], s[24:25], 3
	s_delay_alu instid0(SALU_CYCLE_1) | instskip(NEXT) | instid1(VALU_DEP_1)
	v_add_co_u32 v20, s3, v3, s24
	v_add_co_ci_u32_e64 v21, s3, s25, v4, s3
	flat_load_b64 v[20:21], v[20:21]
	s_waitcnt vmcnt(0) lgkmcnt(0)
	ds_store_b64 v16, v[20:21] offset:4224
.LBB34_106:
	s_or_b32 exec_lo, exec_lo, s7
	v_add_nc_u32_e32 v20, 24, v7
	s_delay_alu instid0(VALU_DEP_1) | instskip(NEXT) | instid1(VALU_DEP_1)
	v_cmp_le_i32_e64 s3, s6, v20
	s_and_saveexec_b32 s6, s3
	s_delay_alu instid0(SALU_CYCLE_1)
	s_xor_b32 s3, exec_lo, s6
	s_cbranch_execz .LBB34_108
; %bb.107:
	v_mov_b32_e32 v29, 0
	s_delay_alu instid0(VALU_DEP_1)
	v_mov_b32_e32 v30, v29
	ds_store_b64 v16, v[29:30] offset:6336
                                        ; implicit-def: $vgpr16
.LBB34_108:
	s_and_not1_saveexec_b32 s6, s3
	s_cbranch_execz .LBB34_110
; %bb.109:
	s_mul_i32 s24, s18, 24
	s_delay_alu instid0(SALU_CYCLE_1) | instskip(NEXT) | instid1(SALU_CYCLE_1)
	s_ashr_i32 s25, s24, 31
	s_lshl_b64 s[24:25], s[24:25], 3
	s_delay_alu instid0(SALU_CYCLE_1) | instskip(NEXT) | instid1(VALU_DEP_1)
	v_add_co_u32 v29, s3, v3, s24
	v_add_co_ci_u32_e64 v30, s3, s25, v4, s3
	flat_load_b64 v[29:30], v[29:30]
	s_waitcnt vmcnt(0) lgkmcnt(0)
	ds_store_b64 v16, v[29:30] offset:6336
.LBB34_110:
	s_or_b32 exec_lo, exec_lo, s6
	v_add_co_u32 v3, s3, v3, v9
	s_delay_alu instid0(VALU_DEP_1) | instskip(NEXT) | instid1(VALU_DEP_2)
	v_add_co_ci_u32_e64 v4, s3, 0, v4, s3
	v_sub_co_u32 v3, s3, v3, s4
	s_delay_alu instid0(VALU_DEP_1) | instskip(NEXT) | instid1(VALU_DEP_2)
	v_subrev_co_ci_u32_e64 v4, s3, s5, v4, s3
	v_add_co_u32 v3, s3, v3, 8
	s_delay_alu instid0(VALU_DEP_1) | instskip(NEXT) | instid1(VALU_DEP_1)
	v_add_co_ci_u32_e64 v4, s3, 0, v4, s3
	v_dual_cndmask_b32 v16, v3, v1 :: v_dual_cndmask_b32 v17, v4, v2
	s_branch .LBB34_128
.LBB34_111:
	s_mov_b32 s6, exec_lo
	v_cmpx_eq_u32_e64 v19, v0
	s_cbranch_execz .LBB34_113
; %bb.112:
	v_mul_u32_u24_e32 v3, 34, v0
	s_delay_alu instid0(VALU_DEP_1)
	v_dual_mov_b32 v4, 0 :: v_dual_lshlrev_b32 v3, 3, v3
	ds_store_b32 v3, v4 offset:4
.LBB34_113:
	s_or_b32 exec_lo, exec_lo, s6
	s_and_not1_saveexec_b32 s1, s1
	s_cbranch_execz .LBB34_84
.LBB34_114:
	ds_load_b64 v[3:4], v11
	s_waitcnt lgkmcnt(0)
	v_xor_b32_e32 v4, 0x80000000, v4
	ds_store_b64 v16, v[3:4]
	s_or_b32 exec_lo, exec_lo, s1
	s_and_saveexec_b32 s1, s3
	s_delay_alu instid0(SALU_CYCLE_1)
	s_xor_b32 s1, exec_lo, s1
	s_cbranch_execz .LBB34_85
.LBB34_115:
	ds_load_b64 v[3:4], v18
                                        ; implicit-def: $vgpr17
	s_waitcnt lgkmcnt(0)
	v_xor_b32_e32 v4, 0x80000000, v4
	ds_store_b64 v16, v[3:4] offset:8
	s_and_not1_saveexec_b32 s1, s1
	s_cbranch_execz .LBB34_86
.LBB34_116:
	s_mov_b32 s3, exec_lo
	v_cmpx_eq_u32_e64 v17, v0
	s_cbranch_execz .LBB34_118
; %bb.117:
	v_mul_u32_u24_e32 v3, 34, v0
	s_delay_alu instid0(VALU_DEP_1)
	v_dual_mov_b32 v4, 0 :: v_dual_lshlrev_b32 v3, 3, v3
	ds_store_b32 v3, v4 offset:4
.LBB34_118:
	s_or_b32 exec_lo, exec_lo, s3
	s_delay_alu instid0(SALU_CYCLE_1) | instskip(SKIP_1) | instid1(SALU_CYCLE_1)
	s_or_b32 exec_lo, exec_lo, s1
	s_and_saveexec_b32 s1, s4
	s_xor_b32 s1, exec_lo, s1
	s_cbranch_execz .LBB34_87
.LBB34_119:
	s_mov_b32 s3, exec_lo
	v_cmpx_eq_u32_e64 v20, v0
	s_cbranch_execz .LBB34_121
; %bb.120:
	v_mul_u32_u24_e32 v3, 34, v0
	s_delay_alu instid0(VALU_DEP_1)
	v_dual_mov_b32 v4, 0 :: v_dual_lshlrev_b32 v3, 3, v3
	ds_store_b32 v3, v4 offset:4
.LBB34_121:
	s_or_b32 exec_lo, exec_lo, s3
	s_and_not1_saveexec_b32 s1, s1
	s_cbranch_execz .LBB34_88
.LBB34_122:
	ds_load_b64 v[3:4], v18 offset:264
	s_waitcnt lgkmcnt(0)
	v_xor_b32_e32 v4, 0x80000000, v4
	ds_store_b64 v16, v[3:4] offset:16
	s_or_b32 exec_lo, exec_lo, s1
	s_and_saveexec_b32 s1, s5
	s_delay_alu instid0(SALU_CYCLE_1)
	s_xor_b32 s1, exec_lo, s1
	s_cbranch_execz .LBB34_89
.LBB34_123:
	s_mov_b32 s3, exec_lo
	v_cmpx_eq_u32_e64 v21, v0
	s_cbranch_execz .LBB34_125
; %bb.124:
	v_mul_u32_u24_e32 v3, 34, v0
	s_delay_alu instid0(VALU_DEP_1)
	v_dual_mov_b32 v4, 0 :: v_dual_lshlrev_b32 v3, 3, v3
	ds_store_b32 v3, v4 offset:4
.LBB34_125:
	s_or_b32 exec_lo, exec_lo, s3
                                        ; implicit-def: $vgpr16
	s_or_saveexec_b32 s1, s1
	v_add_nc_u32_e32 v19, 0x2380, v29
	s_xor_b32 exec_lo, exec_lo, s1
	s_cbranch_execnz .LBB34_90
	s_branch .LBB34_91
.LBB34_126:
                                        ; implicit-def: $vgpr16_vgpr17
                                        ; implicit-def: $vgpr5
                                        ; implicit-def: $vgpr6
                                        ; implicit-def: $vgpr20
	s_cbranch_execz .LBB34_128
; %bb.127:
	flat_load_b64 v[3:4], v[1:2]
	s_lshl_b32 s4, s18, 3
	v_add_lshl_u32 v0, v8, v0, 3
	s_ashr_i32 s5, s4, 31
	s_ashr_i32 s19, s18, 31
	s_lshl_b64 s[4:5], s[4:5], 3
	v_add_nc_u32_e32 v20, 24, v7
	v_add_co_u32 v5, vcc_lo, v1, s4
	v_add_co_ci_u32_e32 v6, vcc_lo, s5, v2, vcc_lo
	s_lshl_b64 s[4:5], s[18:19], 6
	v_dual_mov_b32 v17, v2 :: v_dual_mov_b32 v16, v1
	s_waitcnt vmcnt(0) lgkmcnt(0)
	ds_store_b64 v0, v[3:4]
	flat_load_b64 v[3:4], v[5:6]
	v_add_co_u32 v5, vcc_lo, v5, s4
	v_add_co_ci_u32_e32 v6, vcc_lo, s5, v6, vcc_lo
	s_waitcnt vmcnt(0) lgkmcnt(0)
	ds_store_b64 v0, v[3:4] offset:2112
	flat_load_b64 v[3:4], v[5:6]
	v_add_co_u32 v5, vcc_lo, v5, s4
	v_add_co_ci_u32_e32 v6, vcc_lo, s5, v6, vcc_lo
	s_waitcnt vmcnt(0) lgkmcnt(0)
	ds_store_b64 v0, v[3:4] offset:4224
	flat_load_b64 v[3:4], v[5:6]
	v_add_nc_u32_e32 v6, 16, v7
	v_add_nc_u32_e32 v5, 8, v7
	s_waitcnt vmcnt(0) lgkmcnt(0)
	ds_store_b64 v0, v[3:4] offset:6336
.LBB34_128:
	v_lshlrev_b32_e32 v0, 3, v7
	v_add_lshl_u32 v1, v5, v10, 3
	v_lshlrev_b32_e32 v2, 3, v5
	s_waitcnt lgkmcnt(0)
	s_barrier
	buffer_gl0_inv
	ds_load_b64 v[29:30], v28
	ds_load_b64 v[31:32], v0 offset:9088
	ds_load_b64 v[33:34], v1
	ds_load_b64 v[35:36], v2 offset:9088
	v_add_lshl_u32 v3, v6, v10, 3
	v_add_lshl_u32 v0, v20, v10, 3
	v_lshlrev_b32_e32 v1, 3, v20
	s_waitcnt lgkmcnt(2)
	v_mul_f32_e32 v45, v30, v32
	v_mul_f32_e32 v30, v30, v31
	s_delay_alu instid0(VALU_DEP_2)
	v_dual_fmac_f32 v45, v29, v31 :: v_dual_lshlrev_b32 v4, 3, v6
	ds_load_b64 v[37:38], v3
	ds_load_b64 v[39:40], v4 offset:9088
	ds_load_b64 v[41:42], v0
	ds_load_b64 v[43:44], v1 offset:9088
	ds_load_b64 v[20:21], v11
	ds_load_b128 v[8:11], v19 offset:256
	ds_load_2addr_b64 v[4:7], v18 offset1:33
	ds_load_b128 v[0:3], v19 offset:272
	ds_load_b64 v[18:19], v18 offset:528
	v_fma_f32 v29, v29, v32, -v30
	s_waitcnt lgkmcnt(9)
	v_mul_f32_e32 v46, v34, v36
	s_waitcnt lgkmcnt(0)
	v_add_f32_e32 v32, 0, v45
	s_barrier
	s_delay_alu instid0(VALU_DEP_2) | instskip(SKIP_2) | instid1(VALU_DEP_1)
	v_dual_add_f32 v29, 0, v29 :: v_dual_fmac_f32 v46, v33, v35
	buffer_gl0_inv
	v_dual_add_f32 v32, v32, v46 :: v_dual_mul_f32 v47, v38, v40
	v_dual_mul_f32 v30, v42, v44 :: v_dual_fmac_f32 v47, v37, v39
	s_delay_alu instid0(VALU_DEP_1) | instskip(NEXT) | instid1(VALU_DEP_2)
	v_fmac_f32_e32 v30, v41, v43
	v_add_f32_e32 v32, v32, v47
	v_mul_f32_e32 v34, v34, v35
	s_delay_alu instid0(VALU_DEP_1) | instskip(SKIP_1) | instid1(VALU_DEP_2)
	v_fma_f32 v31, v33, v36, -v34
	v_mul_f32_e32 v33, v42, v43
	v_add_f32_e32 v29, v29, v31
	v_mul_f32_e32 v38, v38, v39
	s_delay_alu instid0(VALU_DEP_3) | instskip(NEXT) | instid1(VALU_DEP_2)
	v_fma_f32 v31, v41, v44, -v33
	v_fma_f32 v34, v37, v40, -v38
	s_delay_alu instid0(VALU_DEP_1) | instskip(NEXT) | instid1(VALU_DEP_1)
	v_add_f32_e32 v33, v29, v34
	v_dual_add_f32 v29, v32, v30 :: v_dual_add_f32 v30, v33, v31
	ds_store_b64 v28, v[29:30]
	s_waitcnt lgkmcnt(0)
	s_barrier
	buffer_gl0_inv
	s_and_saveexec_b32 s3, s1
	s_cbranch_execz .LBB34_130
; %bb.129:
	ds_load_2addr_b64 v[29:32], v23 offset1:1
	ds_load_2addr_b64 v[33:36], v23 offset0:2 offset1:3
	ds_load_2addr_b64 v[37:40], v23 offset0:4 offset1:5
	s_waitcnt lgkmcnt(2)
	v_dual_add_f32 v26, v26, v29 :: v_dual_add_f32 v27, v27, v30
	s_delay_alu instid0(VALU_DEP_1) | instskip(SKIP_3) | instid1(VALU_DEP_1)
	v_dual_add_f32 v26, v26, v31 :: v_dual_add_f32 v27, v27, v32
	ds_load_2addr_b64 v[29:32], v23 offset0:6 offset1:7
	s_waitcnt lgkmcnt(2)
	v_dual_add_f32 v26, v26, v33 :: v_dual_add_f32 v27, v27, v34
	v_dual_add_f32 v26, v26, v35 :: v_dual_add_f32 v27, v27, v36
	s_waitcnt lgkmcnt(1)
	s_delay_alu instid0(VALU_DEP_1) | instskip(NEXT) | instid1(VALU_DEP_1)
	v_dual_add_f32 v26, v26, v37 :: v_dual_add_f32 v27, v27, v38
	v_dual_add_f32 v26, v26, v39 :: v_dual_add_f32 v27, v27, v40
	s_waitcnt lgkmcnt(0)
	s_delay_alu instid0(VALU_DEP_1) | instskip(NEXT) | instid1(VALU_DEP_1)
	v_dual_add_f32 v26, v26, v29 :: v_dual_add_f32 v27, v27, v30
	v_dual_add_f32 v26, v26, v31 :: v_dual_add_f32 v27, v27, v32
.LBB34_130:
	s_or_b32 exec_lo, exec_lo, s3
	v_mul_f32_e32 v29, v9, v21
	v_mul_f32_e32 v21, v8, v21
	v_dual_mul_f32 v30, v11, v5 :: v_dual_mul_f32 v31, v1, v7
	s_delay_alu instid0(VALU_DEP_3) | instskip(NEXT) | instid1(VALU_DEP_3)
	v_fma_f32 v8, v8, v20, -v29
	v_fmac_f32_e32 v21, v9, v20
	v_mul_f32_e32 v7, v0, v7
	s_delay_alu instid0(VALU_DEP_4)
	v_fma_f32 v0, v0, v6, -v31
	s_barrier
	v_dual_add_f32 v8, 0, v8 :: v_dual_mul_f32 v5, v10, v5
	v_fma_f32 v10, v10, v4, -v30
	buffer_gl0_inv
	v_dual_add_f32 v8, v8, v10 :: v_dual_mul_f32 v9, v3, v19
	v_fmac_f32_e32 v5, v11, v4
	s_delay_alu instid0(VALU_DEP_2) | instskip(NEXT) | instid1(VALU_DEP_3)
	v_dual_mul_f32 v11, v2, v19 :: v_dual_add_f32 v0, v8, v0
	v_fma_f32 v2, v2, v18, -v9
	s_delay_alu instid0(VALU_DEP_2) | instskip(NEXT) | instid1(VALU_DEP_2)
	v_fmac_f32_e32 v11, v3, v18
	v_add_f32_e32 v0, v0, v2
	v_dual_add_f32 v4, 0, v21 :: v_dual_fmac_f32 v7, v1, v6
	s_delay_alu instid0(VALU_DEP_1) | instskip(NEXT) | instid1(VALU_DEP_1)
	v_add_f32_e32 v1, v4, v5
	v_add_f32_e32 v1, v1, v7
	s_delay_alu instid0(VALU_DEP_1)
	v_add_f32_e32 v1, v1, v11
	ds_store_b64 v28, v[0:1]
	s_waitcnt lgkmcnt(0)
	s_barrier
	buffer_gl0_inv
	s_and_saveexec_b32 s1, s0
	s_cbranch_execz .LBB34_132
; %bb.131:
	ds_load_2addr_b64 v[0:3], v23 offset1:1
	ds_load_2addr_b64 v[4:7], v23 offset0:2 offset1:3
	ds_load_2addr_b64 v[8:11], v23 offset0:4 offset1:5
	s_waitcnt lgkmcnt(2)
	v_dual_add_f32 v0, v26, v0 :: v_dual_add_f32 v1, v27, v1
	s_delay_alu instid0(VALU_DEP_1) | instskip(SKIP_3) | instid1(VALU_DEP_1)
	v_dual_add_f32 v18, v0, v2 :: v_dual_add_f32 v19, v1, v3
	ds_load_2addr_b64 v[0:3], v23 offset0:6 offset1:7
	s_waitcnt lgkmcnt(2)
	v_dual_add_f32 v4, v18, v4 :: v_dual_add_f32 v5, v19, v5
	v_dual_add_f32 v4, v4, v6 :: v_dual_add_f32 v5, v5, v7
	s_waitcnt lgkmcnt(1)
	s_delay_alu instid0(VALU_DEP_1) | instskip(NEXT) | instid1(VALU_DEP_1)
	v_dual_add_f32 v4, v4, v8 :: v_dual_add_f32 v5, v5, v9
	v_dual_add_f32 v4, v4, v10 :: v_dual_add_f32 v5, v5, v11
	s_waitcnt lgkmcnt(0)
	s_delay_alu instid0(VALU_DEP_1) | instskip(NEXT) | instid1(VALU_DEP_1)
	v_dual_add_f32 v0, v4, v0 :: v_dual_add_f32 v1, v5, v1
	v_dual_add_f32 v26, v0, v2 :: v_dual_add_f32 v27, v1, v3
.LBB34_132:
	s_or_b32 exec_lo, exec_lo, s1
	s_mul_hi_u32 s0, s13, s12
	s_mul_i32 s29, s29, s12
	s_mul_i32 s1, s13, s12
	s_add_i32 s0, s0, s29
	s_mul_hi_u32 s4, s1, s15
	s_mul_i32 s3, s0, s15
	s_mul_i32 s0, s1, s15
	s_add_i32 s1, s4, s3
	s_mul_hi_i32 s5, s13, s14
	s_lshl_b64 s[0:1], s[0:1], 3
	s_mul_i32 s4, s13, s14
	s_add_u32 s3, s16, s0
	s_addc_u32 s6, s17, s1
	s_lshl_b64 s[0:1], s[4:5], 3
	v_lshlrev_b32_e32 v96, 3, v25
	s_add_u32 s3, s3, s0
	s_addc_u32 s9, s6, s1
	s_add_i32 s1, s14, 1
	s_delay_alu instid0(SALU_CYCLE_1)
	s_cmp_ge_u32 s1, s15
	s_barrier
	buffer_gl0_inv
	s_cbranch_scc1 .LBB34_190
; %bb.133:
	v_dual_mov_b32 v30, 0 :: v_dual_lshlrev_b32 v97, 2, v95
	v_and_b32_e32 v2, 15, v25
	v_lshrrev_b32_e32 v3, 4, v22
	v_and_b32_e32 v4, 48, v25
	s_delay_alu instid0(VALU_DEP_4) | instskip(SKIP_2) | instid1(VALU_DEP_3)
	v_mad_u64_u32 v[0:1], null, v97, s18, v[25:26]
	v_or_b32_e32 v6, 0x78, v96
	s_mul_i32 s4, s10, s28
	v_lshlrev_b32_e32 v5, 3, v4
	s_ashr_i32 s5, s4, 31
	v_lshlrev_b32_e32 v7, 5, v3
	s_lshl_b64 s[4:5], s[4:5], 3
	s_delay_alu instid0(VALU_DEP_4)
	v_ashrrev_i32_e32 v1, 31, v0
	v_mad_u32_u24 v103, 0x218, v2, v6
	v_mul_i32_i24_e32 v6, 0xffffffe8, v3
	v_add_nc_u32_e32 v3, s10, v4
	v_sub_co_u32 v98, vcc_lo, v12, s4
	v_subrev_co_ci_u32_e32 v99, vcc_lo, s5, v13, vcc_lo
	v_mad_u32_u24 v102, 0x218, v2, v5
	v_mad_u32_u24 v104, 0x218, v2, v7
	v_add3_u32 v28, v3, v2, 64
	v_lshlrev_b64 v[2:3], 3, v[0:1]
	v_add_co_u32 v0, vcc_lo, s22, v0
	v_add_co_ci_u32_e32 v1, vcc_lo, s23, v1, vcc_lo
	s_lshl_b32 s25, s28, 6
	s_ashr_i32 s19, s18, 31
	s_mul_i32 s28, s28, s1
	s_delay_alu instid0(VALU_DEP_1)
	v_lshlrev_b64 v[0:1], 3, v[0:1]
	s_lshl_b32 s12, s18, 4
	s_lshl_b32 s30, s18, 1
	s_mul_i32 s16, s18, 3
	s_lshl_b32 s4, s28, 6
	s_lshl_b64 s[28:29], s[18:19], 4
	s_add_i32 s24, s15, -2
	s_ashr_i32 s13, s12, 31
	s_ashr_i32 s31, s30, 31
	s_ashr_i32 s17, s16, 31
	s_lshl_b64 s[10:11], s[18:19], 3
	v_sub_co_u32 v122, vcc_lo, 0, v14
	s_add_u32 s1, s28, s20
	v_sub_co_ci_u32_e32 v123, vcc_lo, 0, v15, vcc_lo
	s_addc_u32 s5, s29, s21
	v_add_co_u32 v7, vcc_lo, s1, v2
	v_mad_i64_i32 v[4:5], null, s12, 24, v[0:1]
	v_add_co_ci_u32_e32 v8, vcc_lo, s5, v3, vcc_lo
	s_delay_alu instid0(VALU_DEP_3) | instskip(SKIP_1) | instid1(VALU_DEP_2)
	v_add_co_u32 v124, vcc_lo, v16, v7
	s_lshl_b64 s[16:17], s[16:17], 3
	v_add_co_ci_u32_e32 v125, vcc_lo, v17, v8, vcc_lo
	s_lshl_b64 s[6:7], s[12:13], 5
	s_delay_alu instid0(VALU_DEP_4)
	v_add_co_u32 v7, vcc_lo, v4, s16
	s_add_u32 s35, s10, s20
	v_add_co_ci_u32_e32 v8, vcc_lo, s17, v5, vcc_lo
	s_addc_u32 s36, s11, s21
	v_add_co_u32 v9, vcc_lo, s35, v2
	v_add_co_ci_u32_e32 v10, vcc_lo, s36, v3, vcc_lo
	v_add_co_u32 v126, vcc_lo, v16, v7
	v_add_co_ci_u32_e32 v127, vcc_lo, v17, v8, vcc_lo
	s_delay_alu instid0(VALU_DEP_4)
	v_add_co_u32 v128, vcc_lo, v16, v9
	s_mul_i32 s33, s18, 0x180
	s_lshl_b64 s[18:19], s[30:31], 3
	v_add_co_ci_u32_e32 v129, vcc_lo, v17, v10, vcc_lo
	v_add_co_u32 v7, vcc_lo, v4, s18
	v_add_co_ci_u32_e32 v8, vcc_lo, s19, v5, vcc_lo
	v_add_co_u32 v9, vcc_lo, s20, v2
	v_add_co_ci_u32_e32 v10, vcc_lo, s21, v3, vcc_lo
	s_delay_alu instid0(VALU_DEP_4) | instskip(NEXT) | instid1(VALU_DEP_4)
	v_add_co_u32 v130, vcc_lo, v16, v7
	v_add_co_ci_u32_e32 v131, vcc_lo, v17, v8, vcc_lo
	s_delay_alu instid0(VALU_DEP_4) | instskip(NEXT) | instid1(VALU_DEP_4)
	v_add_co_u32 v132, vcc_lo, v16, v9
	v_add_co_ci_u32_e32 v133, vcc_lo, v17, v10, vcc_lo
	v_add_co_u32 v134, vcc_lo, v16, v4
	s_add_u32 s22, s20, s18
	v_add_co_ci_u32_e32 v135, vcc_lo, v17, v5, vcc_lo
	s_addc_u32 s23, s21, s19
	v_add_co_u32 v7, vcc_lo, s22, v2
	v_add_co_ci_u32_e32 v8, vcc_lo, s23, v3, vcc_lo
	v_add_co_u32 v4, vcc_lo, v4, s10
	v_add_co_ci_u32_e32 v5, vcc_lo, s11, v5, vcc_lo
	s_delay_alu instid0(VALU_DEP_4) | instskip(NEXT) | instid1(VALU_DEP_4)
	v_add_co_u32 v136, vcc_lo, v16, v7
	v_add_co_ci_u32_e32 v137, vcc_lo, v17, v8, vcc_lo
	s_delay_alu instid0(VALU_DEP_4)
	v_add_co_u32 v138, vcc_lo, v16, v4
	s_add_u32 s30, s20, s16
	v_add_co_ci_u32_e32 v139, vcc_lo, v17, v5, vcc_lo
	s_addc_u32 s31, s21, s17
	s_lshl_b64 s[22:23], s[12:13], 3
	v_add_co_u32 v4, vcc_lo, s30, v2
	s_add_u32 s30, s1, s22
	v_add_co_ci_u32_e32 v5, vcc_lo, s31, v3, vcc_lo
	s_addc_u32 s31, s5, s23
	v_add_co_u32 v7, vcc_lo, s30, v2
	v_add_co_ci_u32_e32 v8, vcc_lo, s31, v3, vcc_lo
	v_add_co_u32 v140, vcc_lo, v16, v4
	v_add_co_ci_u32_e32 v141, vcc_lo, v17, v5, vcc_lo
	s_mul_hi_i32 s34, s12, 24
	v_add_co_u32 v142, vcc_lo, v16, v7
	s_add_u32 s28, s33, s28
	v_add_co_ci_u32_e32 v143, vcc_lo, v17, v8, vcc_lo
	s_addc_u32 s29, s34, s29
	s_lshl_b64 s[12:13], s[12:13], 4
	v_add_co_u32 v0, vcc_lo, s28, v0
	s_add_u32 s28, s12, s20
	v_add_co_ci_u32_e32 v1, vcc_lo, s29, v1, vcc_lo
	s_addc_u32 s29, s13, s21
	s_add_u32 s30, s28, s16
	s_addc_u32 s31, s29, s17
	v_add_co_u32 v4, vcc_lo, s30, v2
	v_add_co_ci_u32_e32 v5, vcc_lo, s31, v3, vcc_lo
	v_add_co_u32 v144, vcc_lo, v16, v0
	v_add_co_ci_u32_e32 v145, vcc_lo, v17, v1, vcc_lo
	s_delay_alu instid0(VALU_DEP_4)
	v_add_co_u32 v146, vcc_lo, v16, v4
	s_add_u32 s30, s35, s22
	v_add_co_ci_u32_e32 v147, vcc_lo, v17, v5, vcc_lo
	s_addc_u32 s31, s36, s23
	v_add_co_u32 v0, vcc_lo, s30, v2
	s_add_u32 s30, s28, s18
	v_add_co_ci_u32_e32 v1, vcc_lo, s31, v3, vcc_lo
	s_addc_u32 s31, s29, s19
	v_add_co_u32 v4, vcc_lo, s30, v2
	v_add_co_ci_u32_e32 v5, vcc_lo, s31, v3, vcc_lo
	v_add_co_u32 v148, vcc_lo, v16, v0
	v_add_co_ci_u32_e32 v149, vcc_lo, v17, v1, vcc_lo
	s_delay_alu instid0(VALU_DEP_4)
	v_add_co_u32 v150, vcc_lo, v16, v4
	s_add_u32 s20, s20, s22
	v_add_co_ci_u32_e32 v151, vcc_lo, v17, v5, vcc_lo
	s_addc_u32 s21, s21, s23
	v_add_co_u32 v0, vcc_lo, s20, v2
	v_add_co_ci_u32_e32 v1, vcc_lo, s21, v3, vcc_lo
	v_add_co_u32 v4, vcc_lo, s28, v2
	v_add_co_ci_u32_e32 v5, vcc_lo, s29, v3, vcc_lo
	s_delay_alu instid0(VALU_DEP_4) | instskip(NEXT) | instid1(VALU_DEP_4)
	v_add_co_u32 v152, vcc_lo, v16, v0
	v_add_co_ci_u32_e32 v153, vcc_lo, v17, v1, vcc_lo
	s_delay_alu instid0(VALU_DEP_4)
	v_add_co_u32 v154, vcc_lo, v16, v4
	s_add_u32 s18, s20, s18
	v_add_co_ci_u32_e32 v155, vcc_lo, v17, v5, vcc_lo
	s_addc_u32 s19, s21, s19
	v_add_co_u32 v0, vcc_lo, s18, v2
	s_add_u32 s10, s28, s10
	v_add_co_ci_u32_e32 v1, vcc_lo, s19, v3, vcc_lo
	s_addc_u32 s11, s29, s11
	v_add_co_u32 v4, vcc_lo, s10, v2
	v_add_co_ci_u32_e32 v5, vcc_lo, s11, v3, vcc_lo
	v_add_co_u32 v156, vcc_lo, v16, v0
	v_add_co_ci_u32_e32 v157, vcc_lo, v17, v1, vcc_lo
	s_delay_alu instid0(VALU_DEP_4)
	v_add_co_u32 v158, vcc_lo, v16, v4
	s_add_u32 s10, s20, s16
	v_add_co_ci_u32_e32 v159, vcc_lo, v17, v5, vcc_lo
	s_addc_u32 s11, s21, s17
	v_add_co_u32 v0, vcc_lo, s10, v2
	s_add_u32 s1, s1, s12
	v_add_co_ci_u32_e32 v1, vcc_lo, s11, v3, vcc_lo
	s_addc_u32 s5, s5, s13
	v_add_co_u32 v2, vcc_lo, s1, v2
	v_add_co_ci_u32_e32 v3, vcc_lo, s5, v3, vcc_lo
	v_add_co_u32 v160, vcc_lo, v16, v0
	v_add_co_ci_u32_e32 v161, vcc_lo, v17, v1, vcc_lo
	s_delay_alu instid0(VALU_DEP_4)
	v_add_co_u32 v162, vcc_lo, v16, v2
	v_add_nc_u32_e32 v100, 0x2180, v96
	v_add_nc_u32_e32 v101, 0x2380, v96
	v_cmp_gt_u32_e64 s0, 64, v22
	v_or_b32_e32 v105, 1, v97
	v_or_b32_e32 v106, 2, v97
	;; [unrolled: 1-line block ×3, first 2 shown]
	v_lshl_add_u32 v108, v95, 5, 0x2180
	v_mad_u32_u24 v109, 0x860, v95, v96
	v_add_nc_u32_e32 v110, 16, v97
	v_add_nc_u32_e32 v111, 17, v97
	;; [unrolled: 1-line block ×12, first 2 shown]
	v_add_co_ci_u32_e32 v163, vcc_lo, v17, v3, vcc_lo
	v_add_nc_u32_e32 v164, v104, v6
	s_cmp_eq_u32 s24, s14
	s_cselect_b32 s10, s26, 0
	s_and_saveexec_b32 s1, s2
	s_cbranch_execz .LBB34_138
.LBB34_134:
	v_cmp_le_i32_e32 vcc_lo, s10, v25
	s_cmp_lg_u32 s10, 0
	s_cselect_b32 s5, -1, 0
	s_delay_alu instid0(SALU_CYCLE_1) | instskip(NEXT) | instid1(SALU_CYCLE_1)
	s_and_b32 s5, s5, vcc_lo
	s_and_saveexec_b32 s11, s5
	s_delay_alu instid0(SALU_CYCLE_1)
	s_xor_b32 s5, exec_lo, s11
	s_cbranch_execz .LBB34_136
; %bb.135:
	v_mov_b32_e32 v31, v30
	ds_store_b64 v100, v[30:31]
.LBB34_136:
	s_and_not1_saveexec_b32 s5, s5
	s_cbranch_execz .LBB34_138
; %bb.137:
	s_ashr_i32 s5, s4, 31
	s_delay_alu instid0(SALU_CYCLE_1) | instskip(NEXT) | instid1(SALU_CYCLE_1)
	s_lshl_b64 s[12:13], s[4:5], 3
	v_add_co_u32 v0, vcc_lo, v98, s12
	v_add_co_ci_u32_e32 v1, vcc_lo, s13, v99, vcc_lo
	flat_load_b64 v[0:1], v[0:1]
	s_waitcnt vmcnt(0) lgkmcnt(0)
	ds_store_b64 v100, v[0:1]
.LBB34_138:                             ; =>This Inner Loop Header: Depth=1
	s_or_b32 exec_lo, exec_lo, s1
	s_cmp_eq_u32 s10, 0
	v_add_co_u32 v0, vcc_lo, v132, v122
	s_cselect_b32 s5, -1, 0
	s_cmp_lg_u32 s10, 0
	v_add_co_ci_u32_e32 v1, vcc_lo, v133, v123, vcc_lo
	s_cselect_b32 s1, -1, 0
	s_waitcnt lgkmcnt(0)
	s_and_b32 vcc_lo, exec_lo, s1
	s_barrier
	buffer_gl0_inv
	s_cbranch_vccz .LBB34_146
; %bb.139:                              ;   in Loop: Header=BB34_138 Depth=1
	v_dual_mov_b32 v33, 0 :: v_dual_mov_b32 v32, 0
	v_mov_b32_e32 v31, 0
	s_mov_b32 s11, exec_lo
	v_cmpx_gt_i32_e64 s10, v97
	s_cbranch_execz .LBB34_141
; %bb.140:                              ;   in Loop: Header=BB34_138 Depth=1
	flat_load_b64 v[31:32], v[0:1]
.LBB34_141:                             ;   in Loop: Header=BB34_138 Depth=1
	s_or_b32 exec_lo, exec_lo, s11
	v_mov_b32_e32 v34, 0
	s_mov_b32 s11, exec_lo
	v_cmpx_gt_i32_e64 s10, v105
	s_cbranch_execz .LBB34_143
; %bb.142:                              ;   in Loop: Header=BB34_138 Depth=1
	v_add_co_u32 v2, vcc_lo, v128, v122
	v_add_co_ci_u32_e32 v3, vcc_lo, v129, v123, vcc_lo
	flat_load_b64 v[33:34], v[2:3]
.LBB34_143:                             ;   in Loop: Header=BB34_138 Depth=1
	s_or_b32 exec_lo, exec_lo, s11
	v_dual_mov_b32 v35, 0 :: v_dual_mov_b32 v36, 0
	s_mov_b32 s13, 0
	s_mov_b32 s11, exec_lo
	v_cmpx_gt_i32_e64 s10, v106
	s_cbranch_execz .LBB34_145
; %bb.144:                              ;   in Loop: Header=BB34_138 Depth=1
	v_add_co_u32 v2, vcc_lo, v136, v122
	v_add_co_ci_u32_e32 v3, vcc_lo, v137, v123, vcc_lo
	flat_load_b64 v[35:36], v[2:3]
.LBB34_145:                             ;   in Loop: Header=BB34_138 Depth=1
	s_or_b32 exec_lo, exec_lo, s11
	v_cmp_gt_i32_e64 s11, s10, v107
	s_mov_b32 s12, 0
	s_and_b32 vcc_lo, exec_lo, s13
	s_cbranch_vccnz .LBB34_147
	s_branch .LBB34_148
.LBB34_146:                             ;   in Loop: Header=BB34_138 Depth=1
	s_mov_b32 s11, 0
                                        ; implicit-def: $vgpr32
                                        ; implicit-def: $vgpr34
                                        ; implicit-def: $vgpr36
                                        ; implicit-def: $sgpr12
	s_cbranch_execz .LBB34_148
.LBB34_147:                             ;   in Loop: Header=BB34_138 Depth=1
	v_add_co_u32 v2, vcc_lo, v128, v122
	v_add_co_ci_u32_e32 v3, vcc_lo, v129, v123, vcc_lo
	v_add_co_u32 v4, vcc_lo, v124, v122
	v_add_co_ci_u32_e32 v5, vcc_lo, v125, v123, vcc_lo
	s_waitcnt vmcnt(0) lgkmcnt(0)
	flat_load_b64 v[31:32], v[0:1]
	flat_load_b64 v[33:34], v[2:3]
	;; [unrolled: 1-line block ×3, first 2 shown]
	s_or_b32 s11, s11, exec_lo
                                        ; implicit-def: $sgpr12
.LBB34_148:                             ;   in Loop: Header=BB34_138 Depth=1
	v_dual_mov_b32 v37, s12 :: v_dual_mov_b32 v38, s12
	s_and_saveexec_b32 s12, s11
	s_cbranch_execz .LBB34_150
; %bb.149:                              ;   in Loop: Header=BB34_138 Depth=1
	v_add_co_u32 v0, vcc_lo, v140, v122
	v_add_co_ci_u32_e32 v1, vcc_lo, v141, v123, vcc_lo
	flat_load_b64 v[37:38], v[0:1]
.LBB34_150:                             ;   in Loop: Header=BB34_138 Depth=1
	s_or_b32 exec_lo, exec_lo, s12
	ds_load_b64 v[0:1], v101
	ds_load_b64 v[39:40], v108
	v_cndmask_b32_e64 v29, 0, 1, s1
	s_waitcnt vmcnt(0) lgkmcnt(1)
	v_dual_mul_f32 v2, v32, v1 :: v_dual_mul_f32 v5, v34, v0
	v_dual_mul_f32 v3, v32, v0 :: v_dual_mul_f32 v4, v34, v1
	;; [unrolled: 1-line block ×4, first 2 shown]
	s_delay_alu instid0(VALU_DEP_4) | instskip(NEXT) | instid1(VALU_DEP_4)
	v_fmac_f32_e32 v2, v31, v0
	v_fma_f32 v3, v31, v1, -v3
	v_fmac_f32_e32 v4, v33, v0
	v_fma_f32 v5, v33, v1, -v5
	;; [unrolled: 2-line block ×4, first 2 shown]
	ds_store_b64 v109, v[2:3]
	ds_load_b64 v[45:46], v108 offset:8
	ds_store_b64 v109, v[4:5] offset:536
	ds_load_b64 v[43:44], v108 offset:16
	ds_store_b64 v109, v[6:7] offset:1072
	;; [unrolled: 2-line block ×3, first 2 shown]
	s_waitcnt lgkmcnt(0)
	s_barrier
	buffer_gl0_inv
	ds_load_2addr_b64 v[4:7], v104 offset1:1
	ds_load_2addr_b64 v[0:3], v104 offset0:2 offset1:3
	v_add_co_u32 v8, vcc_lo, v152, v122
	v_add_co_ci_u32_e32 v9, vcc_lo, v153, v123, vcc_lo
	s_and_not1_b32 vcc_lo, exec_lo, s1
	s_waitcnt lgkmcnt(0)
	s_barrier
	buffer_gl0_inv
	s_cbranch_vccnz .LBB34_158
; %bb.151:                              ;   in Loop: Header=BB34_138 Depth=1
	v_dual_mov_b32 v47, 0 :: v_dual_mov_b32 v50, 0
	v_mov_b32_e32 v49, 0
	s_mov_b32 s1, exec_lo
	v_cmpx_gt_i32_e64 s10, v110
	s_cbranch_execz .LBB34_153
; %bb.152:                              ;   in Loop: Header=BB34_138 Depth=1
	flat_load_b64 v[49:50], v[8:9]
.LBB34_153:                             ;   in Loop: Header=BB34_138 Depth=1
	s_or_b32 exec_lo, exec_lo, s1
	v_mov_b32_e32 v48, 0
	s_mov_b32 s1, exec_lo
	v_cmpx_gt_i32_e64 s10, v111
	s_cbranch_execz .LBB34_155
; %bb.154:                              ;   in Loop: Header=BB34_138 Depth=1
	v_add_co_u32 v10, vcc_lo, v148, v122
	v_add_co_ci_u32_e32 v11, vcc_lo, v149, v123, vcc_lo
	flat_load_b64 v[47:48], v[10:11]
.LBB34_155:                             ;   in Loop: Header=BB34_138 Depth=1
	s_or_b32 exec_lo, exec_lo, s1
	v_dual_mov_b32 v51, 0 :: v_dual_mov_b32 v52, 0
	s_mov_b32 s12, 0
	s_mov_b32 s1, exec_lo
	v_cmpx_gt_i32_e64 s10, v112
	s_cbranch_execz .LBB34_157
; %bb.156:                              ;   in Loop: Header=BB34_138 Depth=1
	v_add_co_u32 v10, vcc_lo, v156, v122
	v_add_co_ci_u32_e32 v11, vcc_lo, v157, v123, vcc_lo
	flat_load_b64 v[51:52], v[10:11]
.LBB34_157:                             ;   in Loop: Header=BB34_138 Depth=1
	s_or_b32 exec_lo, exec_lo, s1
	v_cmp_gt_i32_e64 s1, s10, v113
	s_mov_b32 s11, 0
	s_and_b32 vcc_lo, exec_lo, s12
	s_cbranch_vccnz .LBB34_159
	s_branch .LBB34_160
.LBB34_158:                             ;   in Loop: Header=BB34_138 Depth=1
	s_mov_b32 s1, 0
                                        ; implicit-def: $vgpr50
                                        ; implicit-def: $vgpr48
                                        ; implicit-def: $vgpr52
                                        ; implicit-def: $sgpr11
	s_cbranch_execz .LBB34_160
.LBB34_159:                             ;   in Loop: Header=BB34_138 Depth=1
	v_add_co_u32 v10, vcc_lo, v148, v122
	v_add_co_ci_u32_e32 v11, vcc_lo, v149, v123, vcc_lo
	v_add_co_u32 v12, vcc_lo, v142, v122
	v_add_co_ci_u32_e32 v13, vcc_lo, v143, v123, vcc_lo
	s_waitcnt vmcnt(0) lgkmcnt(0)
	flat_load_b64 v[49:50], v[8:9]
	flat_load_b64 v[47:48], v[10:11]
	;; [unrolled: 1-line block ×3, first 2 shown]
	s_or_b32 s1, s1, exec_lo
                                        ; implicit-def: $sgpr11
.LBB34_160:                             ;   in Loop: Header=BB34_138 Depth=1
	v_dual_mov_b32 v53, s11 :: v_dual_mov_b32 v54, s11
	s_and_saveexec_b32 s11, s1
	s_cbranch_execz .LBB34_162
; %bb.161:                              ;   in Loop: Header=BB34_138 Depth=1
	v_add_co_u32 v8, vcc_lo, v160, v122
	v_add_co_ci_u32_e32 v9, vcc_lo, v161, v123, vcc_lo
	flat_load_b64 v[53:54], v[8:9]
.LBB34_162:                             ;   in Loop: Header=BB34_138 Depth=1
	s_or_b32 exec_lo, exec_lo, s11
	ds_load_b64 v[8:9], v101
	ds_load_b64 v[55:56], v108 offset:128
	v_cmp_ne_u32_e32 vcc_lo, 1, v29
	s_and_b32 vcc_lo, exec_lo, vcc_lo
	s_waitcnt vmcnt(0) lgkmcnt(1)
	v_dual_mul_f32 v10, v50, v9 :: v_dual_mul_f32 v13, v48, v8
	v_dual_mul_f32 v11, v50, v8 :: v_dual_mul_f32 v12, v48, v9
	;; [unrolled: 1-line block ×4, first 2 shown]
	s_delay_alu instid0(VALU_DEP_4) | instskip(NEXT) | instid1(VALU_DEP_4)
	v_fmac_f32_e32 v10, v49, v8
	v_fma_f32 v11, v49, v9, -v11
	v_fmac_f32_e32 v12, v47, v8
	v_fma_f32 v13, v47, v9, -v13
	;; [unrolled: 2-line block ×4, first 2 shown]
	ds_store_b64 v109, v[10:11]
	ds_load_b64 v[61:62], v108 offset:136
	ds_store_b64 v109, v[12:13] offset:536
	ds_load_b64 v[59:60], v108 offset:144
	ds_store_b64 v109, v[14:15] offset:1072
	;; [unrolled: 2-line block ×3, first 2 shown]
	s_waitcnt lgkmcnt(0)
	s_barrier
	buffer_gl0_inv
	ds_load_2addr_b64 v[12:15], v104 offset1:1
	ds_load_2addr_b64 v[8:11], v104 offset0:2 offset1:3
	v_add_co_u32 v16, s1, v154, v122
	s_delay_alu instid0(VALU_DEP_1)
	v_add_co_ci_u32_e64 v17, s1, v155, v123, s1
	s_waitcnt lgkmcnt(0)
	s_barrier
	buffer_gl0_inv
	s_cbranch_vccnz .LBB34_170
; %bb.163:                              ;   in Loop: Header=BB34_138 Depth=1
	v_dual_mov_b32 v63, 0 :: v_dual_mov_b32 v66, 0
	v_mov_b32_e32 v65, 0
	s_mov_b32 s1, exec_lo
	v_cmpx_gt_i32_e64 s10, v114
	s_cbranch_execz .LBB34_165
; %bb.164:                              ;   in Loop: Header=BB34_138 Depth=1
	flat_load_b64 v[65:66], v[16:17]
.LBB34_165:                             ;   in Loop: Header=BB34_138 Depth=1
	s_or_b32 exec_lo, exec_lo, s1
	v_mov_b32_e32 v64, 0
	s_mov_b32 s1, exec_lo
	v_cmpx_gt_i32_e64 s10, v115
	s_cbranch_execz .LBB34_167
; %bb.166:                              ;   in Loop: Header=BB34_138 Depth=1
	v_add_co_u32 v18, vcc_lo, v158, v122
	v_add_co_ci_u32_e32 v19, vcc_lo, v159, v123, vcc_lo
	flat_load_b64 v[63:64], v[18:19]
.LBB34_167:                             ;   in Loop: Header=BB34_138 Depth=1
	s_or_b32 exec_lo, exec_lo, s1
	v_dual_mov_b32 v67, 0 :: v_dual_mov_b32 v68, 0
	s_mov_b32 s12, 0
	s_mov_b32 s1, exec_lo
	v_cmpx_gt_i32_e64 s10, v116
	s_cbranch_execz .LBB34_169
; %bb.168:                              ;   in Loop: Header=BB34_138 Depth=1
	v_add_co_u32 v18, vcc_lo, v150, v122
	v_add_co_ci_u32_e32 v19, vcc_lo, v151, v123, vcc_lo
	flat_load_b64 v[67:68], v[18:19]
.LBB34_169:                             ;   in Loop: Header=BB34_138 Depth=1
	s_or_b32 exec_lo, exec_lo, s1
	v_cmp_gt_i32_e64 s1, s10, v117
	s_mov_b32 s11, 0
	s_and_b32 vcc_lo, exec_lo, s12
	s_cbranch_vccnz .LBB34_171
	s_branch .LBB34_172
.LBB34_170:                             ;   in Loop: Header=BB34_138 Depth=1
	s_mov_b32 s1, 0
                                        ; implicit-def: $vgpr66
                                        ; implicit-def: $vgpr64
                                        ; implicit-def: $vgpr68
                                        ; implicit-def: $sgpr11
	s_cbranch_execz .LBB34_172
.LBB34_171:                             ;   in Loop: Header=BB34_138 Depth=1
	v_add_co_u32 v18, vcc_lo, v158, v122
	v_add_co_ci_u32_e32 v19, vcc_lo, v159, v123, vcc_lo
	v_add_co_u32 v20, vcc_lo, v162, v122
	v_add_co_ci_u32_e32 v21, vcc_lo, v163, v123, vcc_lo
	s_waitcnt vmcnt(0) lgkmcnt(0)
	flat_load_b64 v[65:66], v[16:17]
	flat_load_b64 v[63:64], v[18:19]
	;; [unrolled: 1-line block ×3, first 2 shown]
	s_or_b32 s1, s1, exec_lo
                                        ; implicit-def: $sgpr11
.LBB34_172:                             ;   in Loop: Header=BB34_138 Depth=1
	v_dual_mov_b32 v69, s11 :: v_dual_mov_b32 v70, s11
	s_and_saveexec_b32 s11, s1
	s_cbranch_execz .LBB34_174
; %bb.173:                              ;   in Loop: Header=BB34_138 Depth=1
	v_add_co_u32 v16, vcc_lo, v146, v122
	v_add_co_ci_u32_e32 v17, vcc_lo, v147, v123, vcc_lo
	flat_load_b64 v[69:70], v[16:17]
.LBB34_174:                             ;   in Loop: Header=BB34_138 Depth=1
	s_or_b32 exec_lo, exec_lo, s11
	ds_load_b64 v[16:17], v101
	ds_load_b64 v[71:72], v108 offset:256
	v_cmp_ne_u32_e32 vcc_lo, 1, v29
	v_add_co_u32 v85, s1, v134, v122
	s_delay_alu instid0(VALU_DEP_1)
	v_add_co_ci_u32_e64 v86, s1, v135, v123, s1
	s_and_b32 vcc_lo, exec_lo, vcc_lo
	s_waitcnt vmcnt(0) lgkmcnt(1)
	v_dual_mul_f32 v18, v66, v17 :: v_dual_mul_f32 v21, v64, v16
	v_dual_mul_f32 v19, v66, v16 :: v_dual_mul_f32 v20, v64, v17
	;; [unrolled: 1-line block ×3, first 2 shown]
	v_mul_f32_e32 v23, v68, v16
	s_delay_alu instid0(VALU_DEP_4) | instskip(NEXT) | instid1(VALU_DEP_4)
	v_dual_mul_f32 v79, v70, v17 :: v_dual_fmac_f32 v18, v65, v16
	v_fma_f32 v19, v65, v17, -v19
	v_fmac_f32_e32 v20, v63, v16
	v_fma_f32 v21, v63, v17, -v21
	v_fmac_f32_e32 v22, v67, v16
	;; [unrolled: 2-line block ×3, first 2 shown]
	v_fma_f32 v80, v69, v17, -v73
	ds_store_b64 v109, v[18:19]
	ds_load_b64 v[77:78], v108 offset:264
	ds_store_b64 v109, v[20:21] offset:536
	ds_load_b64 v[75:76], v108 offset:272
	ds_store_b64 v109, v[22:23] offset:1072
	;; [unrolled: 2-line block ×3, first 2 shown]
	s_waitcnt lgkmcnt(0)
	s_barrier
	buffer_gl0_inv
	ds_load_2addr_b64 v[20:23], v104 offset1:1
	ds_load_2addr_b64 v[16:19], v104 offset0:2 offset1:3
	s_waitcnt lgkmcnt(0)
	s_barrier
	buffer_gl0_inv
	s_cbranch_vccnz .LBB34_182
; %bb.175:                              ;   in Loop: Header=BB34_138 Depth=1
	v_dual_mov_b32 v81, 0 :: v_dual_mov_b32 v80, 0
	v_mov_b32_e32 v79, 0
	s_mov_b32 s1, exec_lo
	v_cmpx_gt_i32_e64 s10, v118
	s_cbranch_execz .LBB34_177
; %bb.176:                              ;   in Loop: Header=BB34_138 Depth=1
	flat_load_b64 v[79:80], v[85:86]
.LBB34_177:                             ;   in Loop: Header=BB34_138 Depth=1
	s_or_b32 exec_lo, exec_lo, s1
	v_mov_b32_e32 v82, 0
	s_mov_b32 s1, exec_lo
	v_cmpx_gt_i32_e64 s10, v119
	s_cbranch_execz .LBB34_179
; %bb.178:                              ;   in Loop: Header=BB34_138 Depth=1
	v_add_co_u32 v81, vcc_lo, v138, v122
	v_add_co_ci_u32_e32 v82, vcc_lo, v139, v123, vcc_lo
	flat_load_b64 v[81:82], v[81:82]
.LBB34_179:                             ;   in Loop: Header=BB34_138 Depth=1
	s_or_b32 exec_lo, exec_lo, s1
	v_dual_mov_b32 v83, 0 :: v_dual_mov_b32 v84, 0
	s_mov_b32 s12, 0
	s_mov_b32 s1, exec_lo
	v_cmpx_gt_i32_e64 s10, v120
	s_cbranch_execz .LBB34_181
; %bb.180:                              ;   in Loop: Header=BB34_138 Depth=1
	v_add_co_u32 v83, vcc_lo, v130, v122
	v_add_co_ci_u32_e32 v84, vcc_lo, v131, v123, vcc_lo
	flat_load_b64 v[83:84], v[83:84]
.LBB34_181:                             ;   in Loop: Header=BB34_138 Depth=1
	s_or_b32 exec_lo, exec_lo, s1
	v_cmp_gt_i32_e64 s1, s10, v121
	s_mov_b32 s11, 0
	s_and_b32 vcc_lo, exec_lo, s12
	s_cbranch_vccnz .LBB34_183
	s_branch .LBB34_184
.LBB34_182:                             ;   in Loop: Header=BB34_138 Depth=1
	s_mov_b32 s1, 0
                                        ; implicit-def: $vgpr80
                                        ; implicit-def: $vgpr82
                                        ; implicit-def: $vgpr84
                                        ; implicit-def: $sgpr11
	s_cbranch_execz .LBB34_184
.LBB34_183:                             ;   in Loop: Header=BB34_138 Depth=1
	s_waitcnt vmcnt(0) lgkmcnt(0)
	v_add_co_u32 v81, vcc_lo, v138, v122
	v_add_co_ci_u32_e32 v82, vcc_lo, v139, v123, vcc_lo
	v_add_co_u32 v83, vcc_lo, v144, v122
	v_add_co_ci_u32_e32 v84, vcc_lo, v145, v123, vcc_lo
	flat_load_b64 v[79:80], v[85:86]
	flat_load_b64 v[81:82], v[81:82]
	;; [unrolled: 1-line block ×3, first 2 shown]
	s_or_b32 s1, s1, exec_lo
                                        ; implicit-def: $sgpr11
.LBB34_184:                             ;   in Loop: Header=BB34_138 Depth=1
	v_dual_mov_b32 v85, s11 :: v_dual_mov_b32 v86, s11
	s_and_saveexec_b32 s11, s1
	s_cbranch_execz .LBB34_186
; %bb.185:                              ;   in Loop: Header=BB34_138 Depth=1
	v_add_co_u32 v85, vcc_lo, v126, v122
	v_add_co_ci_u32_e32 v86, vcc_lo, v127, v123, vcc_lo
	flat_load_b64 v[85:86], v[85:86]
.LBB34_186:                             ;   in Loop: Header=BB34_138 Depth=1
	s_or_b32 exec_lo, exec_lo, s11
	ds_load_b64 v[89:90], v101
	ds_load_b64 v[87:88], v108 offset:384
	v_cmp_gt_i32_e32 vcc_lo, s10, v25
	v_add_f32_e32 v20, 0, v20
	v_add_f32_e32 v12, 0, v12
	;; [unrolled: 1-line block ×3, first 2 shown]
	s_or_b32 s1, s5, vcc_lo
	s_delay_alu instid0(SALU_CYCLE_1) | instskip(NEXT) | instid1(VALU_DEP_2)
	s_and_b32 s5, s0, s1
	v_add_f32_e32 v12, v12, v14
	s_delay_alu instid0(VALU_DEP_2) | instskip(NEXT) | instid1(VALU_DEP_2)
	v_add_f32_e32 v4, v4, v6
	v_dual_add_f32 v8, v12, v8 :: v_dual_add_f32 v5, 0, v5
	s_waitcnt vmcnt(0) lgkmcnt(1)
	v_mul_f32_e32 v29, v80, v89
	v_dual_mul_f32 v91, v80, v90 :: v_dual_mul_f32 v170, v86, v89
	v_dual_mul_f32 v165, v82, v90 :: v_dual_mul_f32 v94, v84, v89
	v_mul_f32_e32 v93, v82, v89
	v_mul_f32_e32 v167, v84, v90
	v_fma_f32 v92, v79, v90, -v29
	v_add_f32_e32 v29, v20, v22
	v_mul_f32_e32 v169, v86, v90
	v_fmac_f32_e32 v91, v79, v89
	v_fmac_f32_e32 v165, v81, v89
	v_fma_f32 v166, v81, v90, -v93
	v_fmac_f32_e32 v167, v83, v89
	v_fma_f32 v168, v83, v90, -v94
	v_fma_f32 v170, v85, v90, -v170
	v_add_f32_e32 v6, v29, v16
	v_fmac_f32_e32 v169, v85, v89
	ds_store_b64 v109, v[91:92]
	ds_load_b64 v[93:94], v108 offset:392
	ds_store_b64 v109, v[165:166] offset:536
	ds_load_b64 v[91:92], v108 offset:400
	ds_store_b64 v109, v[167:168] offset:1072
	;; [unrolled: 2-line block ×3, first 2 shown]
	s_waitcnt lgkmcnt(0)
	s_barrier
	buffer_gl0_inv
	ds_load_2addr_b64 v[165:168], v104 offset1:1
	v_add_f32_e32 v21, 0, v21
	v_add_f32_e32 v13, 0, v13
	s_delay_alu instid0(VALU_DEP_2)
	v_add_f32_e32 v169, v21, v23
	ds_load_2addr_b64 v[20:23], v104 offset0:2 offset1:3
	v_add_f32_e32 v13, v13, v15
	s_waitcnt lgkmcnt(0)
	s_barrier
	buffer_gl0_inv
	v_add_f32_e32 v9, v13, v9
	v_add_f32_e32 v13, v4, v0
	v_dual_add_f32 v4, v8, v10 :: v_dual_add_f32 v5, v5, v7
	v_add_f32_e32 v0, v6, v18
	s_delay_alu instid0(VALU_DEP_3) | instskip(SKIP_1) | instid1(VALU_DEP_4)
	v_add_f32_e32 v2, v13, v2
	v_add_f32_e32 v12, 0, v165
	v_dual_add_f32 v14, 0, v166 :: v_dual_add_f32 v15, v5, v1
	s_delay_alu instid0(VALU_DEP_1) | instskip(NEXT) | instid1(VALU_DEP_1)
	v_dual_add_f32 v5, v12, v167 :: v_dual_add_f32 v12, v14, v168
	v_dual_add_f32 v3, v15, v3 :: v_dual_add_f32 v6, v5, v20
	s_delay_alu instid0(VALU_DEP_1) | instskip(SKIP_1) | instid1(VALU_DEP_1)
	v_dual_add_f32 v5, v9, v11 :: v_dual_add_f32 v6, v6, v22
	v_add_f32_e32 v7, v169, v17
	v_add_f32_e32 v1, v7, v19
	;; [unrolled: 1-line block ×3, first 2 shown]
	s_delay_alu instid0(VALU_DEP_1)
	v_add_f32_e32 v7, v7, v23
	ds_store_2addr_b64 v164, v[2:3], v[4:5] offset1:16
	ds_store_2addr_b64 v164, v[0:1], v[6:7] offset0:32 offset1:48
	s_waitcnt lgkmcnt(0)
	s_barrier
	buffer_gl0_inv
	s_and_saveexec_b32 s1, s5
	s_cbranch_execz .LBB34_188
; %bb.187:                              ;   in Loop: Header=BB34_138 Depth=1
	ds_load_b64 v[11:12], v102
	ds_load_2addr_b64 v[0:3], v102 offset0:1 offset1:2
	ds_load_2addr_b64 v[4:7], v102 offset0:3 offset1:4
	v_ashrrev_i32_e32 v29, 31, v28
	s_waitcnt lgkmcnt(1)
	v_dual_add_f32 v0, v0, v11 :: v_dual_add_f32 v1, v1, v12
	ds_load_2addr_b64 v[8:11], v102 offset0:5 offset1:6
	v_add_f32_e32 v0, v0, v2
	v_add_f32_e32 v12, v1, v3
	s_waitcnt lgkmcnt(1)
	s_delay_alu instid0(VALU_DEP_2) | instskip(SKIP_3) | instid1(VALU_DEP_2)
	v_add_f32_e32 v4, v0, v4
	ds_load_2addr_b64 v[0:3], v102 offset0:7 offset1:8
	v_add_f32_e32 v5, v12, v5
	v_add_f32_e32 v4, v4, v6
	;; [unrolled: 1-line block ×3, first 2 shown]
	s_waitcnt lgkmcnt(1)
	s_delay_alu instid0(VALU_DEP_2) | instskip(SKIP_3) | instid1(VALU_DEP_2)
	v_add_f32_e32 v8, v4, v8
	ds_load_2addr_b64 v[4:7], v102 offset0:9 offset1:10
	v_add_f32_e32 v9, v12, v9
	v_add_f32_e32 v8, v8, v10
	v_add_f32_e32 v12, v9, v11
	s_waitcnt lgkmcnt(1)
	s_delay_alu instid0(VALU_DEP_2) | instskip(SKIP_4) | instid1(VALU_DEP_1)
	v_add_f32_e32 v0, v8, v0
	ds_load_2addr_b64 v[8:11], v102 offset0:11 offset1:12
	v_add_f32_e32 v1, v12, v1
	v_add_f32_e32 v12, v0, v2
	s_waitcnt lgkmcnt(1)
	v_add_f32_e32 v4, v12, v4
	s_delay_alu instid0(VALU_DEP_1) | instskip(SKIP_1) | instid1(VALU_DEP_1)
	v_add_f32_e32 v6, v4, v6
	s_waitcnt lgkmcnt(0)
	v_add_f32_e32 v6, v6, v8
	s_delay_alu instid0(VALU_DEP_1) | instskip(SKIP_2) | instid1(VALU_DEP_1)
	v_dual_add_f32 v6, v6, v10 :: v_dual_add_f32 v13, v1, v3
	ds_load_2addr_b64 v[0:3], v102 offset0:13 offset1:14
	v_add_f32_e32 v5, v13, v5
	v_add_f32_e32 v7, v5, v7
	ds_load_b64 v[4:5], v103
	v_add_f32_e32 v7, v7, v9
	s_waitcnt lgkmcnt(1)
	s_delay_alu instid0(VALU_DEP_1) | instskip(NEXT) | instid1(VALU_DEP_1)
	v_dual_add_f32 v7, v7, v11 :: v_dual_add_f32 v0, v6, v0
	v_dual_add_f32 v1, v7, v1 :: v_dual_add_f32 v2, v0, v2
	s_delay_alu instid0(VALU_DEP_1) | instskip(SKIP_2) | instid1(VALU_DEP_2)
	v_add_f32_e32 v3, v1, v3
	v_lshlrev_b64 v[0:1], 3, v[28:29]
	s_waitcnt lgkmcnt(0)
	v_dual_add_f32 v2, v2, v4 :: v_dual_add_f32 v3, v3, v5
	s_delay_alu instid0(VALU_DEP_2) | instskip(NEXT) | instid1(VALU_DEP_3)
	v_add_co_u32 v0, vcc_lo, s3, v0
	v_add_co_ci_u32_e32 v1, vcc_lo, s9, v1, vcc_lo
	global_store_b64 v[0:1], v[2:3], off
.LBB34_188:                             ;   in Loop: Header=BB34_138 Depth=1
	s_or_b32 exec_lo, exec_lo, s1
	v_dual_mul_f32 v0, v32, v40 :: v_dual_mul_f32 v3, v33, v46
	v_dual_mul_f32 v1, v31, v40 :: v_dual_mul_f32 v2, v34, v46
	;; [unrolled: 1-line block ×3, first 2 shown]
	s_delay_alu instid0(VALU_DEP_3) | instskip(SKIP_1) | instid1(VALU_DEP_4)
	v_fma_f32 v0, v31, v39, -v0
	v_dual_mul_f32 v5, v35, v44 :: v_dual_mul_f32 v6, v38, v42
	v_fma_f32 v2, v33, v45, -v2
	s_delay_alu instid0(VALU_DEP_3) | instskip(SKIP_2) | instid1(VALU_DEP_3)
	v_dual_fmac_f32 v1, v32, v39 :: v_dual_add_f32 v0, v26, v0
	v_mul_f32_e32 v9, v49, v56
	v_fma_f32 v4, v35, v43, -v4
	v_dual_mul_f32 v8, v50, v56 :: v_dual_add_f32 v1, v27, v1
	s_delay_alu instid0(VALU_DEP_4) | instskip(SKIP_3) | instid1(VALU_DEP_4)
	v_add_f32_e32 v0, v0, v2
	v_dual_mul_f32 v2, v48, v62 :: v_dual_fmac_f32 v3, v34, v45
	v_fma_f32 v6, v37, v41, -v6
	v_fmac_f32_e32 v5, v36, v43
	v_add_f32_e32 v0, v0, v4
	s_delay_alu instid0(VALU_DEP_4) | instskip(SKIP_1) | instid1(VALU_DEP_3)
	v_dual_mul_f32 v4, v47, v62 :: v_dual_add_f32 v1, v1, v3
	v_fma_f32 v3, v49, v55, -v8
	v_dual_fmac_f32 v7, v38, v41 :: v_dual_add_f32 v0, v0, v6
	s_delay_alu instid0(VALU_DEP_3) | instskip(SKIP_2) | instid1(VALU_DEP_4)
	v_dual_mul_f32 v6, v52, v60 :: v_dual_add_f32 v1, v1, v5
	v_fma_f32 v2, v47, v61, -v2
	v_fmac_f32_e32 v4, v48, v61
	v_dual_add_f32 v0, v0, v3 :: v_dual_mul_f32 v3, v54, v58
	v_fmac_f32_e32 v9, v50, v55
	v_add_f32_e32 v1, v1, v7
	v_fma_f32 v5, v51, v59, -v6
	s_delay_alu instid0(VALU_DEP_4) | instskip(SKIP_4) | instid1(VALU_DEP_4)
	v_add_f32_e32 v0, v0, v2
	v_mul_f32_e32 v2, v51, v60
	v_fma_f32 v3, v53, v57, -v3
	v_add_f32_e32 v1, v1, v9
	v_add_co_u32 v124, vcc_lo, v124, s6
	v_fmac_f32_e32 v2, v52, v59
	v_dual_add_f32 v0, v0, v5 :: v_dual_mul_f32 v5, v66, v72
	s_delay_alu instid0(VALU_DEP_4) | instskip(SKIP_2) | instid1(VALU_DEP_3)
	v_add_f32_e32 v1, v1, v4
	v_mul_f32_e32 v4, v53, v58
	v_add_co_ci_u32_e32 v125, vcc_lo, s7, v125, vcc_lo
	v_dual_add_f32 v0, v0, v3 :: v_dual_add_f32 v1, v1, v2
	v_fma_f32 v3, v65, v71, -v5
	v_mul_f32_e32 v5, v64, v78
	v_add_co_u32 v126, vcc_lo, v126, s6
	v_add_co_ci_u32_e32 v127, vcc_lo, s7, v127, vcc_lo
	s_delay_alu instid0(VALU_DEP_4) | instskip(NEXT) | instid1(VALU_DEP_4)
	v_add_f32_e32 v0, v0, v3
	v_fma_f32 v3, v63, v77, -v5
	v_dual_mul_f32 v5, v68, v76 :: v_dual_fmac_f32 v4, v54, v57
	v_add_co_u32 v128, vcc_lo, v128, s6
	v_add_co_ci_u32_e32 v129, vcc_lo, s7, v129, vcc_lo
	s_delay_alu instid0(VALU_DEP_3)
	v_add_f32_e32 v1, v1, v4
	v_mul_f32_e32 v2, v65, v72
	v_add_f32_e32 v0, v0, v3
	v_fma_f32 v3, v67, v75, -v5
	v_mul_f32_e32 v5, v70, v74
	v_add_co_u32 v130, vcc_lo, v130, s6
	v_add_co_ci_u32_e32 v131, vcc_lo, s7, v131, vcc_lo
	v_add_co_u32 v132, vcc_lo, v132, s6
	v_add_f32_e32 v0, v0, v3
	v_fma_f32 v3, v69, v73, -v5
	v_mul_f32_e32 v5, v69, v74
	v_mul_f32_e32 v4, v63, v78
	v_add_co_ci_u32_e32 v133, vcc_lo, s7, v133, vcc_lo
	v_add_co_u32 v134, vcc_lo, v134, s6
	s_delay_alu instid0(VALU_DEP_4)
	v_fmac_f32_e32 v5, v70, v73
	v_add_co_ci_u32_e32 v135, vcc_lo, s7, v135, vcc_lo
	v_add_co_u32 v136, vcc_lo, v136, s6
	v_fmac_f32_e32 v4, v64, v77
	v_fmac_f32_e32 v2, v66, v71
	v_add_co_ci_u32_e32 v137, vcc_lo, s7, v137, vcc_lo
	v_add_co_u32 v138, vcc_lo, v138, s6
	v_add_co_ci_u32_e32 v139, vcc_lo, s7, v139, vcc_lo
	s_delay_alu instid0(VALU_DEP_4) | instskip(SKIP_3) | instid1(VALU_DEP_4)
	v_dual_add_f32 v1, v1, v2 :: v_dual_mul_f32 v2, v67, v76
	v_add_co_u32 v140, vcc_lo, v140, s6
	v_add_co_ci_u32_e32 v141, vcc_lo, s7, v141, vcc_lo
	v_add_co_u32 v142, vcc_lo, v142, s6
	v_add_f32_e32 v1, v1, v4
	v_mul_f32_e32 v4, v80, v88
	v_dual_add_f32 v0, v0, v3 :: v_dual_mul_f32 v3, v82, v94
	v_fmac_f32_e32 v2, v68, v75
	v_add_co_ci_u32_e32 v143, vcc_lo, s7, v143, vcc_lo
	v_add_co_u32 v144, vcc_lo, v144, s6
	v_add_co_ci_u32_e32 v145, vcc_lo, s7, v145, vcc_lo
	v_add_co_u32 v146, vcc_lo, v146, s6
	v_add_f32_e32 v1, v1, v2
	v_fma_f32 v2, v79, v87, -v4
	v_mul_f32_e32 v4, v79, v88
	v_add_co_ci_u32_e32 v147, vcc_lo, s7, v147, vcc_lo
	v_add_co_u32 v148, vcc_lo, v148, s6
	v_add_co_ci_u32_e32 v149, vcc_lo, s7, v149, vcc_lo
	s_delay_alu instid0(VALU_DEP_4)
	v_dual_add_f32 v1, v1, v5 :: v_dual_fmac_f32 v4, v80, v87
	v_add_f32_e32 v0, v0, v2
	v_fma_f32 v2, v81, v93, -v3
	v_mul_f32_e32 v3, v81, v94
	v_dual_mul_f32 v5, v84, v92 :: v_dual_mul_f32 v6, v85, v90
	v_add_co_u32 v150, vcc_lo, v150, s6
	v_add_co_ci_u32_e32 v151, vcc_lo, s7, v151, vcc_lo
	v_add_co_u32 v152, vcc_lo, v152, s6
	v_fmac_f32_e32 v3, v82, v93
	v_dual_add_f32 v1, v1, v4 :: v_dual_add_f32 v0, v0, v2
	v_fmac_f32_e32 v6, v86, v89
	v_mul_f32_e32 v2, v83, v92
	v_add_co_ci_u32_e32 v153, vcc_lo, s7, v153, vcc_lo
	v_add_co_u32 v154, vcc_lo, v154, s6
	v_add_co_ci_u32_e32 v155, vcc_lo, s7, v155, vcc_lo
	v_add_co_u32 v156, vcc_lo, v156, s6
	v_fma_f32 v4, v83, v91, -v5
	v_dual_mul_f32 v5, v86, v90 :: v_dual_fmac_f32 v2, v84, v91
	v_add_f32_e32 v1, v1, v3
	v_add_co_ci_u32_e32 v157, vcc_lo, s7, v157, vcc_lo
	v_add_co_u32 v158, vcc_lo, v158, s6
	v_add_co_ci_u32_e32 v159, vcc_lo, s7, v159, vcc_lo
	v_add_f32_e32 v0, v0, v4
	v_fma_f32 v3, v85, v89, -v5
	v_add_f32_e32 v1, v1, v2
	v_add_co_u32 v160, vcc_lo, v160, s6
	v_add_co_ci_u32_e32 v161, vcc_lo, s7, v161, vcc_lo
	s_delay_alu instid0(VALU_DEP_3)
	v_add_f32_e32 v27, v1, v6
	v_add_co_u32 v162, vcc_lo, v162, s6
	v_add_f32_e32 v26, v0, v3
	v_add_nc_u32_e32 v28, 64, v28
	v_add_co_ci_u32_e32 v163, vcc_lo, s7, v163, vcc_lo
	s_add_i32 s5, s14, 2
	s_add_i32 s1, s14, 1
	;; [unrolled: 1-line block ×3, first 2 shown]
	s_cmp_ge_u32 s5, s15
	s_waitcnt_vscnt null, 0x0
	s_barrier
	buffer_gl0_inv
	s_cbranch_scc1 .LBB34_190
; %bb.189:                              ;   in Loop: Header=BB34_138 Depth=1
	s_mov_b32 s14, s1
	s_delay_alu instid0(SALU_CYCLE_1)
	s_cmp_eq_u32 s24, s14
	s_cselect_b32 s10, s26, 0
	s_and_saveexec_b32 s1, s2
	s_cbranch_execnz .LBB34_134
	s_branch .LBB34_138
.LBB34_190:
	v_cmp_gt_i32_e32 vcc_lo, s8, v25
	v_mad_u32_u24 v0, 0x218, v95, v96
	s_or_b32 s0, s27, vcc_lo
	ds_store_b64 v0, v[26:27]
	s_and_b32 s0, s2, s0
	s_waitcnt lgkmcnt(0)
	s_barrier
	buffer_gl0_inv
	s_and_saveexec_b32 s1, s0
	s_cbranch_execz .LBB34_192
; %bb.191:
	ds_load_2addr_b64 v[0:3], v96 offset1:67
	ds_load_2addr_b64 v[4:7], v96 offset0:134 offset1:201
	v_ashrrev_i32_e32 v25, 31, v24
	s_waitcnt lgkmcnt(1)
	v_dual_add_f32 v0, v2, v0 :: v_dual_add_f32 v1, v3, v1
	s_waitcnt lgkmcnt(0)
	s_delay_alu instid0(VALU_DEP_1) | instskip(SKIP_1) | instid1(VALU_DEP_2)
	v_dual_add_f32 v2, v0, v4 :: v_dual_add_f32 v3, v1, v5
	v_lshlrev_b64 v[0:1], 3, v[24:25]
	v_dual_add_f32 v2, v2, v6 :: v_dual_add_f32 v3, v3, v7
	s_delay_alu instid0(VALU_DEP_2) | instskip(NEXT) | instid1(VALU_DEP_3)
	v_add_co_u32 v0, vcc_lo, s3, v0
	v_add_co_ci_u32_e32 v1, vcc_lo, s9, v1, vcc_lo
	global_store_b64 v[0:1], v[2:3], off
.LBB34_192:
	s_nop 0
	s_sendmsg sendmsg(MSG_DEALLOC_VGPRS)
	s_endpgm
	.section	.rodata,"a",@progbits
	.p2align	6, 0x0
	.amdhsa_kernel _ZL26rocblas_hemvn_kernel_upperILb1ELi64ELi4ELi33ELi32ELi16EiPK19rocblas_complex_numIfEPKS3_PS1_EviT6_lT7_lT5_lS8_lS9_lS7_lT8_i
		.amdhsa_group_segment_fixed_size 9600
		.amdhsa_private_segment_fixed_size 0
		.amdhsa_kernarg_size 376
		.amdhsa_user_sgpr_count 14
		.amdhsa_user_sgpr_dispatch_ptr 0
		.amdhsa_user_sgpr_queue_ptr 0
		.amdhsa_user_sgpr_kernarg_segment_ptr 1
		.amdhsa_user_sgpr_dispatch_id 0
		.amdhsa_user_sgpr_private_segment_size 0
		.amdhsa_wavefront_size32 1
		.amdhsa_uses_dynamic_stack 0
		.amdhsa_enable_private_segment 0
		.amdhsa_system_sgpr_workgroup_id_x 1
		.amdhsa_system_sgpr_workgroup_id_y 0
		.amdhsa_system_sgpr_workgroup_id_z 1
		.amdhsa_system_sgpr_workgroup_info 0
		.amdhsa_system_vgpr_workitem_id 1
		.amdhsa_next_free_vgpr 171
		.amdhsa_next_free_sgpr 37
		.amdhsa_reserve_vcc 1
		.amdhsa_float_round_mode_32 0
		.amdhsa_float_round_mode_16_64 0
		.amdhsa_float_denorm_mode_32 3
		.amdhsa_float_denorm_mode_16_64 3
		.amdhsa_dx10_clamp 1
		.amdhsa_ieee_mode 1
		.amdhsa_fp16_overflow 0
		.amdhsa_workgroup_processor_mode 1
		.amdhsa_memory_ordered 1
		.amdhsa_forward_progress 0
		.amdhsa_shared_vgpr_count 0
		.amdhsa_exception_fp_ieee_invalid_op 0
		.amdhsa_exception_fp_denorm_src 0
		.amdhsa_exception_fp_ieee_div_zero 0
		.amdhsa_exception_fp_ieee_overflow 0
		.amdhsa_exception_fp_ieee_underflow 0
		.amdhsa_exception_fp_ieee_inexact 0
		.amdhsa_exception_int_div_zero 0
	.end_amdhsa_kernel
	.section	.text._ZL26rocblas_hemvn_kernel_upperILb1ELi64ELi4ELi33ELi32ELi16EiPK19rocblas_complex_numIfEPKS3_PS1_EviT6_lT7_lT5_lS8_lS9_lS7_lT8_i,"axG",@progbits,_ZL26rocblas_hemvn_kernel_upperILb1ELi64ELi4ELi33ELi32ELi16EiPK19rocblas_complex_numIfEPKS3_PS1_EviT6_lT7_lT5_lS8_lS9_lS7_lT8_i,comdat
.Lfunc_end34:
	.size	_ZL26rocblas_hemvn_kernel_upperILb1ELi64ELi4ELi33ELi32ELi16EiPK19rocblas_complex_numIfEPKS3_PS1_EviT6_lT7_lT5_lS8_lS9_lS7_lT8_i, .Lfunc_end34-_ZL26rocblas_hemvn_kernel_upperILb1ELi64ELi4ELi33ELi32ELi16EiPK19rocblas_complex_numIfEPKS3_PS1_EviT6_lT7_lT5_lS8_lS9_lS7_lT8_i
                                        ; -- End function
	.section	.AMDGPU.csdata,"",@progbits
; Kernel info:
; codeLenInByte = 10640
; NumSgprs: 39
; NumVgprs: 171
; ScratchSize: 0
; MemoryBound: 1
; FloatMode: 240
; IeeeMode: 1
; LDSByteSize: 9600 bytes/workgroup (compile time only)
; SGPRBlocks: 4
; VGPRBlocks: 21
; NumSGPRsForWavesPerEU: 39
; NumVGPRsForWavesPerEU: 171
; Occupancy: 8
; WaveLimiterHint : 1
; COMPUTE_PGM_RSRC2:SCRATCH_EN: 0
; COMPUTE_PGM_RSRC2:USER_SGPR: 14
; COMPUTE_PGM_RSRC2:TRAP_HANDLER: 0
; COMPUTE_PGM_RSRC2:TGID_X_EN: 1
; COMPUTE_PGM_RSRC2:TGID_Y_EN: 0
; COMPUTE_PGM_RSRC2:TGID_Z_EN: 1
; COMPUTE_PGM_RSRC2:TIDIG_COMP_CNT: 1
	.section	.text._ZL36rocblas_hemvn_kernel_upper_block_sumILi64EiPK19rocblas_complex_numIfEPKPS1_S1_EviT1_lS7_lT2_lT0_lPT3_i,"axG",@progbits,_ZL36rocblas_hemvn_kernel_upper_block_sumILi64EiPK19rocblas_complex_numIfEPKPS1_S1_EviT1_lS7_lT2_lT0_lPT3_i,comdat
	.globl	_ZL36rocblas_hemvn_kernel_upper_block_sumILi64EiPK19rocblas_complex_numIfEPKPS1_S1_EviT1_lS7_lT2_lT0_lPT3_i ; -- Begin function _ZL36rocblas_hemvn_kernel_upper_block_sumILi64EiPK19rocblas_complex_numIfEPKPS1_S1_EviT1_lS7_lT2_lT0_lPT3_i
	.p2align	8
	.type	_ZL36rocblas_hemvn_kernel_upper_block_sumILi64EiPK19rocblas_complex_numIfEPKPS1_S1_EviT1_lS7_lT2_lT0_lPT3_i,@function
_ZL36rocblas_hemvn_kernel_upper_block_sumILi64EiPK19rocblas_complex_numIfEPKPS1_S1_EviT1_lS7_lT2_lT0_lPT3_i: ; @_ZL36rocblas_hemvn_kernel_upper_block_sumILi64EiPK19rocblas_complex_numIfEPKPS1_S1_EviT1_lS7_lT2_lT0_lPT3_i
; %bb.0:
	s_load_b256 s[16:23], s[0:1], 0x8
	s_mov_b32 s8, s15
	s_mov_b32 s9, 0
	s_waitcnt lgkmcnt(0)
	s_mul_i32 s3, s15, s19
	s_mul_hi_u32 s4, s15, s18
	s_mul_i32 s2, s15, s18
	s_add_i32 s3, s4, s3
	s_mul_i32 s4, s15, s23
	s_lshl_b64 s[2:3], s[2:3], 3
	s_delay_alu instid0(SALU_CYCLE_1)
	s_add_u32 s2, s16, s2
	s_addc_u32 s3, s17, s3
	s_load_b64 s[6:7], s[2:3], 0x0
	s_mul_hi_u32 s3, s15, s22
	s_mul_i32 s2, s15, s22
	s_add_i32 s3, s3, s4
	s_delay_alu instid0(SALU_CYCLE_1) | instskip(NEXT) | instid1(SALU_CYCLE_1)
	s_lshl_b64 s[2:3], s[2:3], 3
	s_add_u32 s2, s20, s2
	s_addc_u32 s3, s21, s3
	s_load_b64 s[4:5], s[2:3], 0x0
	s_waitcnt lgkmcnt(0)
	s_or_b32 s2, s6, s7
	s_delay_alu instid0(SALU_CYCLE_1) | instskip(NEXT) | instid1(SALU_CYCLE_1)
	s_bitset0_b32 s2, 31
	s_cmp_eq_u32 s2, 0
	s_cselect_b32 s11, -1, 0
	s_cmp_lg_u32 s2, 0
	s_mov_b32 s2, -1
	s_cbranch_scc1 .LBB35_2
; %bb.1:
	v_cmp_neq_f32_e64 s2, s4, 1.0
	v_cmp_neq_f32_e64 s3, s5, 0
	s_delay_alu instid0(VALU_DEP_1)
	s_or_b32 s2, s2, s3
.LBB35_2:
	s_delay_alu instid0(SALU_CYCLE_1)
	s_and_not1_b32 vcc_lo, exec_lo, s2
	s_cbranch_vccnz .LBB35_19
; %bb.3:
	s_clause 0x1
	s_load_b128 s[16:19], s[0:1], 0x28
	s_load_b32 s12, s[0:1], 0x38
	s_lshl_b64 s[2:3], s[8:9], 3
	s_load_b32 s10, s[0:1], 0x0
	v_lshl_or_b32 v0, s14, 6, v0
	s_waitcnt lgkmcnt(0)
	s_add_u32 s2, s16, s2
	s_addc_u32 s3, s17, s3
	s_lshl_b64 s[18:19], s[18:19], 3
	s_load_b64 s[16:17], s[2:3], 0x0
	v_cmp_gt_i32_e64 s2, s10, v0
	s_waitcnt lgkmcnt(0)
	s_add_u32 s3, s16, s18
	s_addc_u32 s9, s17, s19
	s_and_not1_b32 vcc_lo, exec_lo, s11
	s_mov_b32 s11, -1
	s_cbranch_vccnz .LBB35_9
; %bb.4:
	s_and_saveexec_b32 s11, s2
	s_cbranch_execz .LBB35_8
; %bb.5:
	v_mul_lo_u32 v1, v0, s12
	v_cmp_neq_f32_e64 s2, s4, 0
	v_cmp_neq_f32_e64 s13, s5, 0
	v_dual_mov_b32 v3, 0 :: v_dual_mov_b32 v4, 0
	s_delay_alu instid0(VALU_DEP_2) | instskip(NEXT) | instid1(VALU_DEP_4)
	s_or_b32 s2, s2, s13
	v_ashrrev_i32_e32 v2, 31, v1
	s_and_not1_b32 vcc_lo, exec_lo, s2
	s_delay_alu instid0(VALU_DEP_1)
	v_lshlrev_b64 v[1:2], 3, v[1:2]
	s_cbranch_vccnz .LBB35_7
; %bb.6:
	s_delay_alu instid0(VALU_DEP_1) | instskip(NEXT) | instid1(VALU_DEP_2)
	v_add_co_u32 v3, vcc_lo, s3, v1
	v_add_co_ci_u32_e32 v4, vcc_lo, s9, v2, vcc_lo
	global_load_b64 v[5:6], v[3:4], off
	s_waitcnt vmcnt(0)
	v_mul_f32_e32 v4, s4, v6
	s_delay_alu instid0(VALU_DEP_1) | instskip(NEXT) | instid1(VALU_DEP_1)
	v_dual_mul_f32 v3, s5, v6 :: v_dual_fmac_f32 v4, s5, v5
	v_fma_f32 v3, v5, s4, -v3
.LBB35_7:
	s_delay_alu instid0(VALU_DEP_1) | instskip(NEXT) | instid1(VALU_DEP_2)
	v_add_co_u32 v1, vcc_lo, s3, v1
	v_add_co_ci_u32_e32 v2, vcc_lo, s9, v2, vcc_lo
	global_store_b64 v[1:2], v[3:4], off
.LBB35_8:
	s_or_b32 exec_lo, exec_lo, s11
	s_mov_b32 s11, 0
.LBB35_9:
	s_delay_alu instid0(SALU_CYCLE_1)
	s_and_not1_b32 vcc_lo, exec_lo, s11
	s_cbranch_vccnz .LBB35_19
; %bb.10:
	s_mov_b32 s2, exec_lo
	v_cmpx_gt_i32_e64 s10, v0
	s_cbranch_execz .LBB35_19
; %bb.11:
	v_dual_mov_b32 v1, 0 :: v_dual_mov_b32 v4, 0
	s_cmp_lt_i32 s14, 0
	s_cbranch_scc1 .LBB35_14
; %bb.12:
	s_clause 0x1
	s_load_b32 s2, s[0:1], 0x58
	s_load_b64 s[0:1], s[0:1], 0x48
	s_ashr_i32 s11, s10, 31
	s_mul_hi_u32 s13, s10, s8
	s_mul_i32 s15, s11, s8
	v_mov_b32_e32 v1, 0
	s_add_i32 s13, s13, s15
	s_mul_i32 s8, s10, s8
	s_delay_alu instid0(VALU_DEP_1)
	v_lshlrev_b64 v[2:3], 3, v[0:1]
	v_mov_b32_e32 v4, v1
	s_waitcnt lgkmcnt(0)
	s_mul_i32 s13, s13, s2
	s_mul_hi_u32 s15, s8, s2
	s_mul_i32 s16, s8, s2
	s_add_i32 s17, s15, s13
	s_add_i32 s2, s14, 1
	s_lshl_b64 s[16:17], s[16:17], 3
	s_delay_alu instid0(SALU_CYCLE_1) | instskip(SKIP_4) | instid1(VALU_DEP_2)
	s_add_u32 s0, s0, s16
	s_addc_u32 s1, s1, s17
	v_add_co_u32 v2, vcc_lo, s0, v2
	v_add_co_ci_u32_e32 v3, vcc_lo, s1, v3, vcc_lo
	s_lshl_b64 s[0:1], s[10:11], 3
	v_add_co_u32 v2, vcc_lo, v2, 4
	s_delay_alu instid0(VALU_DEP_2)
	v_add_co_ci_u32_e32 v3, vcc_lo, 0, v3, vcc_lo
.LBB35_13:                              ; =>This Inner Loop Header: Depth=1
	global_load_b64 v[5:6], v[2:3], off offset:-4
	v_add_co_u32 v2, vcc_lo, v2, s0
	v_add_co_ci_u32_e32 v3, vcc_lo, s1, v3, vcc_lo
	s_add_i32 s2, s2, -1
	s_delay_alu instid0(SALU_CYCLE_1)
	s_cmp_eq_u32 s2, 0
	s_waitcnt vmcnt(0)
	v_dual_add_f32 v4, v4, v5 :: v_dual_add_f32 v1, v1, v6
	s_cbranch_scc0 .LBB35_13
.LBB35_14:
	v_mul_lo_u32 v2, v0, s12
	s_delay_alu instid0(VALU_DEP_2) | instskip(SKIP_3) | instid1(VALU_DEP_3)
	v_mul_f32_e32 v0, s7, v1
	v_mul_f32_e32 v1, s6, v1
	v_cmp_neq_f32_e64 s0, s4, 0
	v_cmp_neq_f32_e64 s1, s5, 0
	v_fmac_f32_e32 v1, s7, v4
	v_fma_f32 v0, v4, s6, -v0
	v_ashrrev_i32_e32 v3, 31, v2
	s_delay_alu instid0(VALU_DEP_4) | instskip(NEXT) | instid1(SALU_CYCLE_1)
	s_or_b32 s0, s0, s1
	s_and_not1_b32 vcc_lo, exec_lo, s0
	s_mov_b32 s0, 0
	s_cbranch_vccnz .LBB35_16
; %bb.15:
	s_mov_b32 s0, -1
.LBB35_16:
	s_delay_alu instid0(SALU_CYCLE_1)
	s_and_not1_b32 vcc_lo, exec_lo, s0
	s_cbranch_vccnz .LBB35_18
; %bb.17:
	v_lshlrev_b64 v[4:5], 3, v[2:3]
	s_delay_alu instid0(VALU_DEP_1) | instskip(NEXT) | instid1(VALU_DEP_2)
	v_add_co_u32 v4, vcc_lo, s3, v4
	v_add_co_ci_u32_e32 v5, vcc_lo, s9, v5, vcc_lo
	global_load_b64 v[4:5], v[4:5], off
	s_waitcnt vmcnt(0)
	v_mul_f32_e32 v6, s5, v5
	v_mul_f32_e32 v5, s4, v5
	s_delay_alu instid0(VALU_DEP_1) | instskip(NEXT) | instid1(VALU_DEP_3)
	v_fmac_f32_e32 v5, s5, v4
	v_fma_f32 v6, v4, s4, -v6
	s_delay_alu instid0(VALU_DEP_1)
	v_dual_add_f32 v1, v1, v5 :: v_dual_add_f32 v0, v0, v6
.LBB35_18:
	v_lshlrev_b64 v[2:3], 3, v[2:3]
	s_delay_alu instid0(VALU_DEP_1) | instskip(NEXT) | instid1(VALU_DEP_2)
	v_add_co_u32 v2, vcc_lo, s3, v2
	v_add_co_ci_u32_e32 v3, vcc_lo, s9, v3, vcc_lo
	global_store_b64 v[2:3], v[0:1], off
.LBB35_19:
	s_nop 0
	s_sendmsg sendmsg(MSG_DEALLOC_VGPRS)
	s_endpgm
	.section	.rodata,"a",@progbits
	.p2align	6, 0x0
	.amdhsa_kernel _ZL36rocblas_hemvn_kernel_upper_block_sumILi64EiPK19rocblas_complex_numIfEPKPS1_S1_EviT1_lS7_lT2_lT0_lPT3_i
		.amdhsa_group_segment_fixed_size 0
		.amdhsa_private_segment_fixed_size 0
		.amdhsa_kernarg_size 344
		.amdhsa_user_sgpr_count 14
		.amdhsa_user_sgpr_dispatch_ptr 0
		.amdhsa_user_sgpr_queue_ptr 0
		.amdhsa_user_sgpr_kernarg_segment_ptr 1
		.amdhsa_user_sgpr_dispatch_id 0
		.amdhsa_user_sgpr_private_segment_size 0
		.amdhsa_wavefront_size32 1
		.amdhsa_uses_dynamic_stack 0
		.amdhsa_enable_private_segment 0
		.amdhsa_system_sgpr_workgroup_id_x 1
		.amdhsa_system_sgpr_workgroup_id_y 0
		.amdhsa_system_sgpr_workgroup_id_z 1
		.amdhsa_system_sgpr_workgroup_info 0
		.amdhsa_system_vgpr_workitem_id 0
		.amdhsa_next_free_vgpr 7
		.amdhsa_next_free_sgpr 24
		.amdhsa_reserve_vcc 1
		.amdhsa_float_round_mode_32 0
		.amdhsa_float_round_mode_16_64 0
		.amdhsa_float_denorm_mode_32 3
		.amdhsa_float_denorm_mode_16_64 3
		.amdhsa_dx10_clamp 1
		.amdhsa_ieee_mode 1
		.amdhsa_fp16_overflow 0
		.amdhsa_workgroup_processor_mode 1
		.amdhsa_memory_ordered 1
		.amdhsa_forward_progress 0
		.amdhsa_shared_vgpr_count 0
		.amdhsa_exception_fp_ieee_invalid_op 0
		.amdhsa_exception_fp_denorm_src 0
		.amdhsa_exception_fp_ieee_div_zero 0
		.amdhsa_exception_fp_ieee_overflow 0
		.amdhsa_exception_fp_ieee_underflow 0
		.amdhsa_exception_fp_ieee_inexact 0
		.amdhsa_exception_int_div_zero 0
	.end_amdhsa_kernel
	.section	.text._ZL36rocblas_hemvn_kernel_upper_block_sumILi64EiPK19rocblas_complex_numIfEPKPS1_S1_EviT1_lS7_lT2_lT0_lPT3_i,"axG",@progbits,_ZL36rocblas_hemvn_kernel_upper_block_sumILi64EiPK19rocblas_complex_numIfEPKPS1_S1_EviT1_lS7_lT2_lT0_lPT3_i,comdat
.Lfunc_end35:
	.size	_ZL36rocblas_hemvn_kernel_upper_block_sumILi64EiPK19rocblas_complex_numIfEPKPS1_S1_EviT1_lS7_lT2_lT0_lPT3_i, .Lfunc_end35-_ZL36rocblas_hemvn_kernel_upper_block_sumILi64EiPK19rocblas_complex_numIfEPKPS1_S1_EviT1_lS7_lT2_lT0_lPT3_i
                                        ; -- End function
	.section	.AMDGPU.csdata,"",@progbits
; Kernel info:
; codeLenInByte = 852
; NumSgprs: 26
; NumVgprs: 7
; ScratchSize: 0
; MemoryBound: 0
; FloatMode: 240
; IeeeMode: 1
; LDSByteSize: 0 bytes/workgroup (compile time only)
; SGPRBlocks: 3
; VGPRBlocks: 0
; NumSGPRsForWavesPerEU: 26
; NumVGPRsForWavesPerEU: 7
; Occupancy: 16
; WaveLimiterHint : 1
; COMPUTE_PGM_RSRC2:SCRATCH_EN: 0
; COMPUTE_PGM_RSRC2:USER_SGPR: 14
; COMPUTE_PGM_RSRC2:TRAP_HANDLER: 0
; COMPUTE_PGM_RSRC2:TGID_X_EN: 1
; COMPUTE_PGM_RSRC2:TGID_Y_EN: 0
; COMPUTE_PGM_RSRC2:TGID_Z_EN: 1
; COMPUTE_PGM_RSRC2:TIDIG_COMP_CNT: 0
	.section	.text._ZL26rocblas_hemvn_kernel_upperILb1ELi64ELi4ELi33ELi32ELi16El19rocblas_complex_numIfEPKPKS1_PS1_EviT6_lT7_lT5_lS8_lS9_lS7_lT8_i,"axG",@progbits,_ZL26rocblas_hemvn_kernel_upperILb1ELi64ELi4ELi33ELi32ELi16El19rocblas_complex_numIfEPKPKS1_PS1_EviT6_lT7_lT5_lS8_lS9_lS7_lT8_i,comdat
	.globl	_ZL26rocblas_hemvn_kernel_upperILb1ELi64ELi4ELi33ELi32ELi16El19rocblas_complex_numIfEPKPKS1_PS1_EviT6_lT7_lT5_lS8_lS9_lS7_lT8_i ; -- Begin function _ZL26rocblas_hemvn_kernel_upperILb1ELi64ELi4ELi33ELi32ELi16El19rocblas_complex_numIfEPKPKS1_PS1_EviT6_lT7_lT5_lS8_lS9_lS7_lT8_i
	.p2align	8
	.type	_ZL26rocblas_hemvn_kernel_upperILb1ELi64ELi4ELi33ELi32ELi16El19rocblas_complex_numIfEPKPKS1_PS1_EviT6_lT7_lT5_lS8_lS9_lS7_lT8_i,@function
_ZL26rocblas_hemvn_kernel_upperILb1ELi64ELi4ELi33ELi32ELi16El19rocblas_complex_numIfEPKPKS1_PS1_EviT6_lT7_lT5_lS8_lS9_lS7_lT8_i: ; @_ZL26rocblas_hemvn_kernel_upperILb1ELi64ELi4ELi33ELi32ELi16El19rocblas_complex_numIfEPKPKS1_PS1_EviT6_lT7_lT5_lS8_lS9_lS7_lT8_i
; %bb.0:
	s_load_b64 s[4:5], s[0:1], 0x84
	s_add_u32 s2, s0, 0x78
	s_addc_u32 s3, s1, 0
	s_waitcnt lgkmcnt(0)
	s_lshr_b32 s6, s4, 16
	s_and_b32 s4, s4, 0xffff
	s_and_b32 s5, s5, 0xffff
	s_mul_i32 s4, s6, s4
	s_delay_alu instid0(SALU_CYCLE_1) | instskip(NEXT) | instid1(SALU_CYCLE_1)
	s_mul_i32 s4, s4, s5
	s_cmpk_lg_i32 s4, 0x100
	s_cbranch_scc1 .LBB36_192
; %bb.1:
	s_clause 0x2
	s_load_b64 s[8:9], s[0:1], 0x4
	s_load_b128 s[4:7], s[0:1], 0x18
	s_load_b64 s[16:17], s[0:1], 0x28
	s_mov_b32 s20, s15
	s_mov_b32 s10, 0
	s_waitcnt lgkmcnt(0)
	s_or_b32 s8, s8, s9
	s_delay_alu instid0(SALU_CYCLE_1) | instskip(NEXT) | instid1(SALU_CYCLE_1)
	s_bitset0_b32 s8, 31
	s_cmp_lg_u32 s8, 0
	s_cselect_b32 s12, -1, 0
	s_delay_alu instid0(SALU_CYCLE_1)
	s_and_b32 vcc_lo, exec_lo, s12
	s_cbranch_vccnz .LBB36_4
; %bb.2:
	s_load_b64 s[8:9], s[0:1], 0x58
	s_mov_b32 s11, 0
	s_waitcnt lgkmcnt(0)
	v_cmp_eq_f32_e64 s8, s8, 1.0
	v_cmp_eq_f32_e64 s9, s9, 0
	s_delay_alu instid0(VALU_DEP_1) | instskip(NEXT) | instid1(SALU_CYCLE_1)
	s_and_b32 s8, s8, s9
	s_and_not1_b32 vcc_lo, exec_lo, s8
                                        ; implicit-def: $sgpr8_sgpr9
	s_cbranch_vccz .LBB36_5
; %bb.3:
	s_mov_b32 s10, -1
	s_mov_b64 s[8:9], 0
	s_branch .LBB36_5
.LBB36_4:
	s_mov_b32 s11, -1
                                        ; implicit-def: $sgpr8_sgpr9
.LBB36_5:
	s_delay_alu instid0(SALU_CYCLE_1)
	s_and_b32 vcc_lo, exec_lo, s11
	s_cbranch_vccz .LBB36_7
; %bb.6:
	s_mov_b32 s21, 0
	s_mov_b32 s10, -1
	s_lshl_b64 s[8:9], s[20:21], 3
	s_delay_alu instid0(SALU_CYCLE_1)
	s_add_u32 s4, s4, s8
	s_addc_u32 s5, s5, s9
	s_lshl_b64 s[6:7], s[6:7], 3
	s_load_b64 s[4:5], s[4:5], 0x0
	s_waitcnt lgkmcnt(0)
	s_add_u32 s8, s4, s6
	s_addc_u32 s9, s5, s7
.LBB36_7:
	s_and_not1_b32 vcc_lo, exec_lo, s10
	s_cbranch_vccnz .LBB36_192
; %bb.8:
	s_clause 0x1
	s_load_b128 s[4:7], s[0:1], 0x38
	s_load_b64 s[10:11], s[0:1], 0x48
	v_cndmask_b32_e64 v1, 0, 1, s12
	s_and_not1_b32 vcc_lo, exec_lo, s12
	s_mov_b64 s[12:13], 0
	s_cbranch_vccnz .LBB36_10
; %bb.9:
	s_mov_b32 s21, 0
	s_delay_alu instid0(SALU_CYCLE_1)
	s_lshl_b64 s[12:13], s[20:21], 3
	s_waitcnt lgkmcnt(0)
	s_add_u32 s4, s4, s12
	s_addc_u32 s5, s5, s13
	s_lshl_b64 s[6:7], s[6:7], 3
	s_load_b64 s[4:5], s[4:5], 0x0
	s_waitcnt lgkmcnt(0)
	s_add_u32 s12, s4, s6
	s_addc_u32 s13, s5, s7
.LBB36_10:
	s_delay_alu instid0(VALU_DEP_1)
	v_cmp_ne_u32_e32 vcc_lo, 1, v1
	s_cbranch_vccnz .LBB36_192
; %bb.11:
	v_and_b32_e32 v93, 0x3ff, v0
	s_lshl_b32 s18, s14, 6
	s_load_b32 s24, s[0:1], 0x0
	s_load_b32 s15, s[2:3], 0x0
	v_bfe_u32 v94, v0, 10, 10
	v_add_nc_u32_e32 v24, s18, v93
	s_waitcnt lgkmcnt(0)
	s_mov_b32 s5, -1
	s_delay_alu instid0(VALU_DEP_1) | instskip(SKIP_2) | instid1(VALU_DEP_3)
	v_ashrrev_i32_e32 v25, 31, v24
	v_mul_lo_u32 v3, v24, s11
	v_mad_u64_u32 v[1:2], null, v24, s10, 0
	v_mul_lo_u32 v4, v25, s10
	s_ashr_i32 s25, s24, 31
	s_delay_alu instid0(VALU_DEP_1) | instskip(SKIP_3) | instid1(SALU_CYCLE_1)
	v_add3_u32 v2, v2, v3, v4
	s_lshr_b32 s2, s25, 26
	s_add_i32 s3, s15, -1
	s_add_i32 s2, s24, s2
	s_and_not1_b32 s2, s2, 63
	v_lshlrev_b64 v[1:2], 3, v[1:2]
	s_sub_i32 s21, s24, s2
	v_cmp_eq_u32_e64 s2, 0, v94
	s_cmp_eq_u32 s14, s3
	s_delay_alu instid0(VALU_DEP_2) | instskip(NEXT) | instid1(VALU_DEP_3)
	v_add_co_u32 v14, vcc_lo, s12, v1
	v_add_co_ci_u32_e32 v15, vcc_lo, s13, v2, vcc_lo
	s_cselect_b32 s12, s21, 0
	s_and_saveexec_b32 s3, s2
	s_cbranch_execz .LBB36_16
; %bb.12:
	v_cmp_le_i32_e32 vcc_lo, s12, v93
	s_cmp_lg_u32 s12, 0
	v_lshl_add_u32 v0, v93, 3, 0x2380
	s_cselect_b32 s4, -1, 0
	s_delay_alu instid0(SALU_CYCLE_1) | instskip(NEXT) | instid1(SALU_CYCLE_1)
	s_and_b32 s4, s4, vcc_lo
	s_and_saveexec_b32 s6, s4
	s_delay_alu instid0(SALU_CYCLE_1)
	s_xor_b32 s4, exec_lo, s6
	s_cbranch_execz .LBB36_14
; %bb.13:
	v_mov_b32_e32 v1, 0
	s_delay_alu instid0(VALU_DEP_1)
	v_mov_b32_e32 v2, v1
	ds_store_b64 v0, v[1:2]
                                        ; implicit-def: $vgpr0
.LBB36_14:
	s_and_not1_saveexec_b32 s4, s4
	s_cbranch_execz .LBB36_16
; %bb.15:
	flat_load_b64 v[1:2], v[14:15]
	s_waitcnt vmcnt(0) lgkmcnt(0)
	ds_store_b64 v0, v[1:2]
.LBB36_16:
	s_or_b32 exec_lo, exec_lo, s3
	v_lshl_add_u32 v22, v94, 6, v93
	v_dual_mov_b32 v1, 0 :: v_dual_and_b32 v0, 31, v93
	s_ashr_i32 s19, s18, 31
	s_mul_i32 s3, s18, s17
	s_delay_alu instid0(VALU_DEP_2)
	v_lshrrev_b32_e32 v7, 5, v22
	s_lshl_b64 s[6:7], s[18:19], 3
	s_mul_hi_u32 s4, s18, s16
	s_add_u32 s8, s8, s6
	s_mul_i32 s13, s19, s16
	v_mad_u64_u32 v[2:3], null, v7, s16, v[0:1]
	s_addc_u32 s9, s9, s7
	s_add_i32 s3, s4, s3
	s_mul_i32 s6, s18, s16
	s_add_i32 s7, s3, s13
	v_cmp_gt_i32_e64 s3, s12, v0
	s_lshl_b64 s[6:7], s[6:7], 3
	s_delay_alu instid0(VALU_DEP_2)
	v_mov_b32_e32 v1, v3
	s_add_u32 s4, s6, s8
	s_addc_u32 s6, s7, s9
	s_cmp_eq_u32 s12, 0
	v_lshlrev_b32_e32 v9, 3, v0
	v_mad_u64_u32 v[3:4], null, v7, s17, v[1:2]
	s_cselect_b32 s9, -1, 0
	s_cmp_lg_u32 s12, 0
	v_mul_u32_u24_e32 v8, 33, v7
	s_cselect_b32 s26, -1, 0
	s_delay_alu instid0(SALU_CYCLE_1) | instskip(NEXT) | instid1(VALU_DEP_2)
	s_and_b32 vcc_lo, exec_lo, s26
	v_lshlrev_b64 v[12:13], 3, v[2:3]
	s_delay_alu instid0(VALU_DEP_1) | instskip(NEXT) | instid1(VALU_DEP_1)
	v_add_co_u32 v3, s4, s4, v12
	v_add_co_ci_u32_e64 v4, s4, s6, v13, s4
	s_cbranch_vccz .LBB36_34
; %bb.17:
	s_delay_alu instid0(VALU_DEP_2) | instskip(SKIP_1) | instid1(VALU_DEP_2)
	v_sub_co_u32 v1, vcc_lo, v3, v9
	s_ashr_i32 s13, s12, 31
	v_subrev_co_ci_u32_e32 v2, vcc_lo, 0, v4, vcc_lo
	s_lshl_b64 s[4:5], s[12:13], 3
	v_add_lshl_u32 v5, v8, v0, 3
	v_add_co_u32 v1, vcc_lo, v1, s4
	s_delay_alu instid0(VALU_DEP_3) | instskip(SKIP_1) | instid1(VALU_DEP_2)
	v_add_co_ci_u32_e32 v2, vcc_lo, s5, v2, vcc_lo
	s_mov_b32 s6, exec_lo
	v_add_co_u32 v1, vcc_lo, v1, -8
	s_delay_alu instid0(VALU_DEP_2) | instskip(NEXT) | instid1(VALU_DEP_2)
	v_add_co_ci_u32_e32 v2, vcc_lo, -1, v2, vcc_lo
	v_cndmask_b32_e64 v1, v1, v3, s3
	s_delay_alu instid0(VALU_DEP_2)
	v_cndmask_b32_e64 v2, v2, v4, s3
	v_cmpx_le_i32_e64 s12, v7
	s_xor_b32 s6, exec_lo, s6
	s_cbranch_execz .LBB36_19
; %bb.18:
	v_mov_b32_e32 v10, 0
	s_delay_alu instid0(VALU_DEP_1)
	v_mov_b32_e32 v11, v10
	ds_store_b64 v5, v[10:11]
.LBB36_19:
	s_and_not1_saveexec_b32 s6, s6
	s_cbranch_execz .LBB36_21
; %bb.20:
	flat_load_b64 v[10:11], v[1:2]
	s_waitcnt vmcnt(0) lgkmcnt(0)
	ds_store_b64 v5, v[10:11]
.LBB36_21:
	s_or_b32 exec_lo, exec_lo, s6
	v_add_nc_u32_e32 v6, 8, v7
	s_mov_b32 s6, exec_lo
	s_delay_alu instid0(VALU_DEP_1)
	v_cmpx_le_i32_e64 s12, v6
	s_xor_b32 s6, exec_lo, s6
	s_cbranch_execz .LBB36_23
; %bb.22:
	v_mul_u32_u24_e32 v6, 33, v6
	v_mov_b32_e32 v10, 0
	s_delay_alu instid0(VALU_DEP_2) | instskip(NEXT) | instid1(VALU_DEP_2)
	v_add_lshl_u32 v6, v6, v0, 3
	v_mov_b32_e32 v11, v10
	ds_store_b64 v6, v[10:11]
.LBB36_23:
	s_and_not1_saveexec_b32 s6, s6
	s_cbranch_execz .LBB36_25
; %bb.24:
	s_lshl_b64 s[22:23], s[16:17], 6
	s_delay_alu instid0(SALU_CYCLE_1)
	v_add_co_u32 v10, vcc_lo, v1, s22
	v_add_co_ci_u32_e32 v11, vcc_lo, s23, v2, vcc_lo
	flat_load_b64 v[10:11], v[10:11]
	s_waitcnt vmcnt(0) lgkmcnt(0)
	ds_store_b64 v5, v[10:11] offset:2112
.LBB36_25:
	s_or_b32 exec_lo, exec_lo, s6
	v_add_nc_u32_e32 v6, 16, v7
	s_mov_b32 s6, exec_lo
	s_delay_alu instid0(VALU_DEP_1)
	v_cmpx_le_i32_e64 s12, v6
	s_xor_b32 s6, exec_lo, s6
	s_cbranch_execz .LBB36_27
; %bb.26:
	v_mov_b32_e32 v10, 0
	s_delay_alu instid0(VALU_DEP_1)
	v_mov_b32_e32 v11, v10
	ds_store_b64 v5, v[10:11] offset:4224
.LBB36_27:
	s_and_not1_saveexec_b32 s6, s6
	s_cbranch_execz .LBB36_29
; %bb.28:
	s_lshl_b64 s[22:23], s[16:17], 7
	s_delay_alu instid0(SALU_CYCLE_1)
	v_add_co_u32 v10, vcc_lo, v1, s22
	v_add_co_ci_u32_e32 v11, vcc_lo, s23, v2, vcc_lo
	flat_load_b64 v[10:11], v[10:11]
	s_waitcnt vmcnt(0) lgkmcnt(0)
	ds_store_b64 v5, v[10:11] offset:4224
.LBB36_29:
	s_or_b32 exec_lo, exec_lo, s6
	v_add_nc_u32_e32 v6, 24, v7
	s_mov_b32 s6, exec_lo
	s_delay_alu instid0(VALU_DEP_1)
	v_cmpx_le_i32_e64 s12, v6
	s_xor_b32 s6, exec_lo, s6
	s_cbranch_execz .LBB36_31
; %bb.30:
	v_mov_b32_e32 v10, 0
	s_delay_alu instid0(VALU_DEP_1)
	v_mov_b32_e32 v11, v10
	ds_store_b64 v5, v[10:11] offset:6336
                                        ; implicit-def: $vgpr5
.LBB36_31:
	s_and_not1_saveexec_b32 s6, s6
	s_cbranch_execz .LBB36_33
; %bb.32:
	v_mad_u64_u32 v[10:11], null, 0xc0, s16, v[1:2]
	s_delay_alu instid0(VALU_DEP_1) | instskip(NEXT) | instid1(VALU_DEP_1)
	v_mov_b32_e32 v6, v11
	v_mad_u64_u32 v[16:17], null, 0xc0, s17, v[6:7]
	s_delay_alu instid0(VALU_DEP_1)
	v_mov_b32_e32 v11, v16
	flat_load_b64 v[10:11], v[10:11]
	s_waitcnt vmcnt(0) lgkmcnt(0)
	ds_store_b64 v5, v[10:11] offset:6336
.LBB36_33:
	s_or_b32 exec_lo, exec_lo, s6
	v_add_co_u32 v1, vcc_lo, v1, v9
	v_add_co_ci_u32_e32 v2, vcc_lo, 0, v2, vcc_lo
	s_delay_alu instid0(VALU_DEP_2) | instskip(NEXT) | instid1(VALU_DEP_2)
	v_sub_co_u32 v1, vcc_lo, v1, s4
	v_subrev_co_ci_u32_e32 v2, vcc_lo, s5, v2, vcc_lo
	s_delay_alu instid0(VALU_DEP_2) | instskip(NEXT) | instid1(VALU_DEP_2)
	v_add_co_u32 v1, vcc_lo, v1, 8
	v_add_co_ci_u32_e32 v2, vcc_lo, 0, v2, vcc_lo
	s_delay_alu instid0(VALU_DEP_2) | instskip(NEXT) | instid1(VALU_DEP_2)
	v_cndmask_b32_e64 v1, v1, v3, s3
	v_cndmask_b32_e64 v2, v2, v4, s3
	s_branch .LBB36_36
.LBB36_34:
                                        ; implicit-def: $vgpr1_vgpr2
	s_and_b32 vcc_lo, exec_lo, s5
	s_cbranch_vccz .LBB36_36
; %bb.35:
	flat_load_b64 v[1:2], v[3:4]
	s_lshl_b64 s[4:5], s[16:17], 6
	v_add_lshl_u32 v16, v8, v0, 3
	v_add_co_u32 v5, vcc_lo, v3, s4
	v_add_co_ci_u32_e32 v6, vcc_lo, s5, v4, vcc_lo
	s_waitcnt vmcnt(0) lgkmcnt(0)
	ds_store_b64 v16, v[1:2]
	flat_load_b64 v[1:2], v[5:6]
	v_add_co_u32 v5, vcc_lo, v5, s4
	v_add_co_ci_u32_e32 v6, vcc_lo, s5, v6, vcc_lo
	s_waitcnt vmcnt(0) lgkmcnt(0)
	ds_store_b64 v16, v[1:2] offset:2112
	flat_load_b64 v[1:2], v[5:6]
	v_mad_u64_u32 v[5:6], null, 0xc0, s16, v[3:4]
	s_delay_alu instid0(VALU_DEP_1) | instskip(NEXT) | instid1(VALU_DEP_1)
	v_mad_u64_u32 v[10:11], null, 0xc0, s17, v[6:7]
	v_mov_b32_e32 v6, v10
	s_waitcnt vmcnt(0) lgkmcnt(0)
	ds_store_b64 v16, v[1:2] offset:4224
	v_mov_b32_e32 v1, v3
	flat_load_b64 v[5:6], v[5:6]
	v_mov_b32_e32 v2, v4
	s_waitcnt vmcnt(0) lgkmcnt(0)
	ds_store_b64 v16, v[5:6] offset:6336
.LBB36_36:
	v_lshlrev_b32_e32 v19, 2, v7
	s_waitcnt lgkmcnt(0)
	s_barrier
	buffer_gl0_inv
	v_cmp_le_u32_e64 s4, v19, v0
	s_delay_alu instid0(VALU_DEP_1) | instskip(NEXT) | instid1(SALU_CYCLE_1)
	s_and_saveexec_b32 s3, s4
	s_xor_b32 s3, exec_lo, s3
	s_cbranch_execz .LBB36_40
; %bb.37:
	s_mov_b32 s5, exec_lo
	v_cmpx_eq_u32_e64 v19, v0
	s_cbranch_execz .LBB36_39
; %bb.38:
	v_mul_u32_u24_e32 v3, 34, v0
	s_delay_alu instid0(VALU_DEP_1)
	v_dual_mov_b32 v4, 0 :: v_dual_lshlrev_b32 v3, 3, v3
	ds_store_b32 v3, v4 offset:4
.LBB36_39:
	s_or_b32 exec_lo, exec_lo, s5
.LBB36_40:
	s_or_saveexec_b32 s3, s3
	v_mul_u32_u24_e32 v10, 33, v0
	v_mul_u32_u24_e32 v3, 0x84, v7
	s_delay_alu instid0(VALU_DEP_2)
	v_add_lshl_u32 v16, v19, v10, 3
	s_xor_b32 exec_lo, exec_lo, s3
	s_cbranch_execz .LBB36_42
; %bb.41:
	s_delay_alu instid0(VALU_DEP_2)
	v_add_lshl_u32 v4, v3, v0, 3
	ds_load_b64 v[4:5], v4
	s_waitcnt lgkmcnt(0)
	v_xor_b32_e32 v5, 0x80000000, v5
	ds_store_b64 v16, v[4:5]
.LBB36_42:
	s_or_b32 exec_lo, exec_lo, s3
	v_or_b32_e32 v17, 1, v19
	v_cmp_ge_u32_e64 s5, v19, v0
	s_delay_alu instid0(VALU_DEP_2) | instskip(NEXT) | instid1(VALU_DEP_2)
	v_mul_u32_u24_e32 v4, 33, v17
	s_and_saveexec_b32 s3, s5
	s_delay_alu instid0(SALU_CYCLE_1)
	s_xor_b32 s3, exec_lo, s3
	s_cbranch_execz .LBB36_44
; %bb.43:
	s_delay_alu instid0(VALU_DEP_1)
	v_add_lshl_u32 v5, v4, v0, 3
	ds_load_b64 v[5:6], v5
	s_waitcnt lgkmcnt(0)
	v_xor_b32_e32 v6, 0x80000000, v6
	ds_store_b64 v16, v[5:6] offset:8
.LBB36_44:
	s_and_not1_saveexec_b32 s3, s3
	s_cbranch_execz .LBB36_48
; %bb.45:
	s_mov_b32 s6, exec_lo
	v_cmpx_eq_u32_e64 v17, v0
	s_cbranch_execz .LBB36_47
; %bb.46:
	v_mul_u32_u24_e32 v5, 34, v0
	s_delay_alu instid0(VALU_DEP_1)
	v_dual_mov_b32 v6, 0 :: v_dual_lshlrev_b32 v5, 3, v5
	ds_store_b32 v5, v6 offset:4
.LBB36_47:
	s_or_b32 exec_lo, exec_lo, s6
.LBB36_48:
	s_delay_alu instid0(SALU_CYCLE_1) | instskip(SKIP_1) | instid1(VALU_DEP_1)
	s_or_b32 exec_lo, exec_lo, s3
	v_or_b32_e32 v20, 2, v19
	v_cmp_le_u32_e64 s6, v20, v0
	s_delay_alu instid0(VALU_DEP_1) | instskip(NEXT) | instid1(SALU_CYCLE_1)
	s_and_saveexec_b32 s3, s6
	s_xor_b32 s3, exec_lo, s3
	s_cbranch_execz .LBB36_52
; %bb.49:
	s_mov_b32 s7, exec_lo
	v_cmpx_eq_u32_e64 v20, v0
	s_cbranch_execz .LBB36_51
; %bb.50:
	v_mul_u32_u24_e32 v5, 34, v0
	s_delay_alu instid0(VALU_DEP_1)
	v_dual_mov_b32 v6, 0 :: v_dual_lshlrev_b32 v5, 3, v5
	ds_store_b32 v5, v6 offset:4
.LBB36_51:
	s_or_b32 exec_lo, exec_lo, s7
.LBB36_52:
	s_and_not1_saveexec_b32 s3, s3
	s_cbranch_execz .LBB36_54
; %bb.53:
	v_mul_u32_u24_e32 v5, 33, v20
	s_delay_alu instid0(VALU_DEP_1)
	v_add_lshl_u32 v5, v5, v0, 3
	ds_load_b64 v[5:6], v5
	s_waitcnt lgkmcnt(0)
	v_xor_b32_e32 v6, 0x80000000, v6
	ds_store_b64 v16, v[5:6] offset:16
.LBB36_54:
	s_or_b32 exec_lo, exec_lo, s3
	v_or_b32_e32 v21, 3, v19
	s_delay_alu instid0(VALU_DEP_1) | instskip(NEXT) | instid1(VALU_DEP_1)
	v_cmp_le_u32_e64 s7, v21, v0
	s_and_saveexec_b32 s3, s7
	s_delay_alu instid0(SALU_CYCLE_1)
	s_xor_b32 s3, exec_lo, s3
	s_cbranch_execz .LBB36_58
; %bb.55:
	s_mov_b32 s8, exec_lo
	v_cmpx_eq_u32_e64 v21, v0
	s_cbranch_execz .LBB36_57
; %bb.56:
	v_mul_u32_u24_e32 v5, 34, v0
	s_delay_alu instid0(VALU_DEP_1)
	v_dual_mov_b32 v6, 0 :: v_dual_lshlrev_b32 v5, 3, v5
	ds_store_b32 v5, v6 offset:4
.LBB36_57:
	s_or_b32 exec_lo, exec_lo, s8
.LBB36_58:
	s_and_not1_saveexec_b32 s3, s3
	s_cbranch_execz .LBB36_60
; %bb.59:
	v_mul_u32_u24_e32 v5, 33, v21
	s_delay_alu instid0(VALU_DEP_1)
	v_add_lshl_u32 v5, v5, v0, 3
	ds_load_b64 v[5:6], v5
	s_waitcnt lgkmcnt(0)
	v_xor_b32_e32 v6, 0x80000000, v6
	ds_store_b64 v16, v[5:6] offset:24
.LBB36_60:
	s_or_b32 exec_lo, exec_lo, s3
	v_add_lshl_u32 v11, v3, v0, 3
	v_lshlrev_b32_e32 v29, 3, v19
	v_add_lshl_u32 v18, v4, v0, 3
	s_waitcnt lgkmcnt(0)
	s_barrier
	buffer_gl0_inv
	ds_load_b64 v[26:27], v11
	ds_load_b128 v[3:6], v29 offset:9088
	ds_load_2addr_b64 v[30:33], v18 offset1:33
	ds_load_b128 v[34:37], v29 offset:9104
	ds_load_b64 v[38:39], v18 offset:528
	v_cmp_gt_u32_e64 s3, 32, v22
	s_waitcnt lgkmcnt(0)
	s_barrier
	buffer_gl0_inv
	v_mul_f32_e32 v23, v4, v27
	v_mul_f32_e32 v27, v3, v27
	;; [unrolled: 1-line block ×3, first 2 shown]
	v_dual_mul_f32 v31, v5, v31 :: v_dual_mul_f32 v40, v35, v33
	s_delay_alu instid0(VALU_DEP_4) | instskip(NEXT) | instid1(VALU_DEP_4)
	v_fma_f32 v3, v3, v26, -v23
	v_fmac_f32_e32 v27, v4, v26
	v_dual_mul_f32 v33, v34, v33 :: v_dual_mul_f32 v4, v37, v39
	v_fma_f32 v5, v5, v30, -v28
	s_delay_alu instid0(VALU_DEP_3)
	v_dual_fmac_f32 v31, v6, v30 :: v_dual_add_f32 v6, 0, v27
	v_add_f32_e32 v3, 0, v3
	v_mul_f32_e32 v27, v36, v39
	v_fma_f32 v23, v34, v32, -v40
	v_fma_f32 v4, v36, v38, -v4
	v_add_lshl_u32 v28, v7, v10, 3
	v_add_f32_e32 v3, v3, v5
	v_add_f32_e32 v5, v6, v31
	v_fmac_f32_e32 v27, v37, v38
	v_dual_fmac_f32 v33, v35, v32 :: v_dual_mov_b32 v26, 0
	s_delay_alu instid0(VALU_DEP_4) | instskip(SKIP_1) | instid1(VALU_DEP_3)
	v_add_f32_e32 v3, v3, v23
	v_lshlrev_b32_e32 v23, 3, v10
	v_add_f32_e32 v5, v5, v33
	s_delay_alu instid0(VALU_DEP_1)
	v_dual_add_f32 v3, v3, v4 :: v_dual_add_f32 v4, v5, v27
	v_mov_b32_e32 v27, 0
	ds_store_b64 v28, v[3:4]
	s_waitcnt lgkmcnt(0)
	s_barrier
	buffer_gl0_inv
	s_and_saveexec_b32 s8, s3
	s_cbranch_execz .LBB36_62
; %bb.61:
	ds_load_2addr_b64 v[3:6], v23 offset1:7
	ds_load_2addr_b64 v[30:33], v23 offset0:1 offset1:2
	ds_load_2addr_b64 v[34:37], v23 offset0:3 offset1:4
	;; [unrolled: 1-line block ×3, first 2 shown]
	s_waitcnt lgkmcnt(2)
	v_dual_add_f32 v3, v30, v3 :: v_dual_add_f32 v4, v31, v4
	s_delay_alu instid0(VALU_DEP_1) | instskip(SKIP_1) | instid1(VALU_DEP_1)
	v_dual_add_f32 v3, v3, v32 :: v_dual_add_f32 v4, v4, v33
	s_waitcnt lgkmcnt(1)
	v_dual_add_f32 v3, v3, v34 :: v_dual_add_f32 v4, v4, v35
	s_delay_alu instid0(VALU_DEP_1) | instskip(SKIP_1) | instid1(VALU_DEP_1)
	v_dual_add_f32 v3, v3, v36 :: v_dual_add_f32 v4, v4, v37
	s_waitcnt lgkmcnt(0)
	v_dual_add_f32 v3, v3, v38 :: v_dual_add_f32 v4, v4, v39
	s_delay_alu instid0(VALU_DEP_1) | instskip(NEXT) | instid1(VALU_DEP_1)
	v_dual_add_f32 v3, v3, v40 :: v_dual_add_f32 v4, v4, v41
	v_dual_add_f32 v26, v3, v5 :: v_dual_add_f32 v27, v4, v6
.LBB36_62:
	s_or_b32 exec_lo, exec_lo, s8
	s_lshl_b64 s[22:23], s[16:17], 8
	s_delay_alu instid0(SALU_CYCLE_1) | instskip(SKIP_2) | instid1(VALU_DEP_2)
	v_add_co_u32 v5, vcc_lo, v1, s22
	v_add_co_ci_u32_e32 v6, vcc_lo, s23, v2, vcc_lo
	s_barrier
	v_add_co_u32 v3, vcc_lo, 0x100, v5
	s_delay_alu instid0(VALU_DEP_2)
	v_add_co_ci_u32_e32 v4, vcc_lo, 0, v6, vcc_lo
	s_and_b32 vcc_lo, exec_lo, s26
	buffer_gl0_inv
	s_cbranch_vccz .LBB36_80
; %bb.63:
	v_or_b32_e32 v1, 32, v0
	s_ashr_i32 s13, s12, 31
	s_delay_alu instid0(SALU_CYCLE_1) | instskip(SKIP_1) | instid1(VALU_DEP_1)
	s_lshl_b64 s[22:23], s[12:13], 3
	s_sub_i32 s13, s12, 32
	v_lshlrev_b32_e32 v2, 3, v1
	v_cmp_le_i32_e64 s8, s13, v7
	s_delay_alu instid0(VALU_DEP_2) | instskip(SKIP_1) | instid1(VALU_DEP_2)
	v_sub_co_u32 v2, vcc_lo, v3, v2
	v_subrev_co_ci_u32_e32 v30, vcc_lo, 0, v4, vcc_lo
	v_add_co_u32 v2, vcc_lo, v2, s22
	s_delay_alu instid0(VALU_DEP_2) | instskip(NEXT) | instid1(VALU_DEP_2)
	v_add_co_ci_u32_e32 v30, vcc_lo, s23, v30, vcc_lo
	v_add_co_u32 v31, vcc_lo, v2, -8
	s_delay_alu instid0(VALU_DEP_2) | instskip(SKIP_2) | instid1(VALU_DEP_3)
	v_add_co_ci_u32_e32 v2, vcc_lo, -1, v30, vcc_lo
	v_cmp_gt_i32_e32 vcc_lo, s12, v1
	v_add_lshl_u32 v30, v8, v0, 3
	v_dual_cndmask_b32 v1, v31, v3 :: v_dual_cndmask_b32 v2, v2, v4
	s_and_saveexec_b32 s27, s8
	s_delay_alu instid0(SALU_CYCLE_1)
	s_xor_b32 s8, exec_lo, s27
	s_cbranch_execz .LBB36_65
; %bb.64:
	v_mov_b32_e32 v31, 0
	s_delay_alu instid0(VALU_DEP_1)
	v_mov_b32_e32 v32, v31
	ds_store_b64 v30, v[31:32]
.LBB36_65:
	s_and_not1_saveexec_b32 s8, s8
	s_cbranch_execz .LBB36_67
; %bb.66:
	flat_load_b64 v[31:32], v[1:2]
	s_waitcnt vmcnt(0) lgkmcnt(0)
	ds_store_b64 v30, v[31:32]
.LBB36_67:
	s_or_b32 exec_lo, exec_lo, s8
	v_add_nc_u32_e32 v31, 8, v7
	s_delay_alu instid0(VALU_DEP_1) | instskip(NEXT) | instid1(VALU_DEP_1)
	v_cmp_le_i32_e64 s8, s13, v31
	s_and_saveexec_b32 s27, s8
	s_delay_alu instid0(SALU_CYCLE_1)
	s_xor_b32 s8, exec_lo, s27
	s_cbranch_execz .LBB36_69
; %bb.68:
	v_mul_u32_u24_e32 v32, 33, v31
	v_mov_b32_e32 v31, 0
	s_delay_alu instid0(VALU_DEP_2) | instskip(NEXT) | instid1(VALU_DEP_2)
	v_add_lshl_u32 v33, v32, v0, 3
	v_mov_b32_e32 v32, v31
	ds_store_b64 v33, v[31:32]
.LBB36_69:
	s_and_not1_saveexec_b32 s27, s8
	s_cbranch_execz .LBB36_71
; %bb.70:
	s_lshl_b64 s[28:29], s[16:17], 6
	s_delay_alu instid0(SALU_CYCLE_1) | instskip(NEXT) | instid1(VALU_DEP_1)
	v_add_co_u32 v31, s8, v1, s28
	v_add_co_ci_u32_e64 v32, s8, s29, v2, s8
	flat_load_b64 v[31:32], v[31:32]
	s_waitcnt vmcnt(0) lgkmcnt(0)
	ds_store_b64 v30, v[31:32] offset:2112
.LBB36_71:
	s_or_b32 exec_lo, exec_lo, s27
	v_add_nc_u32_e32 v31, 16, v7
	s_delay_alu instid0(VALU_DEP_1) | instskip(NEXT) | instid1(VALU_DEP_1)
	v_cmp_le_i32_e64 s8, s13, v31
	s_and_saveexec_b32 s27, s8
	s_delay_alu instid0(SALU_CYCLE_1)
	s_xor_b32 s8, exec_lo, s27
	s_cbranch_execz .LBB36_73
; %bb.72:
	v_mov_b32_e32 v31, 0
	s_delay_alu instid0(VALU_DEP_1)
	v_mov_b32_e32 v32, v31
	ds_store_b64 v30, v[31:32] offset:4224
.LBB36_73:
	s_and_not1_saveexec_b32 s27, s8
	s_cbranch_execz .LBB36_75
; %bb.74:
	s_lshl_b64 s[28:29], s[16:17], 7
	s_delay_alu instid0(SALU_CYCLE_1) | instskip(NEXT) | instid1(VALU_DEP_1)
	v_add_co_u32 v31, s8, v1, s28
	v_add_co_ci_u32_e64 v32, s8, s29, v2, s8
	flat_load_b64 v[31:32], v[31:32]
	s_waitcnt vmcnt(0) lgkmcnt(0)
	ds_store_b64 v30, v[31:32] offset:4224
.LBB36_75:
	s_or_b32 exec_lo, exec_lo, s27
	v_add_nc_u32_e32 v31, 24, v7
	s_delay_alu instid0(VALU_DEP_1) | instskip(NEXT) | instid1(VALU_DEP_1)
	v_cmp_le_i32_e64 s8, s13, v31
	s_and_saveexec_b32 s13, s8
	s_delay_alu instid0(SALU_CYCLE_1)
	s_xor_b32 s8, exec_lo, s13
	s_cbranch_execz .LBB36_77
; %bb.76:
	v_mov_b32_e32 v31, 0
	s_delay_alu instid0(VALU_DEP_1)
	v_mov_b32_e32 v32, v31
	ds_store_b64 v30, v[31:32] offset:6336
                                        ; implicit-def: $vgpr30
.LBB36_77:
	s_and_not1_saveexec_b32 s8, s8
	s_cbranch_execz .LBB36_79
; %bb.78:
	v_mad_u64_u32 v[31:32], null, 0xc0, s16, v[1:2]
	s_delay_alu instid0(VALU_DEP_1) | instskip(NEXT) | instid1(VALU_DEP_1)
	v_mad_u64_u32 v[33:34], null, 0xc0, s17, v[32:33]
	v_mov_b32_e32 v32, v33
	flat_load_b64 v[31:32], v[31:32]
	s_waitcnt vmcnt(0) lgkmcnt(0)
	ds_store_b64 v30, v[31:32] offset:6336
.LBB36_79:
	s_or_b32 exec_lo, exec_lo, s8
	v_add_co_u32 v1, s8, v1, v9
	s_delay_alu instid0(VALU_DEP_1) | instskip(NEXT) | instid1(VALU_DEP_2)
	v_add_co_ci_u32_e64 v2, s8, 0, v2, s8
	v_sub_co_u32 v1, s8, v1, s22
	s_delay_alu instid0(VALU_DEP_1) | instskip(NEXT) | instid1(VALU_DEP_2)
	v_subrev_co_ci_u32_e64 v2, s8, s23, v2, s8
	v_add_co_u32 v1, s8, 0x108, v1
	s_delay_alu instid0(VALU_DEP_1) | instskip(NEXT) | instid1(VALU_DEP_1)
	v_add_co_ci_u32_e64 v2, s8, 0, v2, s8
	v_dual_cndmask_b32 v1, v1, v3 :: v_dual_cndmask_b32 v2, v2, v4
	s_branch .LBB36_82
.LBB36_80:
                                        ; implicit-def: $vgpr1_vgpr2
	s_cbranch_execz .LBB36_82
; %bb.81:
	flat_load_b64 v[1:2], v[5:6] offset:256
	s_lshl_b64 s[22:23], s[16:17], 6
	v_add_lshl_u32 v33, v8, v0, 3
	v_add_co_u32 v30, vcc_lo, v5, s22
	v_add_co_ci_u32_e32 v31, vcc_lo, s23, v6, vcc_lo
	s_waitcnt vmcnt(0) lgkmcnt(0)
	ds_store_b64 v33, v[1:2]
	flat_load_b64 v[1:2], v[30:31] offset:256
	v_add_co_u32 v30, vcc_lo, v30, s22
	v_add_co_ci_u32_e32 v31, vcc_lo, s23, v31, vcc_lo
	s_waitcnt vmcnt(0) lgkmcnt(0)
	ds_store_b64 v33, v[1:2] offset:2112
	flat_load_b64 v[1:2], v[30:31] offset:256
	v_mad_u64_u32 v[30:31], null, 0xc0, s16, v[5:6]
	s_delay_alu instid0(VALU_DEP_1)
	v_mov_b32_e32 v5, v31
	s_waitcnt vmcnt(0) lgkmcnt(0)
	ds_store_b64 v33, v[1:2] offset:4224
	v_dual_mov_b32 v1, v3 :: v_dual_mov_b32 v2, v4
	v_mad_u64_u32 v[31:32], null, 0xc0, s17, v[5:6]
	flat_load_b64 v[5:6], v[30:31] offset:256
	s_waitcnt vmcnt(0) lgkmcnt(0)
	ds_store_b64 v33, v[5:6] offset:6336
.LBB36_82:
	s_waitcnt lgkmcnt(0)
	s_barrier
	buffer_gl0_inv
	s_and_saveexec_b32 s8, s4
	s_delay_alu instid0(SALU_CYCLE_1)
	s_xor_b32 s4, exec_lo, s8
	s_cbranch_execnz .LBB36_111
; %bb.83:
	s_and_not1_saveexec_b32 s4, s4
	s_cbranch_execnz .LBB36_114
.LBB36_84:
	s_or_b32 exec_lo, exec_lo, s4
	s_and_saveexec_b32 s4, s5
	s_delay_alu instid0(SALU_CYCLE_1)
	s_xor_b32 s4, exec_lo, s4
	s_cbranch_execnz .LBB36_115
.LBB36_85:
	s_and_not1_saveexec_b32 s4, s4
	s_cbranch_execnz .LBB36_116
.LBB36_86:
	s_or_b32 exec_lo, exec_lo, s4
	s_and_saveexec_b32 s4, s6
	s_delay_alu instid0(SALU_CYCLE_1)
	s_xor_b32 s4, exec_lo, s4
	s_cbranch_execnz .LBB36_119
.LBB36_87:
	s_and_not1_saveexec_b32 s4, s4
	s_cbranch_execnz .LBB36_122
.LBB36_88:
	s_or_b32 exec_lo, exec_lo, s4
	s_and_saveexec_b32 s4, s7
	s_delay_alu instid0(SALU_CYCLE_1)
	s_xor_b32 s4, exec_lo, s4
	s_cbranch_execnz .LBB36_123
.LBB36_89:
	s_or_saveexec_b32 s4, s4
	v_add_nc_u32_e32 v19, 0x2380, v29
	s_xor_b32 exec_lo, exec_lo, s4
	s_cbranch_execz .LBB36_91
.LBB36_90:
	ds_load_b64 v[3:4], v18 offset:528
	s_waitcnt lgkmcnt(0)
	v_xor_b32_e32 v4, 0x80000000, v4
	ds_store_b64 v16, v[3:4] offset:24
.LBB36_91:
	s_or_b32 exec_lo, exec_lo, s4
	s_waitcnt lgkmcnt(0)
	s_barrier
	buffer_gl0_inv
	ds_load_b64 v[16:17], v11
	ds_load_b128 v[3:6], v19 offset:256
	ds_load_2addr_b64 v[29:32], v18 offset1:33
	ds_load_b128 v[33:36], v19 offset:272
	ds_load_b64 v[20:21], v18 offset:528
	v_cmp_eq_u32_e64 s4, 1, v7
	s_waitcnt lgkmcnt(0)
	s_barrier
	buffer_gl0_inv
	v_dual_mul_f32 v37, v4, v17 :: v_dual_mul_f32 v38, v6, v30
	v_dual_mul_f32 v17, v3, v17 :: v_dual_mul_f32 v30, v5, v30
	v_mul_f32_e32 v39, v34, v32
	s_delay_alu instid0(VALU_DEP_3) | instskip(SKIP_1) | instid1(VALU_DEP_4)
	v_fma_f32 v3, v3, v16, -v37
	v_mul_f32_e32 v32, v33, v32
	v_dual_fmac_f32 v17, v4, v16 :: v_dual_fmac_f32 v30, v6, v29
	v_fma_f32 v5, v5, v29, -v38
	s_delay_alu instid0(VALU_DEP_4) | instskip(NEXT) | instid1(VALU_DEP_4)
	v_add_f32_e32 v3, 0, v3
	v_fmac_f32_e32 v32, v34, v31
	v_mul_f32_e32 v4, v36, v21
	s_delay_alu instid0(VALU_DEP_3) | instskip(SKIP_4) | instid1(VALU_DEP_3)
	v_add_f32_e32 v3, v3, v5
	v_add_f32_e32 v6, 0, v17
	v_mul_f32_e32 v16, v35, v21
	v_fma_f32 v17, v33, v31, -v39
	v_fma_f32 v4, v35, v20, -v4
	v_dual_add_f32 v5, v6, v30 :: v_dual_fmac_f32 v16, v36, v20
	s_delay_alu instid0(VALU_DEP_3) | instskip(NEXT) | instid1(VALU_DEP_2)
	v_add_f32_e32 v3, v3, v17
	v_add_f32_e32 v5, v5, v32
	s_delay_alu instid0(VALU_DEP_2) | instskip(NEXT) | instid1(VALU_DEP_2)
	v_add_f32_e32 v3, v3, v4
	v_add_f32_e32 v4, v5, v16
	ds_store_b64 v28, v[3:4]
	s_waitcnt lgkmcnt(0)
	s_barrier
	buffer_gl0_inv
	s_and_saveexec_b32 s5, s4
	s_cbranch_execz .LBB36_93
; %bb.92:
	ds_load_2addr_b64 v[3:6], v23 offset1:7
	ds_load_2addr_b64 v[29:32], v23 offset0:1 offset1:2
	ds_load_2addr_b64 v[33:36], v23 offset0:3 offset1:4
	;; [unrolled: 1-line block ×3, first 2 shown]
	s_waitcnt lgkmcnt(2)
	v_dual_add_f32 v3, v29, v3 :: v_dual_add_f32 v4, v30, v4
	s_delay_alu instid0(VALU_DEP_1) | instskip(SKIP_1) | instid1(VALU_DEP_1)
	v_dual_add_f32 v3, v3, v31 :: v_dual_add_f32 v4, v4, v32
	s_waitcnt lgkmcnt(1)
	v_dual_add_f32 v3, v3, v33 :: v_dual_add_f32 v4, v4, v34
	s_delay_alu instid0(VALU_DEP_1) | instskip(SKIP_1) | instid1(VALU_DEP_1)
	v_dual_add_f32 v3, v3, v35 :: v_dual_add_f32 v4, v4, v36
	s_waitcnt lgkmcnt(0)
	v_dual_add_f32 v3, v3, v37 :: v_dual_add_f32 v4, v4, v38
	s_delay_alu instid0(VALU_DEP_1) | instskip(NEXT) | instid1(VALU_DEP_1)
	v_dual_add_f32 v3, v3, v39 :: v_dual_add_f32 v4, v4, v40
	v_dual_add_f32 v26, v3, v5 :: v_dual_add_f32 v27, v4, v6
.LBB36_93:
	s_or_b32 exec_lo, exec_lo, s5
	v_add_co_u32 v1, vcc_lo, 0xffffff00, v1
	v_add_co_ci_u32_e32 v2, vcc_lo, -1, v2, vcc_lo
	s_and_b32 vcc_lo, exec_lo, s26
	s_barrier
	buffer_gl0_inv
	s_cbranch_vccz .LBB36_126
; %bb.94:
	v_sub_co_u32 v3, vcc_lo, v1, v9
	s_ashr_i32 s13, s12, 31
	v_subrev_co_ci_u32_e32 v4, vcc_lo, 0, v2, vcc_lo
	s_lshl_b64 s[6:7], s[12:13], 3
	s_sub_i32 s8, s12, 32
	v_add_co_u32 v3, vcc_lo, v3, s6
	s_delay_alu instid0(VALU_DEP_2) | instskip(SKIP_1) | instid1(VALU_DEP_3)
	v_add_co_ci_u32_e32 v4, vcc_lo, s7, v4, vcc_lo
	v_cmp_le_i32_e64 s5, s8, v7
	v_add_co_u32 v3, vcc_lo, v3, -8
	s_delay_alu instid0(VALU_DEP_3) | instskip(SKIP_2) | instid1(VALU_DEP_3)
	v_add_co_ci_u32_e32 v4, vcc_lo, -1, v4, vcc_lo
	v_cmp_gt_i32_e32 vcc_lo, s12, v0
	v_add_lshl_u32 v16, v8, v0, 3
	v_dual_cndmask_b32 v4, v4, v2 :: v_dual_cndmask_b32 v3, v3, v1
	s_and_saveexec_b32 s13, s5
	s_delay_alu instid0(SALU_CYCLE_1)
	s_xor_b32 s5, exec_lo, s13
	s_cbranch_execz .LBB36_96
; %bb.95:
	v_mov_b32_e32 v5, 0
	s_delay_alu instid0(VALU_DEP_1)
	v_mov_b32_e32 v6, v5
	ds_store_b64 v16, v[5:6]
.LBB36_96:
	s_and_not1_saveexec_b32 s5, s5
	s_cbranch_execz .LBB36_98
; %bb.97:
	flat_load_b64 v[5:6], v[3:4]
	s_waitcnt vmcnt(0) lgkmcnt(0)
	ds_store_b64 v16, v[5:6]
.LBB36_98:
	s_or_b32 exec_lo, exec_lo, s5
	v_add_nc_u32_e32 v5, 8, v7
	s_delay_alu instid0(VALU_DEP_1) | instskip(NEXT) | instid1(VALU_DEP_1)
	v_cmp_le_i32_e64 s5, s8, v5
	s_and_saveexec_b32 s13, s5
	s_delay_alu instid0(SALU_CYCLE_1)
	s_xor_b32 s5, exec_lo, s13
	s_cbranch_execz .LBB36_100
; %bb.99:
	v_mul_u32_u24_e32 v6, 33, v5
	v_mov_b32_e32 v20, 0
	s_delay_alu instid0(VALU_DEP_2) | instskip(NEXT) | instid1(VALU_DEP_2)
	v_add_lshl_u32 v6, v6, v0, 3
	v_mov_b32_e32 v21, v20
	ds_store_b64 v6, v[20:21]
.LBB36_100:
	s_and_not1_saveexec_b32 s13, s5
	s_cbranch_execz .LBB36_102
; %bb.101:
	s_lshl_b64 s[22:23], s[16:17], 6
	s_delay_alu instid0(SALU_CYCLE_1) | instskip(NEXT) | instid1(VALU_DEP_1)
	v_add_co_u32 v20, s5, v3, s22
	v_add_co_ci_u32_e64 v21, s5, s23, v4, s5
	flat_load_b64 v[20:21], v[20:21]
	s_waitcnt vmcnt(0) lgkmcnt(0)
	ds_store_b64 v16, v[20:21] offset:2112
.LBB36_102:
	s_or_b32 exec_lo, exec_lo, s13
	v_add_nc_u32_e32 v6, 16, v7
	s_delay_alu instid0(VALU_DEP_1) | instskip(NEXT) | instid1(VALU_DEP_1)
	v_cmp_le_i32_e64 s5, s8, v6
	s_and_saveexec_b32 s13, s5
	s_delay_alu instid0(SALU_CYCLE_1)
	s_xor_b32 s5, exec_lo, s13
	s_cbranch_execz .LBB36_104
; %bb.103:
	v_mov_b32_e32 v20, 0
	s_delay_alu instid0(VALU_DEP_1)
	v_mov_b32_e32 v21, v20
	ds_store_b64 v16, v[20:21] offset:4224
.LBB36_104:
	s_and_not1_saveexec_b32 s13, s5
	s_cbranch_execz .LBB36_106
; %bb.105:
	s_lshl_b64 s[22:23], s[16:17], 7
	s_delay_alu instid0(SALU_CYCLE_1) | instskip(NEXT) | instid1(VALU_DEP_1)
	v_add_co_u32 v20, s5, v3, s22
	v_add_co_ci_u32_e64 v21, s5, s23, v4, s5
	flat_load_b64 v[20:21], v[20:21]
	s_waitcnt vmcnt(0) lgkmcnt(0)
	ds_store_b64 v16, v[20:21] offset:4224
.LBB36_106:
	s_or_b32 exec_lo, exec_lo, s13
	v_add_nc_u32_e32 v20, 24, v7
	s_delay_alu instid0(VALU_DEP_1) | instskip(NEXT) | instid1(VALU_DEP_1)
	v_cmp_le_i32_e64 s5, s8, v20
	s_and_saveexec_b32 s8, s5
	s_delay_alu instid0(SALU_CYCLE_1)
	s_xor_b32 s5, exec_lo, s8
	s_cbranch_execz .LBB36_108
; %bb.107:
	v_mov_b32_e32 v29, 0
	s_delay_alu instid0(VALU_DEP_1)
	v_mov_b32_e32 v30, v29
	ds_store_b64 v16, v[29:30] offset:6336
                                        ; implicit-def: $vgpr16
.LBB36_108:
	s_and_not1_saveexec_b32 s5, s5
	s_cbranch_execz .LBB36_110
; %bb.109:
	v_mad_u64_u32 v[29:30], null, 0xc0, s16, v[3:4]
	s_delay_alu instid0(VALU_DEP_1) | instskip(NEXT) | instid1(VALU_DEP_1)
	v_mov_b32_e32 v17, v30
	v_mad_u64_u32 v[30:31], null, 0xc0, s17, v[17:18]
	flat_load_b64 v[29:30], v[29:30]
	s_waitcnt vmcnt(0) lgkmcnt(0)
	ds_store_b64 v16, v[29:30] offset:6336
.LBB36_110:
	s_or_b32 exec_lo, exec_lo, s5
	v_add_co_u32 v3, s5, v3, v9
	s_delay_alu instid0(VALU_DEP_1) | instskip(NEXT) | instid1(VALU_DEP_2)
	v_add_co_ci_u32_e64 v4, s5, 0, v4, s5
	v_sub_co_u32 v3, s5, v3, s6
	s_delay_alu instid0(VALU_DEP_1) | instskip(NEXT) | instid1(VALU_DEP_2)
	v_subrev_co_ci_u32_e64 v4, s5, s7, v4, s5
	v_add_co_u32 v3, s5, v3, 8
	s_delay_alu instid0(VALU_DEP_1) | instskip(NEXT) | instid1(VALU_DEP_1)
	v_add_co_ci_u32_e64 v4, s5, 0, v4, s5
	v_dual_cndmask_b32 v16, v3, v1 :: v_dual_cndmask_b32 v17, v4, v2
	s_branch .LBB36_128
.LBB36_111:
	s_mov_b32 s8, exec_lo
	v_cmpx_eq_u32_e64 v19, v0
	s_cbranch_execz .LBB36_113
; %bb.112:
	v_mul_u32_u24_e32 v3, 34, v0
	s_delay_alu instid0(VALU_DEP_1)
	v_dual_mov_b32 v4, 0 :: v_dual_lshlrev_b32 v3, 3, v3
	ds_store_b32 v3, v4 offset:4
.LBB36_113:
	s_or_b32 exec_lo, exec_lo, s8
	s_and_not1_saveexec_b32 s4, s4
	s_cbranch_execz .LBB36_84
.LBB36_114:
	ds_load_b64 v[3:4], v11
	s_waitcnt lgkmcnt(0)
	v_xor_b32_e32 v4, 0x80000000, v4
	ds_store_b64 v16, v[3:4]
	s_or_b32 exec_lo, exec_lo, s4
	s_and_saveexec_b32 s4, s5
	s_delay_alu instid0(SALU_CYCLE_1)
	s_xor_b32 s4, exec_lo, s4
	s_cbranch_execz .LBB36_85
.LBB36_115:
	ds_load_b64 v[3:4], v18
                                        ; implicit-def: $vgpr17
	s_waitcnt lgkmcnt(0)
	v_xor_b32_e32 v4, 0x80000000, v4
	ds_store_b64 v16, v[3:4] offset:8
	s_and_not1_saveexec_b32 s4, s4
	s_cbranch_execz .LBB36_86
.LBB36_116:
	s_mov_b32 s5, exec_lo
	v_cmpx_eq_u32_e64 v17, v0
	s_cbranch_execz .LBB36_118
; %bb.117:
	v_mul_u32_u24_e32 v3, 34, v0
	s_delay_alu instid0(VALU_DEP_1)
	v_dual_mov_b32 v4, 0 :: v_dual_lshlrev_b32 v3, 3, v3
	ds_store_b32 v3, v4 offset:4
.LBB36_118:
	s_or_b32 exec_lo, exec_lo, s5
	s_delay_alu instid0(SALU_CYCLE_1) | instskip(SKIP_1) | instid1(SALU_CYCLE_1)
	s_or_b32 exec_lo, exec_lo, s4
	s_and_saveexec_b32 s4, s6
	s_xor_b32 s4, exec_lo, s4
	s_cbranch_execz .LBB36_87
.LBB36_119:
	s_mov_b32 s5, exec_lo
	v_cmpx_eq_u32_e64 v20, v0
	s_cbranch_execz .LBB36_121
; %bb.120:
	v_mul_u32_u24_e32 v3, 34, v0
	s_delay_alu instid0(VALU_DEP_1)
	v_dual_mov_b32 v4, 0 :: v_dual_lshlrev_b32 v3, 3, v3
	ds_store_b32 v3, v4 offset:4
.LBB36_121:
	s_or_b32 exec_lo, exec_lo, s5
	s_and_not1_saveexec_b32 s4, s4
	s_cbranch_execz .LBB36_88
.LBB36_122:
	ds_load_b64 v[3:4], v18 offset:264
	s_waitcnt lgkmcnt(0)
	v_xor_b32_e32 v4, 0x80000000, v4
	ds_store_b64 v16, v[3:4] offset:16
	s_or_b32 exec_lo, exec_lo, s4
	s_and_saveexec_b32 s4, s7
	s_delay_alu instid0(SALU_CYCLE_1)
	s_xor_b32 s4, exec_lo, s4
	s_cbranch_execz .LBB36_89
.LBB36_123:
	s_mov_b32 s5, exec_lo
	v_cmpx_eq_u32_e64 v21, v0
	s_cbranch_execz .LBB36_125
; %bb.124:
	v_mul_u32_u24_e32 v3, 34, v0
	s_delay_alu instid0(VALU_DEP_1)
	v_dual_mov_b32 v4, 0 :: v_dual_lshlrev_b32 v3, 3, v3
	ds_store_b32 v3, v4 offset:4
.LBB36_125:
	s_or_b32 exec_lo, exec_lo, s5
                                        ; implicit-def: $vgpr16
	s_or_saveexec_b32 s4, s4
	v_add_nc_u32_e32 v19, 0x2380, v29
	s_xor_b32 exec_lo, exec_lo, s4
	s_cbranch_execnz .LBB36_90
	s_branch .LBB36_91
.LBB36_126:
                                        ; implicit-def: $vgpr16_vgpr17
                                        ; implicit-def: $vgpr5
                                        ; implicit-def: $vgpr6
                                        ; implicit-def: $vgpr20
	s_cbranch_execz .LBB36_128
; %bb.127:
	flat_load_b64 v[3:4], v[1:2]
	s_lshl_b64 s[6:7], s[16:17], 6
	v_add_lshl_u32 v21, v8, v0, 3
	v_add_co_u32 v5, vcc_lo, v1, s6
	v_add_co_ci_u32_e32 v6, vcc_lo, s7, v2, vcc_lo
	v_dual_mov_b32 v17, v2 :: v_dual_add_nc_u32 v20, 24, v7
	v_mov_b32_e32 v16, v1
	s_waitcnt vmcnt(0) lgkmcnt(0)
	ds_store_b64 v21, v[3:4]
	flat_load_b64 v[3:4], v[5:6]
	v_add_co_u32 v5, vcc_lo, v5, s6
	v_add_co_ci_u32_e32 v6, vcc_lo, s7, v6, vcc_lo
	s_waitcnt vmcnt(0) lgkmcnt(0)
	ds_store_b64 v21, v[3:4] offset:2112
	flat_load_b64 v[3:4], v[5:6]
	v_mad_u64_u32 v[5:6], null, 0xc0, s16, v[1:2]
	s_delay_alu instid0(VALU_DEP_1) | instskip(NEXT) | instid1(VALU_DEP_1)
	v_mov_b32_e32 v0, v6
	v_mad_u64_u32 v[8:9], null, 0xc0, s17, v[0:1]
	s_delay_alu instid0(VALU_DEP_1)
	v_mov_b32_e32 v6, v8
	s_waitcnt vmcnt(0) lgkmcnt(0)
	ds_store_b64 v21, v[3:4] offset:4224
	flat_load_b64 v[3:4], v[5:6]
	v_add_nc_u32_e32 v5, 8, v7
	v_add_nc_u32_e32 v6, 16, v7
	s_waitcnt vmcnt(0) lgkmcnt(0)
	ds_store_b64 v21, v[3:4] offset:6336
.LBB36_128:
	v_lshlrev_b32_e32 v0, 3, v7
	v_add_lshl_u32 v1, v5, v10, 3
	v_lshlrev_b32_e32 v2, 3, v5
	s_waitcnt lgkmcnt(0)
	s_barrier
	buffer_gl0_inv
	ds_load_b64 v[29:30], v28
	ds_load_b64 v[31:32], v0 offset:9088
	ds_load_b64 v[33:34], v1
	ds_load_b64 v[35:36], v2 offset:9088
	v_add_lshl_u32 v3, v6, v10, 3
	v_add_lshl_u32 v0, v20, v10, 3
	v_lshlrev_b32_e32 v1, 3, v20
	s_waitcnt lgkmcnt(2)
	v_mul_f32_e32 v45, v30, v32
	v_mul_f32_e32 v30, v30, v31
	s_delay_alu instid0(VALU_DEP_2)
	v_dual_fmac_f32 v45, v29, v31 :: v_dual_lshlrev_b32 v4, 3, v6
	ds_load_b64 v[37:38], v3
	ds_load_b64 v[39:40], v4 offset:9088
	ds_load_b64 v[41:42], v0
	ds_load_b64 v[43:44], v1 offset:9088
	ds_load_b64 v[20:21], v11
	ds_load_b128 v[8:11], v19 offset:256
	ds_load_2addr_b64 v[4:7], v18 offset1:33
	ds_load_b128 v[0:3], v19 offset:272
	ds_load_b64 v[18:19], v18 offset:528
	v_fma_f32 v29, v29, v32, -v30
	s_waitcnt lgkmcnt(9)
	v_mul_f32_e32 v46, v34, v36
	s_waitcnt lgkmcnt(0)
	v_add_f32_e32 v32, 0, v45
	s_barrier
	s_delay_alu instid0(VALU_DEP_2) | instskip(SKIP_2) | instid1(VALU_DEP_1)
	v_dual_add_f32 v29, 0, v29 :: v_dual_fmac_f32 v46, v33, v35
	buffer_gl0_inv
	v_dual_add_f32 v32, v32, v46 :: v_dual_mul_f32 v47, v38, v40
	v_dual_mul_f32 v30, v42, v44 :: v_dual_fmac_f32 v47, v37, v39
	s_delay_alu instid0(VALU_DEP_1) | instskip(NEXT) | instid1(VALU_DEP_2)
	v_fmac_f32_e32 v30, v41, v43
	v_add_f32_e32 v32, v32, v47
	v_mul_f32_e32 v34, v34, v35
	s_delay_alu instid0(VALU_DEP_1) | instskip(SKIP_1) | instid1(VALU_DEP_2)
	v_fma_f32 v31, v33, v36, -v34
	v_mul_f32_e32 v33, v42, v43
	v_add_f32_e32 v29, v29, v31
	v_mul_f32_e32 v38, v38, v39
	s_delay_alu instid0(VALU_DEP_3) | instskip(NEXT) | instid1(VALU_DEP_2)
	v_fma_f32 v31, v41, v44, -v33
	v_fma_f32 v34, v37, v40, -v38
	s_delay_alu instid0(VALU_DEP_1) | instskip(NEXT) | instid1(VALU_DEP_1)
	v_add_f32_e32 v33, v29, v34
	v_dual_add_f32 v29, v32, v30 :: v_dual_add_f32 v30, v33, v31
	ds_store_b64 v28, v[29:30]
	s_waitcnt lgkmcnt(0)
	s_barrier
	buffer_gl0_inv
	s_and_saveexec_b32 s5, s4
	s_cbranch_execz .LBB36_130
; %bb.129:
	ds_load_2addr_b64 v[29:32], v23 offset1:1
	ds_load_2addr_b64 v[33:36], v23 offset0:2 offset1:3
	ds_load_2addr_b64 v[37:40], v23 offset0:4 offset1:5
	s_waitcnt lgkmcnt(2)
	v_dual_add_f32 v26, v26, v29 :: v_dual_add_f32 v27, v27, v30
	s_delay_alu instid0(VALU_DEP_1) | instskip(SKIP_3) | instid1(VALU_DEP_1)
	v_dual_add_f32 v26, v26, v31 :: v_dual_add_f32 v27, v27, v32
	ds_load_2addr_b64 v[29:32], v23 offset0:6 offset1:7
	s_waitcnt lgkmcnt(2)
	v_dual_add_f32 v26, v26, v33 :: v_dual_add_f32 v27, v27, v34
	v_dual_add_f32 v26, v26, v35 :: v_dual_add_f32 v27, v27, v36
	s_waitcnt lgkmcnt(1)
	s_delay_alu instid0(VALU_DEP_1) | instskip(NEXT) | instid1(VALU_DEP_1)
	v_dual_add_f32 v26, v26, v37 :: v_dual_add_f32 v27, v27, v38
	v_dual_add_f32 v26, v26, v39 :: v_dual_add_f32 v27, v27, v40
	s_waitcnt lgkmcnt(0)
	s_delay_alu instid0(VALU_DEP_1) | instskip(NEXT) | instid1(VALU_DEP_1)
	v_dual_add_f32 v26, v26, v29 :: v_dual_add_f32 v27, v27, v30
	v_dual_add_f32 v26, v26, v31 :: v_dual_add_f32 v27, v27, v32
.LBB36_130:
	s_or_b32 exec_lo, exec_lo, s5
	v_mul_f32_e32 v29, v9, v21
	v_mul_f32_e32 v21, v8, v21
	v_dual_mul_f32 v30, v11, v5 :: v_dual_mul_f32 v31, v1, v7
	s_delay_alu instid0(VALU_DEP_3) | instskip(NEXT) | instid1(VALU_DEP_3)
	v_fma_f32 v8, v8, v20, -v29
	v_fmac_f32_e32 v21, v9, v20
	v_mul_f32_e32 v7, v0, v7
	s_delay_alu instid0(VALU_DEP_4)
	v_fma_f32 v0, v0, v6, -v31
	s_barrier
	v_dual_add_f32 v8, 0, v8 :: v_dual_mul_f32 v5, v10, v5
	v_fma_f32 v10, v10, v4, -v30
	buffer_gl0_inv
	v_dual_add_f32 v8, v8, v10 :: v_dual_mul_f32 v9, v3, v19
	v_fmac_f32_e32 v5, v11, v4
	s_delay_alu instid0(VALU_DEP_2) | instskip(NEXT) | instid1(VALU_DEP_3)
	v_dual_mul_f32 v11, v2, v19 :: v_dual_add_f32 v0, v8, v0
	v_fma_f32 v2, v2, v18, -v9
	s_delay_alu instid0(VALU_DEP_2) | instskip(NEXT) | instid1(VALU_DEP_2)
	v_fmac_f32_e32 v11, v3, v18
	v_add_f32_e32 v0, v0, v2
	v_dual_add_f32 v4, 0, v21 :: v_dual_fmac_f32 v7, v1, v6
	s_delay_alu instid0(VALU_DEP_1) | instskip(NEXT) | instid1(VALU_DEP_1)
	v_add_f32_e32 v1, v4, v5
	v_add_f32_e32 v1, v1, v7
	s_delay_alu instid0(VALU_DEP_1)
	v_add_f32_e32 v1, v1, v11
	ds_store_b64 v28, v[0:1]
	s_waitcnt lgkmcnt(0)
	s_barrier
	buffer_gl0_inv
	s_and_saveexec_b32 s4, s3
	s_cbranch_execz .LBB36_132
; %bb.131:
	ds_load_2addr_b64 v[0:3], v23 offset1:1
	ds_load_2addr_b64 v[4:7], v23 offset0:2 offset1:3
	ds_load_2addr_b64 v[8:11], v23 offset0:4 offset1:5
	s_waitcnt lgkmcnt(2)
	v_dual_add_f32 v0, v26, v0 :: v_dual_add_f32 v1, v27, v1
	s_delay_alu instid0(VALU_DEP_1) | instskip(SKIP_3) | instid1(VALU_DEP_1)
	v_dual_add_f32 v18, v0, v2 :: v_dual_add_f32 v19, v1, v3
	ds_load_2addr_b64 v[0:3], v23 offset0:6 offset1:7
	s_waitcnt lgkmcnt(2)
	v_dual_add_f32 v4, v18, v4 :: v_dual_add_f32 v5, v19, v5
	v_dual_add_f32 v4, v4, v6 :: v_dual_add_f32 v5, v5, v7
	s_waitcnt lgkmcnt(1)
	s_delay_alu instid0(VALU_DEP_1) | instskip(NEXT) | instid1(VALU_DEP_1)
	v_dual_add_f32 v4, v4, v8 :: v_dual_add_f32 v5, v5, v9
	v_dual_add_f32 v4, v4, v10 :: v_dual_add_f32 v5, v5, v11
	s_waitcnt lgkmcnt(0)
	s_delay_alu instid0(VALU_DEP_1) | instskip(NEXT) | instid1(VALU_DEP_1)
	v_dual_add_f32 v0, v4, v0 :: v_dual_add_f32 v1, v5, v1
	v_dual_add_f32 v26, v0, v2 :: v_dual_add_f32 v27, v1, v3
.LBB36_132:
	s_or_b32 exec_lo, exec_lo, s4
	s_load_b64 s[0:1], s[0:1], 0x68
	s_mul_hi_u32 s3, s24, s20
	s_mul_i32 s25, s25, s20
	s_mul_i32 s4, s24, s20
	s_add_i32 s3, s3, s25
	s_mul_hi_u32 s5, s4, s15
	s_mul_i32 s3, s3, s15
	s_mul_i32 s4, s4, s15
	s_add_i32 s5, s5, s3
	s_mul_hi_i32 s7, s24, s14
	s_lshl_b64 s[4:5], s[4:5], 3
	s_mul_i32 s6, s24, s14
	v_lshlrev_b32_e32 v95, 3, v93
	s_waitcnt lgkmcnt(0)
	s_barrier
	buffer_gl0_inv
	s_add_u32 s3, s0, s4
	s_addc_u32 s4, s1, s5
	s_lshl_b64 s[0:1], s[6:7], 3
	s_delay_alu instid0(SALU_CYCLE_1) | instskip(SKIP_2) | instid1(SALU_CYCLE_1)
	s_add_u32 s3, s3, s0
	s_addc_u32 s6, s4, s1
	s_add_i32 s0, s14, 1
	s_cmp_ge_u32 s0, s15
	s_cbranch_scc1 .LBB36_190
; %bb.133:
	v_and_b32_e32 v6, 48, v93
	v_lshrrev_b32_e32 v8, 4, v22
	v_lshlrev_b32_e32 v9, 5, v94
	v_dual_mov_b32 v28, 0 :: v_dual_and_b32 v7, 15, v93
	s_delay_alu instid0(VALU_DEP_4)
	v_lshlrev_b32_e32 v0, 3, v6
	v_or_b32_e32 v1, 0x78, v95
	v_lshlrev_b32_e32 v2, 5, v8
	v_add_nc_u32_e32 v10, 0x110, v9
	v_add_nc_u32_e32 v11, 0x298, v9
	v_mad_u32_u24 v101, 0x218, v7, v0
	v_mad_u32_u24 v102, 0x218, v7, v1
	;; [unrolled: 1-line block ×3, first 2 shown]
	v_mad_u64_u32 v[0:1], null, s16, v10, 0
	v_mad_u64_u32 v[2:3], null, s16, v11, 0
	s_mul_i32 s0, s18, s11
	s_mul_hi_u32 s1, s18, s10
	s_mul_i32 s4, s19, s10
	s_add_i32 s0, s1, s0
	v_lshlrev_b32_e32 v96, 2, v94
	s_add_i32 s1, s0, s4
	s_delay_alu instid0(VALU_DEP_2)
	v_mad_u64_u32 v[4:5], null, s17, v10, v[1:2]
	v_mov_b32_e32 v1, v3
	v_mul_i32_i24_e32 v10, 0xffffffe8, v8
	v_add_nc_u32_e32 v8, 0x108, v9
	s_mul_i32 s0, s18, s10
	v_or_b32_e32 v121, v6, v7
	s_lshl_b64 s[0:1], s[0:1], 3
	v_mov_b32_e32 v7, v4
	v_mad_u64_u32 v[5:6], null, s16, v8, 0
	v_sub_co_u32 v97, vcc_lo, v14, s0
	v_mad_u64_u32 v[3:4], null, s17, v11, v[1:2]
	v_subrev_co_ci_u32_e32 v98, vcc_lo, s1, v15, vcc_lo
	v_sub_co_u32 v1, vcc_lo, v0, v12
	v_dual_mov_b32 v0, v6 :: v_dual_add_nc_u32 v99, 0x2180, v95
	v_sub_co_ci_u32_e32 v4, vcc_lo, v7, v13, vcc_lo
	s_delay_alu instid0(VALU_DEP_3) | instskip(SKIP_1) | instid1(VALU_DEP_3)
	v_add_co_u32 v122, vcc_lo, v16, v1
	v_mov_b32_e32 v7, v3
	v_add_co_ci_u32_e32 v123, vcc_lo, v17, v4, vcc_lo
	v_mad_u64_u32 v[3:4], null, s17, v8, v[0:1]
	v_sub_co_u32 v2, vcc_lo, v2, v12
	s_delay_alu instid0(VALU_DEP_4) | instskip(SKIP_1) | instid1(VALU_DEP_3)
	v_sub_co_ci_u32_e32 v4, vcc_lo, v7, v13, vcc_lo
	v_cmp_gt_u32_e64 s0, 64, v22
	v_add_co_u32 v124, vcc_lo, v16, v2
	s_delay_alu instid0(VALU_DEP_3)
	v_add_co_ci_u32_e32 v125, vcc_lo, v17, v4, vcc_lo
	v_mov_b32_e32 v4, v3
	v_add_nc_u32_e32 v6, 0x280, v9
	v_add_nc_u32_e32 v11, 0x100, v9
	;; [unrolled: 1-line block ×3, first 2 shown]
	v_sub_co_u32 v7, vcc_lo, v5, v12
	s_delay_alu instid0(VALU_DEP_4) | instskip(NEXT) | instid1(VALU_DEP_4)
	v_mad_u64_u32 v[0:1], null, s16, v6, 0
	v_mad_u64_u32 v[2:3], null, s16, v11, 0
	v_sub_co_ci_u32_e32 v8, vcc_lo, v4, v13, vcc_lo
	v_add_nc_u32_e32 v100, 0x2380, v95
	v_add_co_u32 v126, vcc_lo, v16, v7
	s_delay_alu instid0(VALU_DEP_3)
	v_add_co_ci_u32_e32 v127, vcc_lo, v17, v8, vcc_lo
	v_mad_u64_u32 v[4:5], null, s17, v6, v[1:2]
	v_mov_b32_e32 v1, v3
	v_mad_u64_u32 v[5:6], null, s16, v14, 0
	v_add_nc_u32_e32 v110, 17, v96
	v_add_nc_u32_e32 v15, 0x180, v9
	s_delay_alu instid0(VALU_DEP_4) | instskip(SKIP_4) | instid1(VALU_DEP_4)
	v_mad_u64_u32 v[7:8], null, s17, v11, v[1:2]
	v_mov_b32_e32 v3, v4
	v_add_nc_u32_e32 v11, 0x118, v9
	v_mov_b32_e32 v1, v6
	v_sub_co_u32 v6, vcc_lo, v0, v12
	v_sub_co_ci_u32_e32 v8, vcc_lo, v3, v13, vcc_lo
	s_delay_alu instid0(VALU_DEP_3) | instskip(SKIP_1) | instid1(VALU_DEP_4)
	v_mad_u64_u32 v[3:4], null, s17, v14, v[1:2]
	v_mad_u64_u32 v[0:1], null, s16, v11, 0
	v_add_co_u32 v128, vcc_lo, v16, v6
	s_delay_alu instid0(VALU_DEP_4)
	v_add_co_ci_u32_e32 v129, vcc_lo, v17, v8, vcc_lo
	v_add_nc_u32_e32 v107, 0x2180, v9
	v_sub_co_u32 v6, vcc_lo, v2, v12
	v_mov_b32_e32 v2, v3
	v_add_nc_u32_e32 v8, 0x190, v9
	v_sub_co_ci_u32_e32 v7, vcc_lo, v7, v13, vcc_lo
	v_sub_co_u32 v5, vcc_lo, v5, v12
	s_delay_alu instid0(VALU_DEP_4)
	v_sub_co_ci_u32_e32 v14, vcc_lo, v2, v13, vcc_lo
	v_mad_u64_u32 v[2:3], null, s17, v11, v[1:2]
	v_mad_u64_u32 v[3:4], null, s16, v8, 0
	v_add_co_u32 v130, vcc_lo, v16, v6
	v_add_co_ci_u32_e32 v131, vcc_lo, v17, v7, vcc_lo
	v_add_co_u32 v132, vcc_lo, v16, v5
	v_add_co_ci_u32_e32 v133, vcc_lo, v17, v14, vcc_lo
	v_sub_co_u32 v0, vcc_lo, v0, v12
	v_mov_b32_e32 v1, v4
	v_sub_co_ci_u32_e32 v2, vcc_lo, v2, v13, vcc_lo
	v_add_nc_u32_e32 v11, 0x290, v9
	s_delay_alu instid0(VALU_DEP_4) | instskip(NEXT) | instid1(VALU_DEP_3)
	v_add_co_u32 v134, vcc_lo, v16, v0
	v_mad_u64_u32 v[6:7], null, s17, v8, v[1:2]
	s_delay_alu instid0(VALU_DEP_3) | instskip(SKIP_4) | instid1(VALU_DEP_4)
	v_mad_u64_u32 v[4:5], null, s16, v11, 0
	v_add_nc_u32_e32 v7, 0x218, v9
	v_add_co_ci_u32_e32 v135, vcc_lo, v17, v2, vcc_lo
	v_add_nc_u32_e32 v109, 16, v96
	v_dual_mov_b32 v8, v6 :: v_dual_add_nc_u32 v111, 18, v96
	v_mad_u64_u32 v[1:2], null, s16, v7, 0
	v_mov_b32_e32 v0, v5
	v_sub_co_u32 v3, vcc_lo, v3, v12
	v_add_nc_u32_e32 v113, 32, v96
	v_or_b32_e32 v104, 1, v96
	v_or_b32_e32 v105, 2, v96
	v_mad_u64_u32 v[5:6], null, s17, v11, v[0:1]
	v_mov_b32_e32 v0, v2
	v_sub_co_ci_u32_e32 v6, vcc_lo, v8, v13, vcc_lo
	v_add_nc_u32_e32 v112, 19, v96
	v_add_co_u32 v136, vcc_lo, v16, v3
	v_dual_mov_b32 v11, v5 :: v_dual_add_nc_u32 v8, 0x188, v9
	s_delay_alu instid0(VALU_DEP_4) | instskip(SKIP_2) | instid1(VALU_DEP_4)
	v_add_co_ci_u32_e32 v137, vcc_lo, v17, v6, vcc_lo
	v_mad_u64_u32 v[2:3], null, s17, v7, v[0:1]
	v_sub_co_u32 v0, vcc_lo, v4, v12
	v_mad_u64_u32 v[5:6], null, s16, v8, 0
	v_sub_co_ci_u32_e32 v3, vcc_lo, v11, v13, vcc_lo
	v_add_nc_u32_e32 v11, 0x200, v9
	s_delay_alu instid0(VALU_DEP_4) | instskip(SKIP_1) | instid1(VALU_DEP_4)
	v_add_co_u32 v138, vcc_lo, v16, v0
	v_dual_mov_b32 v4, v2 :: v_dual_add_nc_u32 v115, 34, v96
	v_add_co_ci_u32_e32 v139, vcc_lo, v17, v3, vcc_lo
	s_delay_alu instid0(VALU_DEP_4) | instskip(SKIP_4) | instid1(VALU_DEP_3)
	v_mad_u64_u32 v[2:3], null, s16, v11, 0
	v_dual_mov_b32 v0, v6 :: v_dual_add_nc_u32 v117, 48, v96
	v_sub_co_u32 v1, vcc_lo, v1, v12
	v_sub_co_ci_u32_e32 v14, vcc_lo, v4, v13, vcc_lo
	v_or_b32_e32 v106, 3, v96
	v_mad_u64_u32 v[6:7], null, s17, v8, v[0:1]
	v_mov_b32_e32 v0, v3
	v_mad_u64_u32 v[3:4], null, s16, v15, 0
	v_add_nc_u32_e32 v114, 33, v96
	v_add_nc_u32_e32 v119, 50, v96
	v_add_co_u32 v140, vcc_lo, v16, v1
	v_mad_u64_u32 v[7:8], null, s17, v11, v[0:1]
	v_dual_mov_b32 v0, v4 :: v_dual_mov_b32 v1, v6
	v_add_nc_u32_e32 v11, 0x208, v9
	v_add_co_ci_u32_e32 v141, vcc_lo, v17, v14, vcc_lo
	v_sub_co_u32 v6, vcc_lo, v5, v12
	s_delay_alu instid0(VALU_DEP_4) | instskip(SKIP_2) | instid1(VALU_DEP_4)
	v_sub_co_ci_u32_e32 v8, vcc_lo, v1, v13, vcc_lo
	v_mad_u64_u32 v[4:5], null, s17, v15, v[0:1]
	v_mad_u64_u32 v[0:1], null, s16, v11, 0
	v_add_co_u32 v142, vcc_lo, v16, v6
	v_add_nc_u32_e32 v15, 0x198, v9
	v_add_nc_u32_e32 v9, 0x210, v9
	v_add_co_ci_u32_e32 v143, vcc_lo, v17, v8, vcc_lo
	v_sub_co_u32 v8, vcc_lo, v2, v12
	v_mov_b32_e32 v14, v4
	v_mad_u64_u32 v[4:5], null, s17, v11, v[1:2]
	v_sub_co_ci_u32_e32 v7, vcc_lo, v7, v13, vcc_lo
	v_mad_u64_u32 v[5:6], null, s16, v9, 0
	v_add_co_u32 v144, vcc_lo, v16, v8
	v_mad_u64_u32 v[1:2], null, s16, v15, 0
	s_delay_alu instid0(VALU_DEP_4)
	v_add_co_ci_u32_e32 v145, vcc_lo, v17, v7, vcc_lo
	v_sub_co_u32 v11, vcc_lo, v3, v12
	v_dual_mov_b32 v3, v6 :: v_dual_add_nc_u32 v116, 35, v96
	v_sub_co_ci_u32_e32 v14, vcc_lo, v14, v13, vcc_lo
	v_sub_co_u32 v0, vcc_lo, v0, v12
	v_sub_co_ci_u32_e32 v4, vcc_lo, v4, v13, vcc_lo
	s_delay_alu instid0(VALU_DEP_4) | instskip(SKIP_1) | instid1(VALU_DEP_3)
	v_mad_u64_u32 v[6:7], null, s17, v15, v[2:3]
	v_add_co_u32 v146, vcc_lo, v16, v11
	v_mad_u64_u32 v[7:8], null, s17, v9, v[3:4]
	v_add_co_ci_u32_e32 v147, vcc_lo, v17, v14, vcc_lo
	v_add_co_u32 v148, vcc_lo, v16, v0
	v_mov_b32_e32 v0, v6
	v_add_co_ci_u32_e32 v149, vcc_lo, v17, v4, vcc_lo
	v_mov_b32_e32 v2, v7
	v_sub_co_u32 v1, vcc_lo, v1, v12
	s_delay_alu instid0(VALU_DEP_4) | instskip(SKIP_1) | instid1(VALU_DEP_4)
	v_sub_co_ci_u32_e32 v0, vcc_lo, v0, v13, vcc_lo
	v_sub_co_u32 v3, vcc_lo, v5, v12
	v_sub_co_ci_u32_e32 v2, vcc_lo, v2, v13, vcc_lo
	s_delay_alu instid0(VALU_DEP_4) | instskip(NEXT) | instid1(VALU_DEP_4)
	v_add_co_u32 v150, vcc_lo, v16, v1
	v_add_co_ci_u32_e32 v151, vcc_lo, v17, v0, vcc_lo
	s_delay_alu instid0(VALU_DEP_4)
	v_add_co_u32 v152, vcc_lo, v16, v3
	v_mad_u32_u24 v108, 0x860, v94, v95
	v_add_nc_u32_e32 v118, 49, v96
	v_add_nc_u32_e32 v120, 51, v96
	v_add_co_ci_u32_e32 v153, vcc_lo, v17, v2, vcc_lo
	v_add_nc_u32_e32 v154, v103, v10
	s_add_i32 s7, s15, -2
	s_add_i32 s8, s18, 64
	s_lshl_b64 s[4:5], s[16:17], 9
	s_cmp_eq_u32 s7, s14
	s_cselect_b32 s13, s21, 0
	s_and_saveexec_b32 s1, s2
	s_cbranch_execz .LBB36_138
.LBB36_134:
	v_cmp_le_i32_e32 vcc_lo, s13, v93
	s_cmp_lg_u32 s13, 0
	s_cselect_b32 s16, -1, 0
	s_delay_alu instid0(SALU_CYCLE_1) | instskip(NEXT) | instid1(SALU_CYCLE_1)
	s_and_b32 s16, s16, vcc_lo
	s_and_saveexec_b32 s17, s16
	s_delay_alu instid0(SALU_CYCLE_1)
	s_xor_b32 s16, exec_lo, s17
	s_cbranch_execz .LBB36_136
; %bb.135:
	v_mov_b32_e32 v29, v28
	ds_store_b64 v99, v[28:29]
.LBB36_136:
	s_and_not1_saveexec_b32 s16, s16
	s_cbranch_execz .LBB36_138
; %bb.137:
	s_mul_i32 s16, s8, s11
	s_mul_hi_u32 s17, s8, s10
	s_ashr_i32 s18, s8, 31
	s_add_i32 s16, s17, s16
	s_mul_i32 s18, s18, s10
	s_delay_alu instid0(SALU_CYCLE_1) | instskip(SKIP_1) | instid1(SALU_CYCLE_1)
	s_add_i32 s17, s16, s18
	s_mul_i32 s16, s8, s10
	s_lshl_b64 s[16:17], s[16:17], 3
	s_delay_alu instid0(SALU_CYCLE_1)
	v_add_co_u32 v0, vcc_lo, v97, s16
	v_add_co_ci_u32_e32 v1, vcc_lo, s17, v98, vcc_lo
	flat_load_b64 v[0:1], v[0:1]
	s_waitcnt vmcnt(0) lgkmcnt(0)
	ds_store_b64 v99, v[0:1]
.LBB36_138:                             ; =>This Inner Loop Header: Depth=1
	s_or_b32 exec_lo, exec_lo, s1
	s_cmp_eq_u32 s13, 0
	v_add_co_u32 v0, vcc_lo, v130, v95
	s_cselect_b32 s16, -1, 0
	s_cmp_lg_u32 s13, 0
	v_add_co_ci_u32_e32 v1, vcc_lo, 0, v131, vcc_lo
	s_cselect_b32 s1, -1, 0
	s_waitcnt lgkmcnt(0)
	s_and_b32 vcc_lo, exec_lo, s1
	s_barrier
	buffer_gl0_inv
	s_cbranch_vccz .LBB36_146
; %bb.139:                              ;   in Loop: Header=BB36_138 Depth=1
	v_dual_mov_b32 v31, 0 :: v_dual_mov_b32 v30, 0
	v_mov_b32_e32 v29, 0
	s_mov_b32 s17, exec_lo
	v_cmpx_gt_i32_e64 s13, v96
	s_cbranch_execz .LBB36_141
; %bb.140:                              ;   in Loop: Header=BB36_138 Depth=1
	flat_load_b64 v[29:30], v[0:1]
.LBB36_141:                             ;   in Loop: Header=BB36_138 Depth=1
	s_or_b32 exec_lo, exec_lo, s17
	v_mov_b32_e32 v32, 0
	s_mov_b32 s17, exec_lo
	v_cmpx_gt_i32_e64 s13, v104
	s_cbranch_execz .LBB36_143
; %bb.142:                              ;   in Loop: Header=BB36_138 Depth=1
	v_add_co_u32 v2, vcc_lo, v126, v95
	v_add_co_ci_u32_e32 v3, vcc_lo, 0, v127, vcc_lo
	flat_load_b64 v[31:32], v[2:3]
.LBB36_143:                             ;   in Loop: Header=BB36_138 Depth=1
	s_or_b32 exec_lo, exec_lo, s17
	v_dual_mov_b32 v33, 0 :: v_dual_mov_b32 v34, 0
	s_mov_b32 s19, 0
	s_mov_b32 s17, exec_lo
	v_cmpx_gt_i32_e64 s13, v105
	s_cbranch_execz .LBB36_145
; %bb.144:                              ;   in Loop: Header=BB36_138 Depth=1
	v_add_co_u32 v2, vcc_lo, v122, v95
	v_add_co_ci_u32_e32 v3, vcc_lo, 0, v123, vcc_lo
	flat_load_b64 v[33:34], v[2:3]
.LBB36_145:                             ;   in Loop: Header=BB36_138 Depth=1
	s_or_b32 exec_lo, exec_lo, s17
	v_cmp_gt_i32_e64 s17, s13, v106
	s_mov_b32 s18, 0
	s_and_b32 vcc_lo, exec_lo, s19
	s_cbranch_vccnz .LBB36_147
	s_branch .LBB36_148
.LBB36_146:                             ;   in Loop: Header=BB36_138 Depth=1
	s_mov_b32 s17, 0
                                        ; implicit-def: $vgpr30
                                        ; implicit-def: $vgpr32
                                        ; implicit-def: $vgpr34
                                        ; implicit-def: $sgpr18
	s_cbranch_execz .LBB36_148
.LBB36_147:                             ;   in Loop: Header=BB36_138 Depth=1
	v_add_co_u32 v2, vcc_lo, v126, v95
	v_add_co_ci_u32_e32 v3, vcc_lo, 0, v127, vcc_lo
	v_add_co_u32 v4, vcc_lo, v122, v95
	v_add_co_ci_u32_e32 v5, vcc_lo, 0, v123, vcc_lo
	s_waitcnt vmcnt(0) lgkmcnt(0)
	flat_load_b64 v[29:30], v[0:1]
	flat_load_b64 v[31:32], v[2:3]
	;; [unrolled: 1-line block ×3, first 2 shown]
	s_or_b32 s17, s17, exec_lo
                                        ; implicit-def: $sgpr18
.LBB36_148:                             ;   in Loop: Header=BB36_138 Depth=1
	v_dual_mov_b32 v35, s18 :: v_dual_mov_b32 v36, s18
	s_and_saveexec_b32 s18, s17
	s_cbranch_execz .LBB36_150
; %bb.149:                              ;   in Loop: Header=BB36_138 Depth=1
	v_add_co_u32 v0, vcc_lo, v134, v95
	v_add_co_ci_u32_e32 v1, vcc_lo, 0, v135, vcc_lo
	flat_load_b64 v[35:36], v[0:1]
.LBB36_150:                             ;   in Loop: Header=BB36_138 Depth=1
	s_or_b32 exec_lo, exec_lo, s18
	ds_load_b64 v[0:1], v100
	ds_load_b64 v[37:38], v107
	v_cndmask_b32_e64 v77, 0, 1, s1
	s_waitcnt vmcnt(0) lgkmcnt(1)
	v_dual_mul_f32 v2, v30, v1 :: v_dual_mul_f32 v5, v32, v0
	v_dual_mul_f32 v3, v30, v0 :: v_dual_mul_f32 v4, v32, v1
	;; [unrolled: 1-line block ×4, first 2 shown]
	s_delay_alu instid0(VALU_DEP_4) | instskip(NEXT) | instid1(VALU_DEP_4)
	v_fmac_f32_e32 v2, v29, v0
	v_fma_f32 v3, v29, v1, -v3
	v_fmac_f32_e32 v4, v31, v0
	v_fma_f32 v5, v31, v1, -v5
	;; [unrolled: 2-line block ×4, first 2 shown]
	ds_store_b64 v108, v[2:3]
	ds_load_b64 v[43:44], v107 offset:8
	ds_store_b64 v108, v[4:5] offset:536
	ds_load_b64 v[41:42], v107 offset:16
	ds_store_b64 v108, v[6:7] offset:1072
	;; [unrolled: 2-line block ×3, first 2 shown]
	s_waitcnt lgkmcnt(0)
	s_barrier
	buffer_gl0_inv
	ds_load_2addr_b64 v[4:7], v103 offset1:1
	ds_load_2addr_b64 v[0:3], v103 offset0:2 offset1:3
	v_add_co_u32 v8, vcc_lo, v146, v95
	v_add_co_ci_u32_e32 v9, vcc_lo, 0, v147, vcc_lo
	s_and_not1_b32 vcc_lo, exec_lo, s1
	s_waitcnt lgkmcnt(0)
	s_barrier
	buffer_gl0_inv
	s_cbranch_vccnz .LBB36_158
; %bb.151:                              ;   in Loop: Header=BB36_138 Depth=1
	v_dual_mov_b32 v45, 0 :: v_dual_mov_b32 v48, 0
	v_mov_b32_e32 v47, 0
	s_mov_b32 s1, exec_lo
	v_cmpx_gt_i32_e64 s13, v109
	s_cbranch_execz .LBB36_153
; %bb.152:                              ;   in Loop: Header=BB36_138 Depth=1
	flat_load_b64 v[47:48], v[8:9]
.LBB36_153:                             ;   in Loop: Header=BB36_138 Depth=1
	s_or_b32 exec_lo, exec_lo, s1
	v_mov_b32_e32 v46, 0
	s_mov_b32 s1, exec_lo
	v_cmpx_gt_i32_e64 s13, v110
	s_cbranch_execz .LBB36_155
; %bb.154:                              ;   in Loop: Header=BB36_138 Depth=1
	v_add_co_u32 v10, vcc_lo, v142, v95
	v_add_co_ci_u32_e32 v11, vcc_lo, 0, v143, vcc_lo
	flat_load_b64 v[45:46], v[10:11]
.LBB36_155:                             ;   in Loop: Header=BB36_138 Depth=1
	s_or_b32 exec_lo, exec_lo, s1
	v_dual_mov_b32 v49, 0 :: v_dual_mov_b32 v50, 0
	s_mov_b32 s18, 0
	s_mov_b32 s1, exec_lo
	v_cmpx_gt_i32_e64 s13, v111
	s_cbranch_execz .LBB36_157
; %bb.156:                              ;   in Loop: Header=BB36_138 Depth=1
	v_add_co_u32 v10, vcc_lo, v136, v95
	v_add_co_ci_u32_e32 v11, vcc_lo, 0, v137, vcc_lo
	flat_load_b64 v[49:50], v[10:11]
.LBB36_157:                             ;   in Loop: Header=BB36_138 Depth=1
	s_or_b32 exec_lo, exec_lo, s1
	v_cmp_gt_i32_e64 s1, s13, v112
	s_mov_b32 s17, 0
	s_and_b32 vcc_lo, exec_lo, s18
	s_cbranch_vccnz .LBB36_159
	s_branch .LBB36_160
.LBB36_158:                             ;   in Loop: Header=BB36_138 Depth=1
	s_mov_b32 s1, 0
                                        ; implicit-def: $vgpr48
                                        ; implicit-def: $vgpr46
                                        ; implicit-def: $vgpr50
                                        ; implicit-def: $sgpr17
	s_cbranch_execz .LBB36_160
.LBB36_159:                             ;   in Loop: Header=BB36_138 Depth=1
	v_add_co_u32 v10, vcc_lo, v142, v95
	v_add_co_ci_u32_e32 v11, vcc_lo, 0, v143, vcc_lo
	v_add_co_u32 v12, vcc_lo, v136, v95
	v_add_co_ci_u32_e32 v13, vcc_lo, 0, v137, vcc_lo
	s_waitcnt vmcnt(0) lgkmcnt(0)
	flat_load_b64 v[47:48], v[8:9]
	flat_load_b64 v[45:46], v[10:11]
	;; [unrolled: 1-line block ×3, first 2 shown]
	s_or_b32 s1, s1, exec_lo
                                        ; implicit-def: $sgpr17
.LBB36_160:                             ;   in Loop: Header=BB36_138 Depth=1
	v_dual_mov_b32 v51, s17 :: v_dual_mov_b32 v52, s17
	s_and_saveexec_b32 s17, s1
	s_cbranch_execz .LBB36_162
; %bb.161:                              ;   in Loop: Header=BB36_138 Depth=1
	v_add_co_u32 v8, vcc_lo, v150, v95
	v_add_co_ci_u32_e32 v9, vcc_lo, 0, v151, vcc_lo
	flat_load_b64 v[51:52], v[8:9]
.LBB36_162:                             ;   in Loop: Header=BB36_138 Depth=1
	s_or_b32 exec_lo, exec_lo, s17
	ds_load_b64 v[8:9], v100
	ds_load_b64 v[53:54], v107 offset:128
	v_cmp_ne_u32_e32 vcc_lo, 1, v77
	s_and_b32 vcc_lo, exec_lo, vcc_lo
	s_waitcnt vmcnt(0) lgkmcnt(1)
	v_dual_mul_f32 v10, v48, v9 :: v_dual_mul_f32 v13, v46, v8
	v_dual_mul_f32 v11, v48, v8 :: v_dual_mul_f32 v12, v46, v9
	;; [unrolled: 1-line block ×4, first 2 shown]
	s_delay_alu instid0(VALU_DEP_4) | instskip(NEXT) | instid1(VALU_DEP_4)
	v_fmac_f32_e32 v10, v47, v8
	v_fma_f32 v11, v47, v9, -v11
	v_fmac_f32_e32 v12, v45, v8
	v_fma_f32 v13, v45, v9, -v13
	v_fmac_f32_e32 v14, v49, v8
	v_fma_f32 v15, v49, v9, -v15
	v_fmac_f32_e32 v16, v51, v8
	v_fma_f32 v17, v51, v9, -v17
	ds_store_b64 v108, v[10:11]
	ds_load_b64 v[59:60], v107 offset:136
	ds_store_b64 v108, v[12:13] offset:536
	ds_load_b64 v[57:58], v107 offset:144
	ds_store_b64 v108, v[14:15] offset:1072
	;; [unrolled: 2-line block ×3, first 2 shown]
	s_waitcnt lgkmcnt(0)
	s_barrier
	buffer_gl0_inv
	ds_load_2addr_b64 v[12:15], v103 offset1:1
	ds_load_2addr_b64 v[8:11], v103 offset0:2 offset1:3
	v_add_co_u32 v16, s1, v144, v95
	s_delay_alu instid0(VALU_DEP_1)
	v_add_co_ci_u32_e64 v17, s1, 0, v145, s1
	s_waitcnt lgkmcnt(0)
	s_barrier
	buffer_gl0_inv
	s_cbranch_vccnz .LBB36_170
; %bb.163:                              ;   in Loop: Header=BB36_138 Depth=1
	v_dual_mov_b32 v61, 0 :: v_dual_mov_b32 v64, 0
	v_mov_b32_e32 v63, 0
	s_mov_b32 s1, exec_lo
	v_cmpx_gt_i32_e64 s13, v113
	s_cbranch_execz .LBB36_165
; %bb.164:                              ;   in Loop: Header=BB36_138 Depth=1
	flat_load_b64 v[63:64], v[16:17]
.LBB36_165:                             ;   in Loop: Header=BB36_138 Depth=1
	s_or_b32 exec_lo, exec_lo, s1
	v_mov_b32_e32 v62, 0
	s_mov_b32 s1, exec_lo
	v_cmpx_gt_i32_e64 s13, v114
	s_cbranch_execz .LBB36_167
; %bb.166:                              ;   in Loop: Header=BB36_138 Depth=1
	v_add_co_u32 v18, vcc_lo, v148, v95
	v_add_co_ci_u32_e32 v19, vcc_lo, 0, v149, vcc_lo
	flat_load_b64 v[61:62], v[18:19]
.LBB36_167:                             ;   in Loop: Header=BB36_138 Depth=1
	s_or_b32 exec_lo, exec_lo, s1
	v_dual_mov_b32 v65, 0 :: v_dual_mov_b32 v66, 0
	s_mov_b32 s18, 0
	s_mov_b32 s1, exec_lo
	v_cmpx_gt_i32_e64 s13, v115
	s_cbranch_execz .LBB36_169
; %bb.168:                              ;   in Loop: Header=BB36_138 Depth=1
	v_add_co_u32 v18, vcc_lo, v152, v95
	v_add_co_ci_u32_e32 v19, vcc_lo, 0, v153, vcc_lo
	flat_load_b64 v[65:66], v[18:19]
.LBB36_169:                             ;   in Loop: Header=BB36_138 Depth=1
	s_or_b32 exec_lo, exec_lo, s1
	v_cmp_gt_i32_e64 s1, s13, v116
	s_mov_b32 s17, 0
	s_and_b32 vcc_lo, exec_lo, s18
	s_cbranch_vccnz .LBB36_171
	s_branch .LBB36_172
.LBB36_170:                             ;   in Loop: Header=BB36_138 Depth=1
	s_mov_b32 s1, 0
                                        ; implicit-def: $vgpr64
                                        ; implicit-def: $vgpr62
                                        ; implicit-def: $vgpr66
                                        ; implicit-def: $sgpr17
	s_cbranch_execz .LBB36_172
.LBB36_171:                             ;   in Loop: Header=BB36_138 Depth=1
	v_add_co_u32 v18, vcc_lo, v148, v95
	v_add_co_ci_u32_e32 v19, vcc_lo, 0, v149, vcc_lo
	v_add_co_u32 v20, vcc_lo, v152, v95
	v_add_co_ci_u32_e32 v21, vcc_lo, 0, v153, vcc_lo
	s_waitcnt vmcnt(0) lgkmcnt(0)
	flat_load_b64 v[63:64], v[16:17]
	flat_load_b64 v[61:62], v[18:19]
	;; [unrolled: 1-line block ×3, first 2 shown]
	s_or_b32 s1, s1, exec_lo
                                        ; implicit-def: $sgpr17
.LBB36_172:                             ;   in Loop: Header=BB36_138 Depth=1
	v_dual_mov_b32 v67, s17 :: v_dual_mov_b32 v68, s17
	s_and_saveexec_b32 s17, s1
	s_cbranch_execz .LBB36_174
; %bb.173:                              ;   in Loop: Header=BB36_138 Depth=1
	v_add_co_u32 v16, vcc_lo, v140, v95
	v_add_co_ci_u32_e32 v17, vcc_lo, 0, v141, vcc_lo
	flat_load_b64 v[67:68], v[16:17]
.LBB36_174:                             ;   in Loop: Header=BB36_138 Depth=1
	s_or_b32 exec_lo, exec_lo, s17
	ds_load_b64 v[16:17], v100
	ds_load_b64 v[69:70], v107 offset:256
	v_cmp_ne_u32_e32 vcc_lo, 1, v77
	v_add_co_u32 v83, s1, v128, v95
	s_delay_alu instid0(VALU_DEP_1)
	v_add_co_ci_u32_e64 v84, s1, 0, v129, s1
	s_and_b32 vcc_lo, exec_lo, vcc_lo
	s_waitcnt vmcnt(0) lgkmcnt(1)
	v_dual_mul_f32 v18, v64, v17 :: v_dual_mul_f32 v21, v62, v16
	v_dual_mul_f32 v19, v64, v16 :: v_dual_mul_f32 v20, v62, v17
	;; [unrolled: 1-line block ×4, first 2 shown]
	s_delay_alu instid0(VALU_DEP_4) | instskip(NEXT) | instid1(VALU_DEP_4)
	v_fmac_f32_e32 v18, v63, v16
	v_fma_f32 v19, v63, v17, -v19
	v_fmac_f32_e32 v20, v61, v16
	v_fma_f32 v21, v61, v17, -v21
	;; [unrolled: 2-line block ×4, first 2 shown]
	ds_store_b64 v108, v[18:19]
	ds_load_b64 v[75:76], v107 offset:264
	ds_store_b64 v108, v[20:21] offset:536
	ds_load_b64 v[73:74], v107 offset:272
	ds_store_b64 v108, v[22:23] offset:1072
	;; [unrolled: 2-line block ×3, first 2 shown]
	s_waitcnt lgkmcnt(0)
	s_barrier
	buffer_gl0_inv
	ds_load_2addr_b64 v[20:23], v103 offset1:1
	ds_load_2addr_b64 v[16:19], v103 offset0:2 offset1:3
	s_waitcnt lgkmcnt(0)
	s_barrier
	buffer_gl0_inv
	s_cbranch_vccnz .LBB36_182
; %bb.175:                              ;   in Loop: Header=BB36_138 Depth=1
	v_dual_mov_b32 v79, 0 :: v_dual_mov_b32 v78, 0
	v_mov_b32_e32 v77, 0
	s_mov_b32 s1, exec_lo
	v_cmpx_gt_i32_e64 s13, v117
	s_cbranch_execz .LBB36_177
; %bb.176:                              ;   in Loop: Header=BB36_138 Depth=1
	flat_load_b64 v[77:78], v[83:84]
.LBB36_177:                             ;   in Loop: Header=BB36_138 Depth=1
	s_or_b32 exec_lo, exec_lo, s1
	v_mov_b32_e32 v80, 0
	s_mov_b32 s1, exec_lo
	v_cmpx_gt_i32_e64 s13, v118
	s_cbranch_execz .LBB36_179
; %bb.178:                              ;   in Loop: Header=BB36_138 Depth=1
	v_add_co_u32 v79, vcc_lo, v132, v95
	v_add_co_ci_u32_e32 v80, vcc_lo, 0, v133, vcc_lo
	flat_load_b64 v[79:80], v[79:80]
.LBB36_179:                             ;   in Loop: Header=BB36_138 Depth=1
	s_or_b32 exec_lo, exec_lo, s1
	v_dual_mov_b32 v81, 0 :: v_dual_mov_b32 v82, 0
	s_mov_b32 s18, 0
	s_mov_b32 s1, exec_lo
	v_cmpx_gt_i32_e64 s13, v119
	s_cbranch_execz .LBB36_181
; %bb.180:                              ;   in Loop: Header=BB36_138 Depth=1
	v_add_co_u32 v81, vcc_lo, v138, v95
	v_add_co_ci_u32_e32 v82, vcc_lo, 0, v139, vcc_lo
	flat_load_b64 v[81:82], v[81:82]
.LBB36_181:                             ;   in Loop: Header=BB36_138 Depth=1
	s_or_b32 exec_lo, exec_lo, s1
	v_cmp_gt_i32_e64 s1, s13, v120
	s_mov_b32 s17, 0
	s_and_b32 vcc_lo, exec_lo, s18
	s_cbranch_vccnz .LBB36_183
	s_branch .LBB36_184
.LBB36_182:                             ;   in Loop: Header=BB36_138 Depth=1
	s_mov_b32 s1, 0
                                        ; implicit-def: $vgpr78
                                        ; implicit-def: $vgpr80
                                        ; implicit-def: $vgpr82
                                        ; implicit-def: $sgpr17
	s_cbranch_execz .LBB36_184
.LBB36_183:                             ;   in Loop: Header=BB36_138 Depth=1
	s_waitcnt vmcnt(0) lgkmcnt(0)
	v_add_co_u32 v79, vcc_lo, v132, v95
	v_add_co_ci_u32_e32 v80, vcc_lo, 0, v133, vcc_lo
	v_add_co_u32 v81, vcc_lo, v138, v95
	v_add_co_ci_u32_e32 v82, vcc_lo, 0, v139, vcc_lo
	flat_load_b64 v[77:78], v[83:84]
	flat_load_b64 v[79:80], v[79:80]
	;; [unrolled: 1-line block ×3, first 2 shown]
	s_or_b32 s1, s1, exec_lo
                                        ; implicit-def: $sgpr17
.LBB36_184:                             ;   in Loop: Header=BB36_138 Depth=1
	v_dual_mov_b32 v83, s17 :: v_dual_mov_b32 v84, s17
	s_and_saveexec_b32 s17, s1
	s_cbranch_execz .LBB36_186
; %bb.185:                              ;   in Loop: Header=BB36_138 Depth=1
	v_add_co_u32 v83, vcc_lo, v124, v95
	v_add_co_ci_u32_e32 v84, vcc_lo, 0, v125, vcc_lo
	flat_load_b64 v[83:84], v[83:84]
.LBB36_186:                             ;   in Loop: Header=BB36_138 Depth=1
	s_or_b32 exec_lo, exec_lo, s17
	ds_load_b64 v[87:88], v100
	ds_load_b64 v[85:86], v107 offset:384
	v_add_f32_e32 v21, 0, v21
	v_cmp_gt_i32_e32 vcc_lo, s13, v93
	v_add_f32_e32 v20, 0, v20
	v_add_f32_e32 v12, 0, v12
	;; [unrolled: 1-line block ×3, first 2 shown]
	s_or_b32 s1, s16, vcc_lo
	s_delay_alu instid0(SALU_CYCLE_1) | instskip(NEXT) | instid1(VALU_DEP_2)
	s_and_b32 s13, s0, s1
	v_add_f32_e32 v12, v12, v14
	s_delay_alu instid0(VALU_DEP_2) | instskip(NEXT) | instid1(VALU_DEP_2)
	v_dual_add_f32 v4, v4, v6 :: v_dual_add_f32 v13, 0, v13
	v_add_f32_e32 v8, v12, v8
	s_waitcnt vmcnt(0) lgkmcnt(1)
	v_dual_mul_f32 v89, v78, v88 :: v_dual_mul_f32 v160, v84, v87
	v_dual_mul_f32 v90, v78, v87 :: v_dual_mul_f32 v155, v80, v88
	v_mul_f32_e32 v91, v80, v87
	v_mul_f32_e32 v157, v82, v88
	v_dual_mul_f32 v92, v82, v87 :: v_dual_mul_f32 v159, v84, v88
	v_fmac_f32_e32 v89, v77, v87
	v_fma_f32 v90, v77, v88, -v90
	v_fmac_f32_e32 v155, v79, v87
	v_fma_f32 v156, v79, v88, -v91
	;; [unrolled: 2-line block ×4, first 2 shown]
	ds_store_b64 v108, v[89:90]
	ds_load_b64 v[91:92], v107 offset:392
	ds_store_b64 v108, v[155:156] offset:536
	ds_load_b64 v[89:90], v107 offset:400
	ds_store_b64 v108, v[157:158] offset:1072
	ds_load_b64 v[87:88], v107 offset:408
	ds_store_b64 v108, v[159:160] offset:1608
	s_waitcnt lgkmcnt(0)
	s_barrier
	buffer_gl0_inv
	ds_load_2addr_b64 v[155:158], v103 offset1:1
	v_add_f32_e32 v159, v20, v22
	s_delay_alu instid0(VALU_DEP_1)
	v_add_f32_e32 v6, v159, v16
	v_add_f32_e32 v160, v21, v23
	ds_load_2addr_b64 v[20:23], v103 offset0:2 offset1:3
	v_add_f32_e32 v5, 0, v5
	s_waitcnt lgkmcnt(0)
	s_barrier
	buffer_gl0_inv
	v_add_f32_e32 v12, 0, v155
	v_dual_add_f32 v5, v5, v7 :: v_dual_add_f32 v14, 0, v156
	v_add_f32_e32 v13, v13, v15
	s_delay_alu instid0(VALU_DEP_2) | instskip(NEXT) | instid1(VALU_DEP_4)
	v_add_f32_e32 v15, v5, v1
	v_add_f32_e32 v5, v12, v157
	s_delay_alu instid0(VALU_DEP_4) | instskip(NEXT) | instid1(VALU_DEP_4)
	v_dual_add_f32 v7, v160, v17 :: v_dual_add_f32 v12, v14, v158
	v_add_f32_e32 v9, v13, v9
	v_dual_add_f32 v13, v4, v0 :: v_dual_add_f32 v0, v6, v18
	s_delay_alu instid0(VALU_DEP_3) | instskip(NEXT) | instid1(VALU_DEP_4)
	v_dual_add_f32 v6, v5, v20 :: v_dual_add_f32 v1, v7, v19
	v_add_f32_e32 v7, v12, v21
	s_delay_alu instid0(VALU_DEP_4) | instskip(NEXT) | instid1(VALU_DEP_3)
	v_dual_add_f32 v4, v8, v10 :: v_dual_add_f32 v5, v9, v11
	v_add_f32_e32 v6, v6, v22
	v_dual_add_f32 v2, v13, v2 :: v_dual_add_f32 v3, v15, v3
	s_delay_alu instid0(VALU_DEP_4)
	v_add_f32_e32 v7, v7, v23
	ds_store_2addr_b64 v154, v[2:3], v[4:5] offset1:16
	ds_store_2addr_b64 v154, v[0:1], v[6:7] offset0:32 offset1:48
	s_waitcnt lgkmcnt(0)
	s_barrier
	buffer_gl0_inv
	s_and_saveexec_b32 s1, s13
	s_cbranch_execz .LBB36_188
; %bb.187:                              ;   in Loop: Header=BB36_138 Depth=1
	ds_load_b64 v[11:12], v101
	ds_load_2addr_b64 v[0:3], v101 offset0:1 offset1:2
	ds_load_2addr_b64 v[4:7], v101 offset0:3 offset1:4
	s_waitcnt lgkmcnt(1)
	v_dual_add_f32 v0, v0, v11 :: v_dual_add_f32 v1, v1, v12
	ds_load_2addr_b64 v[8:11], v101 offset0:5 offset1:6
	v_add_f32_e32 v0, v0, v2
	v_add_f32_e32 v12, v1, v3
	s_waitcnt lgkmcnt(1)
	s_delay_alu instid0(VALU_DEP_2) | instskip(SKIP_3) | instid1(VALU_DEP_2)
	v_add_f32_e32 v4, v0, v4
	ds_load_2addr_b64 v[0:3], v101 offset0:7 offset1:8
	v_add_f32_e32 v5, v12, v5
	v_add_f32_e32 v4, v4, v6
	;; [unrolled: 1-line block ×3, first 2 shown]
	s_waitcnt lgkmcnt(1)
	s_delay_alu instid0(VALU_DEP_2) | instskip(SKIP_3) | instid1(VALU_DEP_2)
	v_add_f32_e32 v8, v4, v8
	ds_load_2addr_b64 v[4:7], v101 offset0:9 offset1:10
	v_add_f32_e32 v9, v12, v9
	v_add_f32_e32 v8, v8, v10
	;; [unrolled: 1-line block ×3, first 2 shown]
	s_waitcnt lgkmcnt(1)
	s_delay_alu instid0(VALU_DEP_2) | instskip(SKIP_4) | instid1(VALU_DEP_1)
	v_add_f32_e32 v0, v8, v0
	ds_load_2addr_b64 v[8:11], v101 offset0:11 offset1:12
	v_add_f32_e32 v1, v12, v1
	v_add_f32_e32 v12, v0, v2
	s_waitcnt lgkmcnt(1)
	v_add_f32_e32 v4, v12, v4
	s_delay_alu instid0(VALU_DEP_1) | instskip(SKIP_1) | instid1(VALU_DEP_1)
	v_add_f32_e32 v6, v4, v6
	s_waitcnt lgkmcnt(0)
	v_add_f32_e32 v6, v6, v8
	s_delay_alu instid0(VALU_DEP_1) | instskip(SKIP_3) | instid1(VALU_DEP_1)
	v_dual_add_f32 v8, v6, v10 :: v_dual_add_f32 v13, v1, v3
	ds_load_2addr_b64 v[0:3], v101 offset0:13 offset1:14
	v_add_nc_u32_e32 v6, s8, v121
	v_add_f32_e32 v5, v13, v5
	v_add_f32_e32 v7, v5, v7
	ds_load_b64 v[4:5], v102
	v_add_f32_e32 v7, v7, v9
	s_waitcnt lgkmcnt(1)
	s_delay_alu instid0(VALU_DEP_1) | instskip(NEXT) | instid1(VALU_DEP_1)
	v_dual_add_f32 v7, v7, v11 :: v_dual_add_f32 v0, v8, v0
	v_add_f32_e32 v1, v7, v1
	v_ashrrev_i32_e32 v7, 31, v6
	s_delay_alu instid0(VALU_DEP_2) | instskip(NEXT) | instid1(VALU_DEP_2)
	v_dual_add_f32 v2, v0, v2 :: v_dual_add_f32 v3, v1, v3
	v_lshlrev_b64 v[0:1], 3, v[6:7]
	s_waitcnt lgkmcnt(0)
	s_delay_alu instid0(VALU_DEP_2) | instskip(NEXT) | instid1(VALU_DEP_2)
	v_dual_add_f32 v2, v2, v4 :: v_dual_add_f32 v3, v3, v5
	v_add_co_u32 v0, vcc_lo, s3, v0
	s_delay_alu instid0(VALU_DEP_3)
	v_add_co_ci_u32_e32 v1, vcc_lo, s6, v1, vcc_lo
	global_store_b64 v[0:1], v[2:3], off
.LBB36_188:                             ;   in Loop: Header=BB36_138 Depth=1
	s_or_b32 exec_lo, exec_lo, s1
	v_dual_mul_f32 v0, v30, v38 :: v_dual_mul_f32 v3, v31, v44
	v_dual_mul_f32 v1, v29, v38 :: v_dual_mul_f32 v2, v32, v44
	;; [unrolled: 1-line block ×3, first 2 shown]
	s_delay_alu instid0(VALU_DEP_3) | instskip(NEXT) | instid1(VALU_DEP_3)
	v_fma_f32 v0, v29, v37, -v0
	v_dual_mul_f32 v8, v48, v54 :: v_dual_fmac_f32 v1, v30, v37
	s_delay_alu instid0(VALU_DEP_4) | instskip(SKIP_1) | instid1(VALU_DEP_4)
	v_fma_f32 v2, v31, v43, -v2
	v_dual_mul_f32 v5, v33, v42 :: v_dual_mul_f32 v6, v36, v40
	v_dual_add_f32 v0, v26, v0 :: v_dual_mul_f32 v9, v47, v54
	v_fma_f32 v4, v33, v41, -v4
	v_fmac_f32_e32 v3, v32, v43
	s_delay_alu instid0(VALU_DEP_3)
	v_dual_add_f32 v1, v27, v1 :: v_dual_add_f32 v0, v0, v2
	v_mul_f32_e32 v2, v46, v60
	v_fma_f32 v6, v35, v39, -v6
	v_fmac_f32_e32 v5, v34, v41
	v_fmac_f32_e32 v7, v36, v39
	v_dual_add_f32 v0, v0, v4 :: v_dual_add_f32 v1, v1, v3
	v_mul_f32_e32 v4, v45, v60
	v_fma_f32 v3, v47, v53, -v8
	v_fma_f32 v2, v45, v59, -v2
	s_delay_alu instid0(VALU_DEP_4) | instskip(SKIP_3) | instid1(VALU_DEP_3)
	v_add_f32_e32 v0, v0, v6
	v_dual_mul_f32 v6, v50, v58 :: v_dual_add_f32 v1, v1, v5
	v_dual_fmac_f32 v9, v48, v53 :: v_dual_fmac_f32 v4, v46, v59
	v_add_co_u32 v122, vcc_lo, v122, s4
	v_add_f32_e32 v1, v1, v7
	v_add_f32_e32 v0, v0, v3
	v_mul_f32_e32 v3, v52, v56
	v_fma_f32 v5, v49, v57, -v6
	v_add_co_ci_u32_e32 v123, vcc_lo, s5, v123, vcc_lo
	s_delay_alu instid0(VALU_DEP_4) | instskip(SKIP_3) | instid1(VALU_DEP_4)
	v_dual_add_f32 v1, v1, v9 :: v_dual_add_f32 v0, v0, v2
	v_mul_f32_e32 v2, v49, v58
	v_fma_f32 v3, v51, v55, -v3
	v_add_co_u32 v124, vcc_lo, v124, s4
	v_dual_add_f32 v0, v0, v5 :: v_dual_add_f32 v1, v1, v4
	s_delay_alu instid0(VALU_DEP_4) | instskip(SKIP_1) | instid1(VALU_DEP_3)
	v_dual_mul_f32 v5, v64, v70 :: v_dual_fmac_f32 v2, v50, v57
	v_mul_f32_e32 v4, v51, v56
	v_add_f32_e32 v0, v0, v3
	v_add_co_ci_u32_e32 v125, vcc_lo, s5, v125, vcc_lo
	s_delay_alu instid0(VALU_DEP_4) | instskip(SKIP_3) | instid1(VALU_DEP_4)
	v_fma_f32 v3, v63, v69, -v5
	v_mul_f32_e32 v5, v62, v76
	v_dual_add_f32 v1, v1, v2 :: v_dual_fmac_f32 v4, v52, v55
	v_add_co_u32 v126, vcc_lo, v126, s4
	v_add_f32_e32 v0, v0, v3
	s_delay_alu instid0(VALU_DEP_4)
	v_fma_f32 v3, v61, v75, -v5
	v_mul_f32_e32 v5, v66, v74
	v_dual_mul_f32 v2, v63, v70 :: v_dual_add_f32 v1, v1, v4
	v_mul_f32_e32 v4, v61, v76
	v_add_co_ci_u32_e32 v127, vcc_lo, s5, v127, vcc_lo
	v_add_co_u32 v128, vcc_lo, v128, s4
	s_delay_alu instid0(VALU_DEP_3) | instskip(SKIP_3) | instid1(VALU_DEP_3)
	v_fmac_f32_e32 v4, v62, v75
	v_fmac_f32_e32 v2, v64, v69
	v_add_co_ci_u32_e32 v129, vcc_lo, s5, v129, vcc_lo
	v_add_co_u32 v130, vcc_lo, v130, s4
	v_dual_add_f32 v1, v1, v2 :: v_dual_add_f32 v0, v0, v3
	v_fma_f32 v3, v65, v73, -v5
	v_dual_mul_f32 v5, v68, v72 :: v_dual_mul_f32 v2, v65, v74
	s_delay_alu instid0(VALU_DEP_3) | instskip(SKIP_1) | instid1(VALU_DEP_3)
	v_dual_add_f32 v1, v1, v4 :: v_dual_mul_f32 v4, v78, v86
	v_add_co_ci_u32_e32 v131, vcc_lo, s5, v131, vcc_lo
	v_fmac_f32_e32 v2, v66, v73
	v_add_co_u32 v132, vcc_lo, v132, s4
	v_add_co_ci_u32_e32 v133, vcc_lo, s5, v133, vcc_lo
	s_delay_alu instid0(VALU_DEP_3)
	v_dual_add_f32 v1, v1, v2 :: v_dual_add_f32 v0, v0, v3
	v_fma_f32 v3, v67, v71, -v5
	v_mul_f32_e32 v5, v67, v72
	v_fma_f32 v2, v77, v85, -v4
	v_add_co_u32 v134, vcc_lo, v134, s4
	v_add_co_ci_u32_e32 v135, vcc_lo, s5, v135, vcc_lo
	s_delay_alu instid0(VALU_DEP_4) | instskip(SKIP_2) | instid1(VALU_DEP_3)
	v_fmac_f32_e32 v5, v68, v71
	v_add_co_u32 v136, vcc_lo, v136, s4
	v_add_co_ci_u32_e32 v137, vcc_lo, s5, v137, vcc_lo
	v_dual_add_f32 v1, v1, v5 :: v_dual_add_f32 v0, v0, v3
	v_mul_f32_e32 v5, v82, v90
	v_mul_f32_e32 v3, v80, v92
	v_add_co_u32 v138, vcc_lo, v138, s4
	s_delay_alu instid0(VALU_DEP_4) | instskip(SKIP_1) | instid1(VALU_DEP_4)
	v_add_f32_e32 v0, v0, v2
	v_add_co_ci_u32_e32 v139, vcc_lo, s5, v139, vcc_lo
	v_fma_f32 v2, v79, v91, -v3
	v_dual_mul_f32 v3, v79, v92 :: v_dual_mul_f32 v4, v77, v86
	v_add_co_u32 v140, vcc_lo, v140, s4
	v_add_co_ci_u32_e32 v141, vcc_lo, s5, v141, vcc_lo
	s_delay_alu instid0(VALU_DEP_3) | instskip(SKIP_2) | instid1(VALU_DEP_3)
	v_dual_fmac_f32 v3, v80, v91 :: v_dual_fmac_f32 v4, v78, v85
	v_add_co_u32 v142, vcc_lo, v142, s4
	v_add_co_ci_u32_e32 v143, vcc_lo, s5, v143, vcc_lo
	v_dual_add_f32 v1, v1, v4 :: v_dual_add_f32 v0, v0, v2
	v_mul_f32_e32 v2, v81, v90
	v_add_co_u32 v144, vcc_lo, v144, s4
	s_delay_alu instid0(VALU_DEP_3)
	v_add_f32_e32 v1, v1, v3
	v_add_co_ci_u32_e32 v145, vcc_lo, s5, v145, vcc_lo
	v_add_co_u32 v146, vcc_lo, v146, s4
	v_fma_f32 v4, v81, v89, -v5
	v_dual_mul_f32 v5, v84, v88 :: v_dual_fmac_f32 v2, v82, v89
	v_mul_f32_e32 v6, v83, v88
	v_add_co_ci_u32_e32 v147, vcc_lo, s5, v147, vcc_lo
	v_add_co_u32 v148, vcc_lo, v148, s4
	s_delay_alu instid0(VALU_DEP_4)
	v_add_f32_e32 v1, v1, v2
	v_add_co_ci_u32_e32 v149, vcc_lo, s5, v149, vcc_lo
	v_add_f32_e32 v0, v0, v4
	v_fma_f32 v3, v83, v87, -v5
	v_fmac_f32_e32 v6, v84, v87
	v_add_co_u32 v150, vcc_lo, v150, s4
	v_add_co_ci_u32_e32 v151, vcc_lo, s5, v151, vcc_lo
	v_add_co_u32 v152, vcc_lo, v152, s4
	s_delay_alu instid0(VALU_DEP_4)
	v_dual_add_f32 v26, v0, v3 :: v_dual_add_f32 v27, v1, v6
	v_add_co_ci_u32_e32 v153, vcc_lo, s5, v153, vcc_lo
	s_add_i32 s13, s14, 2
	s_add_i32 s1, s14, 1
	;; [unrolled: 1-line block ×3, first 2 shown]
	s_cmp_ge_u32 s13, s15
	s_waitcnt_vscnt null, 0x0
	s_barrier
	buffer_gl0_inv
	s_cbranch_scc1 .LBB36_190
; %bb.189:                              ;   in Loop: Header=BB36_138 Depth=1
	s_mov_b32 s14, s1
	s_delay_alu instid0(SALU_CYCLE_1)
	s_cmp_eq_u32 s7, s14
	s_cselect_b32 s13, s21, 0
	s_and_saveexec_b32 s1, s2
	s_cbranch_execnz .LBB36_134
	s_branch .LBB36_138
.LBB36_190:
	v_cmp_gt_i32_e32 vcc_lo, s12, v93
	v_mad_u32_u24 v0, 0x218, v94, v95
	s_or_b32 s0, s9, vcc_lo
	ds_store_b64 v0, v[26:27]
	s_and_b32 s0, s2, s0
	s_waitcnt lgkmcnt(0)
	s_barrier
	buffer_gl0_inv
	s_and_saveexec_b32 s1, s0
	s_cbranch_execz .LBB36_192
; %bb.191:
	ds_load_2addr_b64 v[0:3], v95 offset1:67
	ds_load_2addr_b64 v[4:7], v95 offset0:134 offset1:201
	s_waitcnt lgkmcnt(1)
	v_dual_add_f32 v0, v2, v0 :: v_dual_add_f32 v1, v3, v1
	s_waitcnt lgkmcnt(0)
	s_delay_alu instid0(VALU_DEP_1) | instskip(SKIP_1) | instid1(VALU_DEP_2)
	v_dual_add_f32 v2, v0, v4 :: v_dual_add_f32 v3, v1, v5
	v_lshlrev_b64 v[0:1], 3, v[24:25]
	v_dual_add_f32 v2, v2, v6 :: v_dual_add_f32 v3, v3, v7
	s_delay_alu instid0(VALU_DEP_2) | instskip(NEXT) | instid1(VALU_DEP_3)
	v_add_co_u32 v0, vcc_lo, s3, v0
	v_add_co_ci_u32_e32 v1, vcc_lo, s6, v1, vcc_lo
	global_store_b64 v[0:1], v[2:3], off
.LBB36_192:
	s_nop 0
	s_sendmsg sendmsg(MSG_DEALLOC_VGPRS)
	s_endpgm
	.section	.rodata,"a",@progbits
	.p2align	6, 0x0
	.amdhsa_kernel _ZL26rocblas_hemvn_kernel_upperILb1ELi64ELi4ELi33ELi32ELi16El19rocblas_complex_numIfEPKPKS1_PS1_EviT6_lT7_lT5_lS8_lS9_lS7_lT8_i
		.amdhsa_group_segment_fixed_size 9600
		.amdhsa_private_segment_fixed_size 0
		.amdhsa_kernarg_size 376
		.amdhsa_user_sgpr_count 14
		.amdhsa_user_sgpr_dispatch_ptr 0
		.amdhsa_user_sgpr_queue_ptr 0
		.amdhsa_user_sgpr_kernarg_segment_ptr 1
		.amdhsa_user_sgpr_dispatch_id 0
		.amdhsa_user_sgpr_private_segment_size 0
		.amdhsa_wavefront_size32 1
		.amdhsa_uses_dynamic_stack 0
		.amdhsa_enable_private_segment 0
		.amdhsa_system_sgpr_workgroup_id_x 1
		.amdhsa_system_sgpr_workgroup_id_y 0
		.amdhsa_system_sgpr_workgroup_id_z 1
		.amdhsa_system_sgpr_workgroup_info 0
		.amdhsa_system_vgpr_workitem_id 1
		.amdhsa_next_free_vgpr 161
		.amdhsa_next_free_sgpr 30
		.amdhsa_reserve_vcc 1
		.amdhsa_float_round_mode_32 0
		.amdhsa_float_round_mode_16_64 0
		.amdhsa_float_denorm_mode_32 3
		.amdhsa_float_denorm_mode_16_64 3
		.amdhsa_dx10_clamp 1
		.amdhsa_ieee_mode 1
		.amdhsa_fp16_overflow 0
		.amdhsa_workgroup_processor_mode 1
		.amdhsa_memory_ordered 1
		.amdhsa_forward_progress 0
		.amdhsa_shared_vgpr_count 0
		.amdhsa_exception_fp_ieee_invalid_op 0
		.amdhsa_exception_fp_denorm_src 0
		.amdhsa_exception_fp_ieee_div_zero 0
		.amdhsa_exception_fp_ieee_overflow 0
		.amdhsa_exception_fp_ieee_underflow 0
		.amdhsa_exception_fp_ieee_inexact 0
		.amdhsa_exception_int_div_zero 0
	.end_amdhsa_kernel
	.section	.text._ZL26rocblas_hemvn_kernel_upperILb1ELi64ELi4ELi33ELi32ELi16El19rocblas_complex_numIfEPKPKS1_PS1_EviT6_lT7_lT5_lS8_lS9_lS7_lT8_i,"axG",@progbits,_ZL26rocblas_hemvn_kernel_upperILb1ELi64ELi4ELi33ELi32ELi16El19rocblas_complex_numIfEPKPKS1_PS1_EviT6_lT7_lT5_lS8_lS9_lS7_lT8_i,comdat
.Lfunc_end36:
	.size	_ZL26rocblas_hemvn_kernel_upperILb1ELi64ELi4ELi33ELi32ELi16El19rocblas_complex_numIfEPKPKS1_PS1_EviT6_lT7_lT5_lS8_lS9_lS7_lT8_i, .Lfunc_end36-_ZL26rocblas_hemvn_kernel_upperILb1ELi64ELi4ELi33ELi32ELi16El19rocblas_complex_numIfEPKPKS1_PS1_EviT6_lT7_lT5_lS8_lS9_lS7_lT8_i
                                        ; -- End function
	.section	.AMDGPU.csdata,"",@progbits
; Kernel info:
; codeLenInByte = 10676
; NumSgprs: 32
; NumVgprs: 161
; ScratchSize: 0
; MemoryBound: 1
; FloatMode: 240
; IeeeMode: 1
; LDSByteSize: 9600 bytes/workgroup (compile time only)
; SGPRBlocks: 3
; VGPRBlocks: 20
; NumSGPRsForWavesPerEU: 32
; NumVGPRsForWavesPerEU: 161
; Occupancy: 9
; WaveLimiterHint : 0
; COMPUTE_PGM_RSRC2:SCRATCH_EN: 0
; COMPUTE_PGM_RSRC2:USER_SGPR: 14
; COMPUTE_PGM_RSRC2:TRAP_HANDLER: 0
; COMPUTE_PGM_RSRC2:TGID_X_EN: 1
; COMPUTE_PGM_RSRC2:TGID_Y_EN: 0
; COMPUTE_PGM_RSRC2:TGID_Z_EN: 1
; COMPUTE_PGM_RSRC2:TIDIG_COMP_CNT: 1
	.section	.text._ZL36rocblas_hemvn_kernel_upper_block_sumILi64El19rocblas_complex_numIfEPKPS1_S1_EviT1_lS5_lT2_lT0_lPT3_i,"axG",@progbits,_ZL36rocblas_hemvn_kernel_upper_block_sumILi64El19rocblas_complex_numIfEPKPS1_S1_EviT1_lS5_lT2_lT0_lPT3_i,comdat
	.globl	_ZL36rocblas_hemvn_kernel_upper_block_sumILi64El19rocblas_complex_numIfEPKPS1_S1_EviT1_lS5_lT2_lT0_lPT3_i ; -- Begin function _ZL36rocblas_hemvn_kernel_upper_block_sumILi64El19rocblas_complex_numIfEPKPS1_S1_EviT1_lS5_lT2_lT0_lPT3_i
	.p2align	8
	.type	_ZL36rocblas_hemvn_kernel_upper_block_sumILi64El19rocblas_complex_numIfEPKPS1_S1_EviT1_lS5_lT2_lT0_lPT3_i,@function
_ZL36rocblas_hemvn_kernel_upper_block_sumILi64El19rocblas_complex_numIfEPKPS1_S1_EviT1_lS5_lT2_lT0_lPT3_i: ; @_ZL36rocblas_hemvn_kernel_upper_block_sumILi64El19rocblas_complex_numIfEPKPS1_S1_EviT1_lS5_lT2_lT0_lPT3_i
; %bb.0:
	s_clause 0x1
	s_load_b128 s[8:11], s[0:1], 0x0
	s_load_b64 s[12:13], s[0:1], 0x18
	s_mov_b32 s16, s15
	s_waitcnt lgkmcnt(0)
	s_or_b32 s2, s9, s10
	s_delay_alu instid0(SALU_CYCLE_1) | instskip(NEXT) | instid1(SALU_CYCLE_1)
	s_bitset0_b32 s2, 31
	s_cmp_eq_u32 s2, 0
	s_cselect_b32 s11, -1, 0
	s_cmp_lg_u32 s2, 0
	s_mov_b32 s2, -1
	s_cbranch_scc1 .LBB37_2
; %bb.1:
	v_cmp_neq_f32_e64 s2, s12, 1.0
	v_cmp_neq_f32_e64 s3, s13, 0
	s_delay_alu instid0(VALU_DEP_1)
	s_or_b32 s2, s2, s3
.LBB37_2:
	s_delay_alu instid0(SALU_CYCLE_1)
	s_and_not1_b32 vcc_lo, exec_lo, s2
	s_cbranch_vccnz .LBB37_19
; %bb.3:
	s_clause 0x1
	s_load_b64 s[2:3], s[0:1], 0x28
	s_load_b128 s[4:7], s[0:1], 0x30
	s_mov_b32 s17, 0
	v_lshl_or_b32 v0, s14, 6, v0
	s_lshl_b64 s[18:19], s[16:17], 3
	s_waitcnt lgkmcnt(0)
	s_add_u32 s2, s2, s18
	s_addc_u32 s3, s3, s19
	s_lshl_b64 s[4:5], s[4:5], 3
	s_load_b64 s[18:19], s[2:3], 0x0
	v_cmp_gt_i32_e64 s2, s8, v0
	s_waitcnt lgkmcnt(0)
	s_add_u32 s3, s18, s4
	s_addc_u32 s4, s19, s5
	s_and_not1_b32 vcc_lo, exec_lo, s11
	s_mov_b32 s5, -1
	s_cbranch_vccnz .LBB37_9
; %bb.4:
	s_and_saveexec_b32 s5, s2
	s_cbranch_execz .LBB37_8
; %bb.5:
	v_ashrrev_i32_e32 v1, 31, v0
	v_mul_lo_u32 v3, v0, s7
	v_cmp_neq_f32_e64 s2, s12, 0
	v_cmp_neq_f32_e64 s11, s13, 0
	s_delay_alu instid0(VALU_DEP_4) | instskip(SKIP_1) | instid1(VALU_DEP_3)
	v_mul_lo_u32 v4, v1, s6
	v_mad_u64_u32 v[1:2], null, v0, s6, 0
	s_or_b32 s2, s2, s11
	s_delay_alu instid0(SALU_CYCLE_1) | instskip(NEXT) | instid1(VALU_DEP_1)
	s_and_not1_b32 vcc_lo, exec_lo, s2
	v_add3_u32 v2, v2, v3, v4
	v_dual_mov_b32 v3, 0 :: v_dual_mov_b32 v4, 0
	s_delay_alu instid0(VALU_DEP_2)
	v_lshlrev_b64 v[1:2], 3, v[1:2]
	s_cbranch_vccnz .LBB37_7
; %bb.6:
	s_delay_alu instid0(VALU_DEP_1) | instskip(NEXT) | instid1(VALU_DEP_2)
	v_add_co_u32 v3, vcc_lo, s3, v1
	v_add_co_ci_u32_e32 v4, vcc_lo, s4, v2, vcc_lo
	global_load_b64 v[5:6], v[3:4], off
	s_waitcnt vmcnt(0)
	v_mul_f32_e32 v4, s12, v6
	s_delay_alu instid0(VALU_DEP_1) | instskip(NEXT) | instid1(VALU_DEP_1)
	v_dual_mul_f32 v3, s13, v6 :: v_dual_fmac_f32 v4, s13, v5
	v_fma_f32 v3, v5, s12, -v3
.LBB37_7:
	s_delay_alu instid0(VALU_DEP_1) | instskip(NEXT) | instid1(VALU_DEP_2)
	v_add_co_u32 v1, vcc_lo, s3, v1
	v_add_co_ci_u32_e32 v2, vcc_lo, s4, v2, vcc_lo
	global_store_b64 v[1:2], v[3:4], off
.LBB37_8:
	s_or_b32 exec_lo, exec_lo, s5
	s_mov_b32 s5, 0
.LBB37_9:
	s_delay_alu instid0(SALU_CYCLE_1)
	s_and_not1_b32 vcc_lo, exec_lo, s5
	s_cbranch_vccnz .LBB37_19
; %bb.10:
	s_mov_b32 s2, exec_lo
	v_cmpx_gt_i32_e64 s8, v0
	s_cbranch_execz .LBB37_19
; %bb.11:
	v_ashrrev_i32_e32 v1, 31, v0
	v_dual_mov_b32 v4, 0 :: v_dual_mov_b32 v5, 0
	s_cmp_lt_i32 s14, 0
	s_cbranch_scc1 .LBB37_14
; %bb.12:
	s_clause 0x1
	s_load_b32 s2, s[0:1], 0x58
	s_load_b64 s[0:1], s[0:1], 0x48
	s_ashr_i32 s15, s8, 31
	s_mul_hi_u32 s5, s8, s16
	s_mul_i32 s11, s15, s16
	v_lshlrev_b64 v[2:3], 3, v[0:1]
	s_add_i32 s5, s5, s11
	s_mul_i32 s11, s8, s16
	v_dual_mov_b32 v4, 0 :: v_dual_mov_b32 v5, 0
	s_waitcnt lgkmcnt(0)
	s_mul_i32 s5, s5, s2
	s_mul_hi_u32 s17, s11, s2
	s_mul_i32 s16, s11, s2
	s_add_i32 s17, s17, s5
	s_add_i32 s2, s14, 1
	s_lshl_b64 s[16:17], s[16:17], 3
	s_mov_b32 s14, s8
	s_add_u32 s0, s0, s16
	s_addc_u32 s1, s1, s17
	v_add_co_u32 v2, vcc_lo, s0, v2
	v_add_co_ci_u32_e32 v3, vcc_lo, s1, v3, vcc_lo
	s_lshl_b64 s[0:1], s[14:15], 3
	s_delay_alu instid0(VALU_DEP_2) | instskip(NEXT) | instid1(VALU_DEP_2)
	v_add_co_u32 v2, vcc_lo, v2, 4
	v_add_co_ci_u32_e32 v3, vcc_lo, 0, v3, vcc_lo
.LBB37_13:                              ; =>This Inner Loop Header: Depth=1
	global_load_b64 v[6:7], v[2:3], off offset:-4
	v_add_co_u32 v2, vcc_lo, v2, s0
	v_add_co_ci_u32_e32 v3, vcc_lo, s1, v3, vcc_lo
	s_add_i32 s2, s2, -1
	s_delay_alu instid0(SALU_CYCLE_1)
	s_cmp_eq_u32 s2, 0
	s_waitcnt vmcnt(0)
	v_dual_add_f32 v5, v5, v6 :: v_dual_add_f32 v4, v4, v7
	s_cbranch_scc0 .LBB37_13
.LBB37_14:
	s_delay_alu instid0(VALU_DEP_1)
	v_mul_f32_e32 v2, s9, v4
	v_mul_f32_e32 v3, s10, v4
	v_cmp_neq_f32_e64 s0, s12, 0
	v_cmp_neq_f32_e64 s1, s13, 0
	v_mul_lo_u32 v6, v1, s6
	v_fmac_f32_e32 v2, s10, v5
	v_mul_lo_u32 v7, v0, s7
	v_fma_f32 v1, v5, s9, -v3
	s_or_b32 s0, s0, s1
	s_delay_alu instid0(SALU_CYCLE_1)
	s_and_not1_b32 vcc_lo, exec_lo, s0
	s_mov_b32 s0, 0
	s_cbranch_vccz .LBB37_16
; %bb.15:
	v_mad_u64_u32 v[3:4], null, v0, s6, 0
	s_delay_alu instid0(VALU_DEP_1)
	v_add3_u32 v4, v4, v7, v6
	s_and_not1_b32 vcc_lo, exec_lo, s0
	s_cbranch_vccz .LBB37_17
	s_branch .LBB37_18
.LBB37_16:
                                        ; implicit-def: $vgpr3_vgpr4
.LBB37_17:
	v_mad_u64_u32 v[3:4], null, v0, s6, 0
	s_delay_alu instid0(VALU_DEP_1) | instskip(NEXT) | instid1(VALU_DEP_1)
	v_add3_u32 v4, v4, v7, v6
	v_lshlrev_b64 v[5:6], 3, v[3:4]
	s_delay_alu instid0(VALU_DEP_1) | instskip(NEXT) | instid1(VALU_DEP_2)
	v_add_co_u32 v5, vcc_lo, s3, v5
	v_add_co_ci_u32_e32 v6, vcc_lo, s4, v6, vcc_lo
	global_load_b64 v[5:6], v[5:6], off
	s_waitcnt vmcnt(0)
	v_mul_f32_e32 v0, s13, v6
	s_delay_alu instid0(VALU_DEP_1) | instskip(NEXT) | instid1(VALU_DEP_1)
	v_fma_f32 v0, v5, s12, -v0
	v_dual_mul_f32 v6, s12, v6 :: v_dual_add_f32 v1, v1, v0
	s_delay_alu instid0(VALU_DEP_1) | instskip(NEXT) | instid1(VALU_DEP_1)
	v_fmac_f32_e32 v6, s13, v5
	v_add_f32_e32 v2, v2, v6
.LBB37_18:
	s_delay_alu instid0(VALU_DEP_1) | instskip(NEXT) | instid1(VALU_DEP_1)
	v_lshlrev_b64 v[3:4], 3, v[3:4]
	v_add_co_u32 v3, vcc_lo, s3, v3
	s_delay_alu instid0(VALU_DEP_2)
	v_add_co_ci_u32_e32 v4, vcc_lo, s4, v4, vcc_lo
	global_store_b64 v[3:4], v[1:2], off
.LBB37_19:
	s_nop 0
	s_sendmsg sendmsg(MSG_DEALLOC_VGPRS)
	s_endpgm
	.section	.rodata,"a",@progbits
	.p2align	6, 0x0
	.amdhsa_kernel _ZL36rocblas_hemvn_kernel_upper_block_sumILi64El19rocblas_complex_numIfEPKPS1_S1_EviT1_lS5_lT2_lT0_lPT3_i
		.amdhsa_group_segment_fixed_size 0
		.amdhsa_private_segment_fixed_size 0
		.amdhsa_kernarg_size 344
		.amdhsa_user_sgpr_count 14
		.amdhsa_user_sgpr_dispatch_ptr 0
		.amdhsa_user_sgpr_queue_ptr 0
		.amdhsa_user_sgpr_kernarg_segment_ptr 1
		.amdhsa_user_sgpr_dispatch_id 0
		.amdhsa_user_sgpr_private_segment_size 0
		.amdhsa_wavefront_size32 1
		.amdhsa_uses_dynamic_stack 0
		.amdhsa_enable_private_segment 0
		.amdhsa_system_sgpr_workgroup_id_x 1
		.amdhsa_system_sgpr_workgroup_id_y 0
		.amdhsa_system_sgpr_workgroup_id_z 1
		.amdhsa_system_sgpr_workgroup_info 0
		.amdhsa_system_vgpr_workitem_id 0
		.amdhsa_next_free_vgpr 8
		.amdhsa_next_free_sgpr 20
		.amdhsa_reserve_vcc 1
		.amdhsa_float_round_mode_32 0
		.amdhsa_float_round_mode_16_64 0
		.amdhsa_float_denorm_mode_32 3
		.amdhsa_float_denorm_mode_16_64 3
		.amdhsa_dx10_clamp 1
		.amdhsa_ieee_mode 1
		.amdhsa_fp16_overflow 0
		.amdhsa_workgroup_processor_mode 1
		.amdhsa_memory_ordered 1
		.amdhsa_forward_progress 0
		.amdhsa_shared_vgpr_count 0
		.amdhsa_exception_fp_ieee_invalid_op 0
		.amdhsa_exception_fp_denorm_src 0
		.amdhsa_exception_fp_ieee_div_zero 0
		.amdhsa_exception_fp_ieee_overflow 0
		.amdhsa_exception_fp_ieee_underflow 0
		.amdhsa_exception_fp_ieee_inexact 0
		.amdhsa_exception_int_div_zero 0
	.end_amdhsa_kernel
	.section	.text._ZL36rocblas_hemvn_kernel_upper_block_sumILi64El19rocblas_complex_numIfEPKPS1_S1_EviT1_lS5_lT2_lT0_lPT3_i,"axG",@progbits,_ZL36rocblas_hemvn_kernel_upper_block_sumILi64El19rocblas_complex_numIfEPKPS1_S1_EviT1_lS5_lT2_lT0_lPT3_i,comdat
.Lfunc_end37:
	.size	_ZL36rocblas_hemvn_kernel_upper_block_sumILi64El19rocblas_complex_numIfEPKPS1_S1_EviT1_lS5_lT2_lT0_lPT3_i, .Lfunc_end37-_ZL36rocblas_hemvn_kernel_upper_block_sumILi64El19rocblas_complex_numIfEPKPS1_S1_EviT1_lS5_lT2_lT0_lPT3_i
                                        ; -- End function
	.section	.AMDGPU.csdata,"",@progbits
; Kernel info:
; codeLenInByte = 844
; NumSgprs: 22
; NumVgprs: 8
; ScratchSize: 0
; MemoryBound: 0
; FloatMode: 240
; IeeeMode: 1
; LDSByteSize: 0 bytes/workgroup (compile time only)
; SGPRBlocks: 2
; VGPRBlocks: 0
; NumSGPRsForWavesPerEU: 22
; NumVGPRsForWavesPerEU: 8
; Occupancy: 16
; WaveLimiterHint : 1
; COMPUTE_PGM_RSRC2:SCRATCH_EN: 0
; COMPUTE_PGM_RSRC2:USER_SGPR: 14
; COMPUTE_PGM_RSRC2:TRAP_HANDLER: 0
; COMPUTE_PGM_RSRC2:TGID_X_EN: 1
; COMPUTE_PGM_RSRC2:TGID_Y_EN: 0
; COMPUTE_PGM_RSRC2:TGID_Z_EN: 1
; COMPUTE_PGM_RSRC2:TIDIG_COMP_CNT: 0
	.section	.text._ZL26rocblas_hemvn_kernel_upperILb1ELi64ELi4ELi33ELi32ELi16Ei19rocblas_complex_numIfEPKPKS1_PS1_EviT6_lT7_lT5_lS8_lS9_lS7_lT8_i,"axG",@progbits,_ZL26rocblas_hemvn_kernel_upperILb1ELi64ELi4ELi33ELi32ELi16Ei19rocblas_complex_numIfEPKPKS1_PS1_EviT6_lT7_lT5_lS8_lS9_lS7_lT8_i,comdat
	.globl	_ZL26rocblas_hemvn_kernel_upperILb1ELi64ELi4ELi33ELi32ELi16Ei19rocblas_complex_numIfEPKPKS1_PS1_EviT6_lT7_lT5_lS8_lS9_lS7_lT8_i ; -- Begin function _ZL26rocblas_hemvn_kernel_upperILb1ELi64ELi4ELi33ELi32ELi16Ei19rocblas_complex_numIfEPKPKS1_PS1_EviT6_lT7_lT5_lS8_lS9_lS7_lT8_i
	.p2align	8
	.type	_ZL26rocblas_hemvn_kernel_upperILb1ELi64ELi4ELi33ELi32ELi16Ei19rocblas_complex_numIfEPKPKS1_PS1_EviT6_lT7_lT5_lS8_lS9_lS7_lT8_i,@function
_ZL26rocblas_hemvn_kernel_upperILb1ELi64ELi4ELi33ELi32ELi16Ei19rocblas_complex_numIfEPKPKS1_PS1_EviT6_lT7_lT5_lS8_lS9_lS7_lT8_i: ; @_ZL26rocblas_hemvn_kernel_upperILb1ELi64ELi4ELi33ELi32ELi16Ei19rocblas_complex_numIfEPKPKS1_PS1_EviT6_lT7_lT5_lS8_lS9_lS7_lT8_i
; %bb.0:
	s_load_b64 s[4:5], s[0:1], 0x84
	s_add_u32 s2, s0, 0x78
	s_addc_u32 s3, s1, 0
	s_waitcnt lgkmcnt(0)
	s_lshr_b32 s6, s4, 16
	s_and_b32 s4, s4, 0xffff
	s_and_b32 s5, s5, 0xffff
	s_mul_i32 s4, s6, s4
	s_delay_alu instid0(SALU_CYCLE_1) | instskip(NEXT) | instid1(SALU_CYCLE_1)
	s_mul_i32 s4, s4, s5
	s_cmpk_lg_i32 s4, 0x100
	s_cbranch_scc1 .LBB38_192
; %bb.1:
	s_load_b64 s[4:5], s[0:1], 0x4
	s_mov_b32 s12, s15
	s_mov_b32 s7, 0
	s_waitcnt lgkmcnt(0)
	s_or_b32 s4, s4, s5
	s_delay_alu instid0(SALU_CYCLE_1) | instskip(NEXT) | instid1(SALU_CYCLE_1)
	s_bitset0_b32 s4, 31
	s_cmp_lg_u32 s4, 0
	s_cselect_b32 s6, -1, 0
	s_delay_alu instid0(SALU_CYCLE_1)
	s_and_b32 vcc_lo, exec_lo, s6
	s_cbranch_vccnz .LBB38_4
; %bb.2:
	s_load_b64 s[4:5], s[0:1], 0x58
	s_mov_b32 s8, 0
	s_waitcnt lgkmcnt(0)
	v_cmp_eq_f32_e64 s4, s4, 1.0
	v_cmp_eq_f32_e64 s5, s5, 0
	s_delay_alu instid0(VALU_DEP_1) | instskip(NEXT) | instid1(SALU_CYCLE_1)
	s_and_b32 s4, s4, s5
	s_and_not1_b32 vcc_lo, exec_lo, s4
                                        ; implicit-def: $sgpr4_sgpr5
	s_cbranch_vccz .LBB38_5
; %bb.3:
	s_mov_b32 s7, -1
	s_mov_b64 s[4:5], 0
	s_branch .LBB38_5
.LBB38_4:
	s_mov_b32 s8, -1
                                        ; implicit-def: $sgpr4_sgpr5
.LBB38_5:
	s_delay_alu instid0(SALU_CYCLE_1)
	s_and_b32 vcc_lo, exec_lo, s8
	s_cbranch_vccz .LBB38_7
; %bb.6:
	s_load_b128 s[8:11], s[0:1], 0x18
	s_mov_b32 s13, 0
	s_mov_b32 s7, -1
	s_lshl_b64 s[4:5], s[12:13], 3
	s_waitcnt lgkmcnt(0)
	s_add_u32 s4, s8, s4
	s_addc_u32 s5, s9, s5
	s_lshl_b64 s[8:9], s[10:11], 3
	s_load_b64 s[4:5], s[4:5], 0x0
	s_waitcnt lgkmcnt(0)
	s_add_u32 s4, s4, s8
	s_addc_u32 s5, s5, s9
.LBB38_7:
	s_and_not1_b32 vcc_lo, exec_lo, s7
	s_cbranch_vccnz .LBB38_192
; %bb.8:
	v_cndmask_b32_e64 v1, 0, 1, s6
	s_and_not1_b32 vcc_lo, exec_lo, s6
	s_mov_b64 s[6:7], 0
	s_cbranch_vccnz .LBB38_10
; %bb.9:
	s_load_b128 s[8:11], s[0:1], 0x38
	s_mov_b32 s13, 0
	s_delay_alu instid0(SALU_CYCLE_1)
	s_lshl_b64 s[6:7], s[12:13], 3
	s_waitcnt lgkmcnt(0)
	s_add_u32 s6, s8, s6
	s_addc_u32 s7, s9, s7
	s_lshl_b64 s[8:9], s[10:11], 3
	s_load_b64 s[6:7], s[6:7], 0x0
	s_waitcnt lgkmcnt(0)
	s_add_u32 s6, s6, s8
	s_addc_u32 s7, s7, s9
.LBB38_10:
	s_delay_alu instid0(VALU_DEP_1)
	v_cmp_ne_u32_e32 vcc_lo, 1, v1
	s_cbranch_vccnz .LBB38_192
; %bb.11:
	s_clause 0x1
	s_load_b32 s9, s[0:1], 0x48
	s_load_b32 s13, s[0:1], 0x0
	v_and_b32_e32 v25, 0x3ff, v0
	s_lshl_b32 s16, s14, 6
	s_load_b32 s15, s[2:3], 0x0
	v_bfe_u32 v95, v0, 10, 10
	s_delay_alu instid0(VALU_DEP_2) | instskip(SKIP_1) | instid1(VALU_DEP_1)
	v_add_nc_u32_e32 v24, s16, v25
	s_waitcnt lgkmcnt(0)
	v_mul_lo_u32 v1, v24, s9
	s_ashr_i32 s28, s13, 31
	s_delay_alu instid0(SALU_CYCLE_1) | instskip(SKIP_2) | instid1(SALU_CYCLE_1)
	s_lshr_b32 s2, s28, 26
	s_add_i32 s3, s15, -1
	s_add_i32 s2, s13, s2
	s_and_not1_b32 s2, s2, 63
	s_delay_alu instid0(VALU_DEP_1)
	v_ashrrev_i32_e32 v2, 31, v1
	s_sub_i32 s26, s13, s2
	v_cmp_eq_u32_e64 s2, 0, v95
	s_cmp_eq_u32 s14, s3
	s_cselect_b32 s10, s26, 0
	v_lshlrev_b64 v[1:2], 3, v[1:2]
	s_delay_alu instid0(VALU_DEP_1) | instskip(NEXT) | instid1(VALU_DEP_2)
	v_add_co_u32 v12, vcc_lo, s6, v1
	v_add_co_ci_u32_e32 v13, vcc_lo, s7, v2, vcc_lo
	s_mov_b32 s6, -1
	s_and_saveexec_b32 s3, s2
	s_cbranch_execz .LBB38_16
; %bb.12:
	v_cmp_le_i32_e32 vcc_lo, s10, v25
	s_cmp_lg_u32 s10, 0
	v_lshl_add_u32 v0, v25, 3, 0x2380
	s_cselect_b32 s7, -1, 0
	s_delay_alu instid0(SALU_CYCLE_1) | instskip(NEXT) | instid1(SALU_CYCLE_1)
	s_and_b32 s7, s7, vcc_lo
	s_and_saveexec_b32 s8, s7
	s_delay_alu instid0(SALU_CYCLE_1)
	s_xor_b32 s7, exec_lo, s8
	s_cbranch_execz .LBB38_14
; %bb.13:
	v_mov_b32_e32 v1, 0
	s_delay_alu instid0(VALU_DEP_1)
	v_mov_b32_e32 v2, v1
	ds_store_b64 v0, v[1:2]
                                        ; implicit-def: $vgpr0
.LBB38_14:
	s_and_not1_saveexec_b32 s7, s7
	s_cbranch_execz .LBB38_16
; %bb.15:
	flat_load_b64 v[1:2], v[12:13]
	s_waitcnt vmcnt(0) lgkmcnt(0)
	ds_store_b64 v0, v[1:2]
.LBB38_16:
	s_or_b32 exec_lo, exec_lo, s3
	s_load_b32 s18, s[0:1], 0x28
	v_lshl_add_u32 v22, v95, 6, v25
	v_and_b32_e32 v0, 31, v25
	s_ashr_i32 s17, s16, 31
	s_delay_alu instid0(SALU_CYCLE_1) | instskip(NEXT) | instid1(VALU_DEP_2)
	s_lshl_b64 s[20:21], s[16:17], 3
	v_lshrrev_b32_e32 v7, 5, v22
	s_add_u32 s3, s4, s20
	s_addc_u32 s7, s5, s21
	v_lshlrev_b32_e32 v9, 3, v0
	s_delay_alu instid0(VALU_DEP_2) | instskip(SKIP_3) | instid1(SALU_CYCLE_1)
	v_mul_u32_u24_e32 v8, 33, v7
	s_waitcnt lgkmcnt(0)
	v_mad_u64_u32 v[1:2], null, v7, s18, v[0:1]
	s_mul_i32 s4, s16, s18
	s_ashr_i32 s5, s4, 31
	s_delay_alu instid0(SALU_CYCLE_1) | instskip(NEXT) | instid1(SALU_CYCLE_1)
	s_lshl_b64 s[4:5], s[4:5], 3
	s_add_u32 s4, s4, s3
	s_delay_alu instid0(VALU_DEP_1)
	v_ashrrev_i32_e32 v2, 31, v1
	s_addc_u32 s5, s5, s7
	s_cmp_eq_u32 s10, 0
	v_cmp_gt_i32_e64 s3, s10, v0
	s_cselect_b32 s27, -1, 0
	v_lshlrev_b64 v[14:15], 3, v[1:2]
	s_cmp_lg_u32 s10, 0
	s_cselect_b32 s17, -1, 0
	s_delay_alu instid0(SALU_CYCLE_1) | instskip(NEXT) | instid1(VALU_DEP_1)
	s_and_b32 vcc_lo, exec_lo, s17
	v_add_co_u32 v3, s4, s4, v14
	s_delay_alu instid0(VALU_DEP_1)
	v_add_co_ci_u32_e64 v4, s4, s5, v15, s4
	s_cbranch_vccz .LBB38_34
; %bb.17:
	s_delay_alu instid0(VALU_DEP_2) | instskip(SKIP_1) | instid1(VALU_DEP_2)
	v_sub_co_u32 v1, vcc_lo, v3, v9
	s_ashr_i32 s11, s10, 31
	v_subrev_co_ci_u32_e32 v2, vcc_lo, 0, v4, vcc_lo
	s_lshl_b64 s[4:5], s[10:11], 3
	v_add_lshl_u32 v5, v8, v0, 3
	v_add_co_u32 v1, vcc_lo, v1, s4
	s_delay_alu instid0(VALU_DEP_3) | instskip(SKIP_1) | instid1(VALU_DEP_2)
	v_add_co_ci_u32_e32 v2, vcc_lo, s5, v2, vcc_lo
	s_mov_b32 s6, exec_lo
	v_add_co_u32 v1, vcc_lo, v1, -8
	s_delay_alu instid0(VALU_DEP_2) | instskip(NEXT) | instid1(VALU_DEP_2)
	v_add_co_ci_u32_e32 v2, vcc_lo, -1, v2, vcc_lo
	v_cndmask_b32_e64 v1, v1, v3, s3
	s_delay_alu instid0(VALU_DEP_2)
	v_cndmask_b32_e64 v2, v2, v4, s3
	v_cmpx_le_i32_e64 s10, v7
	s_xor_b32 s6, exec_lo, s6
	s_cbranch_execz .LBB38_19
; %bb.18:
	v_mov_b32_e32 v10, 0
	s_delay_alu instid0(VALU_DEP_1)
	v_mov_b32_e32 v11, v10
	ds_store_b64 v5, v[10:11]
.LBB38_19:
	s_and_not1_saveexec_b32 s6, s6
	s_cbranch_execz .LBB38_21
; %bb.20:
	flat_load_b64 v[10:11], v[1:2]
	s_waitcnt vmcnt(0) lgkmcnt(0)
	ds_store_b64 v5, v[10:11]
.LBB38_21:
	s_or_b32 exec_lo, exec_lo, s6
	v_add_nc_u32_e32 v6, 8, v7
	s_mov_b32 s6, exec_lo
	s_delay_alu instid0(VALU_DEP_1)
	v_cmpx_le_i32_e64 s10, v6
	s_xor_b32 s6, exec_lo, s6
	s_cbranch_execz .LBB38_23
; %bb.22:
	v_mul_u32_u24_e32 v6, 33, v6
	v_mov_b32_e32 v10, 0
	s_delay_alu instid0(VALU_DEP_2) | instskip(NEXT) | instid1(VALU_DEP_2)
	v_add_lshl_u32 v6, v6, v0, 3
	v_mov_b32_e32 v11, v10
	ds_store_b64 v6, v[10:11]
.LBB38_23:
	s_and_not1_saveexec_b32 s6, s6
	s_cbranch_execz .LBB38_25
; %bb.24:
	s_lshl_b32 s20, s18, 3
	s_delay_alu instid0(SALU_CYCLE_1) | instskip(NEXT) | instid1(SALU_CYCLE_1)
	s_ashr_i32 s21, s20, 31
	s_lshl_b64 s[20:21], s[20:21], 3
	s_delay_alu instid0(SALU_CYCLE_1)
	v_add_co_u32 v10, vcc_lo, v1, s20
	v_add_co_ci_u32_e32 v11, vcc_lo, s21, v2, vcc_lo
	flat_load_b64 v[10:11], v[10:11]
	s_waitcnt vmcnt(0) lgkmcnt(0)
	ds_store_b64 v5, v[10:11] offset:2112
.LBB38_25:
	s_or_b32 exec_lo, exec_lo, s6
	v_add_nc_u32_e32 v6, 16, v7
	s_mov_b32 s6, exec_lo
	s_delay_alu instid0(VALU_DEP_1)
	v_cmpx_le_i32_e64 s10, v6
	s_xor_b32 s6, exec_lo, s6
	s_cbranch_execz .LBB38_27
; %bb.26:
	v_mul_u32_u24_e32 v6, 33, v6
	v_mov_b32_e32 v10, 0
	s_delay_alu instid0(VALU_DEP_2) | instskip(NEXT) | instid1(VALU_DEP_2)
	v_add_lshl_u32 v6, v6, v0, 3
	v_mov_b32_e32 v11, v10
	ds_store_b64 v6, v[10:11]
.LBB38_27:
	s_and_not1_saveexec_b32 s6, s6
	s_cbranch_execz .LBB38_29
; %bb.28:
	s_lshl_b32 s20, s18, 4
	s_delay_alu instid0(SALU_CYCLE_1) | instskip(NEXT) | instid1(SALU_CYCLE_1)
	s_ashr_i32 s21, s20, 31
	s_lshl_b64 s[20:21], s[20:21], 3
	s_delay_alu instid0(SALU_CYCLE_1)
	v_add_co_u32 v10, vcc_lo, v1, s20
	v_add_co_ci_u32_e32 v11, vcc_lo, s21, v2, vcc_lo
	flat_load_b64 v[10:11], v[10:11]
	s_waitcnt vmcnt(0) lgkmcnt(0)
	ds_store_b64 v5, v[10:11] offset:4224
.LBB38_29:
	s_or_b32 exec_lo, exec_lo, s6
	v_add_nc_u32_e32 v6, 24, v7
	s_mov_b32 s6, exec_lo
	s_delay_alu instid0(VALU_DEP_1)
	v_cmpx_le_i32_e64 s10, v6
	s_xor_b32 s6, exec_lo, s6
	s_cbranch_execz .LBB38_31
; %bb.30:
	v_mov_b32_e32 v10, 0
	s_delay_alu instid0(VALU_DEP_1)
	v_mov_b32_e32 v11, v10
	ds_store_b64 v5, v[10:11] offset:6336
                                        ; implicit-def: $vgpr5
.LBB38_31:
	s_and_not1_saveexec_b32 s6, s6
	s_cbranch_execz .LBB38_33
; %bb.32:
	s_mul_i32 s20, s18, 24
	s_delay_alu instid0(SALU_CYCLE_1) | instskip(NEXT) | instid1(SALU_CYCLE_1)
	s_ashr_i32 s21, s20, 31
	s_lshl_b64 s[20:21], s[20:21], 3
	s_delay_alu instid0(SALU_CYCLE_1)
	v_add_co_u32 v10, vcc_lo, v1, s20
	v_add_co_ci_u32_e32 v11, vcc_lo, s21, v2, vcc_lo
	flat_load_b64 v[10:11], v[10:11]
	s_waitcnt vmcnt(0) lgkmcnt(0)
	ds_store_b64 v5, v[10:11] offset:6336
.LBB38_33:
	s_or_b32 exec_lo, exec_lo, s6
	v_add_co_u32 v1, vcc_lo, v1, v9
	v_add_co_ci_u32_e32 v2, vcc_lo, 0, v2, vcc_lo
	s_delay_alu instid0(VALU_DEP_2) | instskip(NEXT) | instid1(VALU_DEP_2)
	v_sub_co_u32 v1, vcc_lo, v1, s4
	v_subrev_co_ci_u32_e32 v2, vcc_lo, s5, v2, vcc_lo
	s_delay_alu instid0(VALU_DEP_2) | instskip(NEXT) | instid1(VALU_DEP_2)
	v_add_co_u32 v1, vcc_lo, v1, 8
	v_add_co_ci_u32_e32 v2, vcc_lo, 0, v2, vcc_lo
	s_delay_alu instid0(VALU_DEP_2) | instskip(NEXT) | instid1(VALU_DEP_2)
	v_cndmask_b32_e64 v1, v1, v3, s3
	v_cndmask_b32_e64 v2, v2, v4, s3
	s_branch .LBB38_36
.LBB38_34:
                                        ; implicit-def: $vgpr1_vgpr2
	s_and_b32 vcc_lo, exec_lo, s6
	s_cbranch_vccz .LBB38_36
; %bb.35:
	flat_load_b64 v[1:2], v[3:4]
	s_lshl_b32 s4, s18, 3
	v_add_lshl_u32 v10, v8, v0, 3
	s_ashr_i32 s5, s4, 31
	s_ashr_i32 s19, s18, 31
	s_lshl_b64 s[4:5], s[4:5], 3
	s_delay_alu instid0(SALU_CYCLE_1)
	v_add_co_u32 v5, vcc_lo, v3, s4
	v_add_co_ci_u32_e32 v6, vcc_lo, s5, v4, vcc_lo
	s_lshl_b64 s[4:5], s[18:19], 6
	s_waitcnt vmcnt(0) lgkmcnt(0)
	ds_store_b64 v10, v[1:2]
	flat_load_b64 v[1:2], v[5:6]
	v_add_co_u32 v5, vcc_lo, v5, s4
	v_add_co_ci_u32_e32 v6, vcc_lo, s5, v6, vcc_lo
	s_waitcnt vmcnt(0) lgkmcnt(0)
	ds_store_b64 v10, v[1:2] offset:2112
	flat_load_b64 v[1:2], v[5:6]
	v_add_co_u32 v5, vcc_lo, v5, s4
	v_add_co_ci_u32_e32 v6, vcc_lo, s5, v6, vcc_lo
	s_waitcnt vmcnt(0) lgkmcnt(0)
	ds_store_b64 v10, v[1:2] offset:4224
	flat_load_b64 v[5:6], v[5:6]
	v_dual_mov_b32 v1, v3 :: v_dual_mov_b32 v2, v4
	s_waitcnt vmcnt(0) lgkmcnt(0)
	ds_store_b64 v10, v[5:6] offset:6336
.LBB38_36:
	v_lshlrev_b32_e32 v19, 2, v7
	s_waitcnt lgkmcnt(0)
	s_barrier
	buffer_gl0_inv
	v_cmp_le_u32_e64 s4, v19, v0
	s_delay_alu instid0(VALU_DEP_1) | instskip(NEXT) | instid1(SALU_CYCLE_1)
	s_and_saveexec_b32 s3, s4
	s_xor_b32 s3, exec_lo, s3
	s_cbranch_execz .LBB38_40
; %bb.37:
	s_mov_b32 s5, exec_lo
	v_cmpx_eq_u32_e64 v19, v0
	s_cbranch_execz .LBB38_39
; %bb.38:
	v_mul_u32_u24_e32 v3, 34, v0
	s_delay_alu instid0(VALU_DEP_1)
	v_dual_mov_b32 v4, 0 :: v_dual_lshlrev_b32 v3, 3, v3
	ds_store_b32 v3, v4 offset:4
.LBB38_39:
	s_or_b32 exec_lo, exec_lo, s5
.LBB38_40:
	s_or_saveexec_b32 s3, s3
	v_mul_u32_u24_e32 v10, 33, v0
	v_mul_u32_u24_e32 v3, 0x84, v7
	s_delay_alu instid0(VALU_DEP_2)
	v_add_lshl_u32 v16, v19, v10, 3
	s_xor_b32 exec_lo, exec_lo, s3
	s_cbranch_execz .LBB38_42
; %bb.41:
	s_delay_alu instid0(VALU_DEP_2)
	v_add_lshl_u32 v4, v3, v0, 3
	ds_load_b64 v[4:5], v4
	s_waitcnt lgkmcnt(0)
	v_xor_b32_e32 v5, 0x80000000, v5
	ds_store_b64 v16, v[4:5]
.LBB38_42:
	s_or_b32 exec_lo, exec_lo, s3
	v_or_b32_e32 v17, 1, v19
	v_cmp_ge_u32_e64 s5, v19, v0
	s_delay_alu instid0(VALU_DEP_2) | instskip(NEXT) | instid1(VALU_DEP_2)
	v_mul_u32_u24_e32 v4, 33, v17
	s_and_saveexec_b32 s3, s5
	s_delay_alu instid0(SALU_CYCLE_1)
	s_xor_b32 s3, exec_lo, s3
	s_cbranch_execz .LBB38_44
; %bb.43:
	s_delay_alu instid0(VALU_DEP_1)
	v_add_lshl_u32 v5, v4, v0, 3
	ds_load_b64 v[5:6], v5
	s_waitcnt lgkmcnt(0)
	v_xor_b32_e32 v6, 0x80000000, v6
	ds_store_b64 v16, v[5:6] offset:8
.LBB38_44:
	s_and_not1_saveexec_b32 s3, s3
	s_cbranch_execz .LBB38_48
; %bb.45:
	s_mov_b32 s6, exec_lo
	v_cmpx_eq_u32_e64 v17, v0
	s_cbranch_execz .LBB38_47
; %bb.46:
	v_mul_u32_u24_e32 v5, 34, v0
	s_delay_alu instid0(VALU_DEP_1)
	v_dual_mov_b32 v6, 0 :: v_dual_lshlrev_b32 v5, 3, v5
	ds_store_b32 v5, v6 offset:4
.LBB38_47:
	s_or_b32 exec_lo, exec_lo, s6
.LBB38_48:
	s_delay_alu instid0(SALU_CYCLE_1) | instskip(SKIP_1) | instid1(VALU_DEP_1)
	s_or_b32 exec_lo, exec_lo, s3
	v_or_b32_e32 v20, 2, v19
	v_cmp_le_u32_e64 s6, v20, v0
	s_delay_alu instid0(VALU_DEP_1) | instskip(NEXT) | instid1(SALU_CYCLE_1)
	s_and_saveexec_b32 s3, s6
	s_xor_b32 s3, exec_lo, s3
	s_cbranch_execz .LBB38_52
; %bb.49:
	s_mov_b32 s7, exec_lo
	v_cmpx_eq_u32_e64 v20, v0
	s_cbranch_execz .LBB38_51
; %bb.50:
	v_mul_u32_u24_e32 v5, 34, v0
	s_delay_alu instid0(VALU_DEP_1)
	v_dual_mov_b32 v6, 0 :: v_dual_lshlrev_b32 v5, 3, v5
	ds_store_b32 v5, v6 offset:4
.LBB38_51:
	s_or_b32 exec_lo, exec_lo, s7
.LBB38_52:
	s_and_not1_saveexec_b32 s3, s3
	s_cbranch_execz .LBB38_54
; %bb.53:
	v_mul_u32_u24_e32 v5, 33, v20
	s_delay_alu instid0(VALU_DEP_1)
	v_add_lshl_u32 v5, v5, v0, 3
	ds_load_b64 v[5:6], v5
	s_waitcnt lgkmcnt(0)
	v_xor_b32_e32 v6, 0x80000000, v6
	ds_store_b64 v16, v[5:6] offset:16
.LBB38_54:
	s_or_b32 exec_lo, exec_lo, s3
	v_or_b32_e32 v21, 3, v19
	s_delay_alu instid0(VALU_DEP_1) | instskip(NEXT) | instid1(VALU_DEP_1)
	v_cmp_le_u32_e64 s7, v21, v0
	s_and_saveexec_b32 s3, s7
	s_delay_alu instid0(SALU_CYCLE_1)
	s_xor_b32 s3, exec_lo, s3
	s_cbranch_execz .LBB38_58
; %bb.55:
	s_mov_b32 s8, exec_lo
	v_cmpx_eq_u32_e64 v21, v0
	s_cbranch_execz .LBB38_57
; %bb.56:
	v_mul_u32_u24_e32 v5, 34, v0
	s_delay_alu instid0(VALU_DEP_1)
	v_dual_mov_b32 v6, 0 :: v_dual_lshlrev_b32 v5, 3, v5
	ds_store_b32 v5, v6 offset:4
.LBB38_57:
	s_or_b32 exec_lo, exec_lo, s8
.LBB38_58:
	s_and_not1_saveexec_b32 s3, s3
	s_cbranch_execz .LBB38_60
; %bb.59:
	v_mul_u32_u24_e32 v5, 33, v21
	s_delay_alu instid0(VALU_DEP_1)
	v_add_lshl_u32 v5, v5, v0, 3
	ds_load_b64 v[5:6], v5
	s_waitcnt lgkmcnt(0)
	v_xor_b32_e32 v6, 0x80000000, v6
	ds_store_b64 v16, v[5:6] offset:24
.LBB38_60:
	s_or_b32 exec_lo, exec_lo, s3
	v_add_lshl_u32 v11, v3, v0, 3
	v_lshlrev_b32_e32 v29, 3, v19
	v_add_lshl_u32 v18, v4, v0, 3
	s_waitcnt lgkmcnt(0)
	s_barrier
	buffer_gl0_inv
	ds_load_b64 v[26:27], v11
	ds_load_b128 v[3:6], v29 offset:9088
	ds_load_2addr_b64 v[30:33], v18 offset1:33
	ds_load_b128 v[34:37], v29 offset:9104
	ds_load_b64 v[38:39], v18 offset:528
	v_cmp_gt_u32_e64 s3, 32, v22
	s_waitcnt lgkmcnt(0)
	s_barrier
	buffer_gl0_inv
	v_mul_f32_e32 v23, v4, v27
	v_mul_f32_e32 v27, v3, v27
	;; [unrolled: 1-line block ×3, first 2 shown]
	v_dual_mul_f32 v31, v5, v31 :: v_dual_mul_f32 v40, v35, v33
	s_delay_alu instid0(VALU_DEP_4) | instskip(NEXT) | instid1(VALU_DEP_4)
	v_fma_f32 v3, v3, v26, -v23
	v_fmac_f32_e32 v27, v4, v26
	v_dual_mul_f32 v33, v34, v33 :: v_dual_mul_f32 v4, v37, v39
	v_fma_f32 v5, v5, v30, -v28
	s_delay_alu instid0(VALU_DEP_3)
	v_dual_fmac_f32 v31, v6, v30 :: v_dual_add_f32 v6, 0, v27
	v_add_f32_e32 v3, 0, v3
	v_mul_f32_e32 v27, v36, v39
	v_fma_f32 v23, v34, v32, -v40
	v_fma_f32 v4, v36, v38, -v4
	v_add_lshl_u32 v28, v7, v10, 3
	v_add_f32_e32 v3, v3, v5
	v_add_f32_e32 v5, v6, v31
	v_fmac_f32_e32 v27, v37, v38
	v_dual_fmac_f32 v33, v35, v32 :: v_dual_mov_b32 v26, 0
	s_delay_alu instid0(VALU_DEP_4) | instskip(SKIP_1) | instid1(VALU_DEP_3)
	v_add_f32_e32 v3, v3, v23
	v_lshlrev_b32_e32 v23, 3, v10
	v_add_f32_e32 v5, v5, v33
	s_delay_alu instid0(VALU_DEP_1)
	v_dual_add_f32 v3, v3, v4 :: v_dual_add_f32 v4, v5, v27
	v_mov_b32_e32 v27, 0
	ds_store_b64 v28, v[3:4]
	s_waitcnt lgkmcnt(0)
	s_barrier
	buffer_gl0_inv
	s_and_saveexec_b32 s8, s3
	s_cbranch_execz .LBB38_62
; %bb.61:
	ds_load_2addr_b64 v[3:6], v23 offset1:7
	ds_load_2addr_b64 v[30:33], v23 offset0:1 offset1:2
	ds_load_2addr_b64 v[34:37], v23 offset0:3 offset1:4
	;; [unrolled: 1-line block ×3, first 2 shown]
	s_waitcnt lgkmcnt(2)
	v_dual_add_f32 v3, v30, v3 :: v_dual_add_f32 v4, v31, v4
	s_delay_alu instid0(VALU_DEP_1) | instskip(SKIP_1) | instid1(VALU_DEP_1)
	v_dual_add_f32 v3, v3, v32 :: v_dual_add_f32 v4, v4, v33
	s_waitcnt lgkmcnt(1)
	v_dual_add_f32 v3, v3, v34 :: v_dual_add_f32 v4, v4, v35
	s_delay_alu instid0(VALU_DEP_1) | instskip(SKIP_1) | instid1(VALU_DEP_1)
	v_dual_add_f32 v3, v3, v36 :: v_dual_add_f32 v4, v4, v37
	s_waitcnt lgkmcnt(0)
	v_dual_add_f32 v3, v3, v38 :: v_dual_add_f32 v4, v4, v39
	s_delay_alu instid0(VALU_DEP_1) | instskip(NEXT) | instid1(VALU_DEP_1)
	v_dual_add_f32 v3, v3, v40 :: v_dual_add_f32 v4, v4, v41
	v_dual_add_f32 v26, v3, v5 :: v_dual_add_f32 v27, v4, v6
.LBB38_62:
	s_or_b32 exec_lo, exec_lo, s8
	s_lshl_b32 s22, s18, 5
	s_delay_alu instid0(SALU_CYCLE_1)
	s_ashr_i32 s23, s22, 31
	s_barrier
	s_lshl_b64 s[20:21], s[22:23], 3
	buffer_gl0_inv
	v_add_co_u32 v5, vcc_lo, v1, s20
	v_add_co_ci_u32_e32 v6, vcc_lo, s21, v2, vcc_lo
	s_delay_alu instid0(VALU_DEP_2) | instskip(NEXT) | instid1(VALU_DEP_2)
	v_add_co_u32 v3, vcc_lo, 0x100, v5
	v_add_co_ci_u32_e32 v4, vcc_lo, 0, v6, vcc_lo
	s_and_b32 vcc_lo, exec_lo, s17
	s_cbranch_vccz .LBB38_80
; %bb.63:
	v_or_b32_e32 v1, 32, v0
	s_ashr_i32 s11, s10, 31
	s_delay_alu instid0(SALU_CYCLE_1) | instskip(SKIP_1) | instid1(VALU_DEP_1)
	s_lshl_b64 s[24:25], s[10:11], 3
	s_sub_i32 s11, s10, 32
	v_lshlrev_b32_e32 v2, 3, v1
	v_cmp_le_i32_e64 s8, s11, v7
	s_delay_alu instid0(VALU_DEP_2) | instskip(SKIP_1) | instid1(VALU_DEP_2)
	v_sub_co_u32 v2, vcc_lo, v3, v2
	v_subrev_co_ci_u32_e32 v30, vcc_lo, 0, v4, vcc_lo
	v_add_co_u32 v2, vcc_lo, v2, s24
	s_delay_alu instid0(VALU_DEP_2) | instskip(NEXT) | instid1(VALU_DEP_2)
	v_add_co_ci_u32_e32 v30, vcc_lo, s25, v30, vcc_lo
	v_add_co_u32 v31, vcc_lo, v2, -8
	s_delay_alu instid0(VALU_DEP_2) | instskip(SKIP_2) | instid1(VALU_DEP_3)
	v_add_co_ci_u32_e32 v2, vcc_lo, -1, v30, vcc_lo
	v_cmp_gt_i32_e32 vcc_lo, s10, v1
	v_add_lshl_u32 v30, v8, v0, 3
	v_dual_cndmask_b32 v1, v31, v3 :: v_dual_cndmask_b32 v2, v2, v4
	s_and_saveexec_b32 s19, s8
	s_delay_alu instid0(SALU_CYCLE_1)
	s_xor_b32 s8, exec_lo, s19
	s_cbranch_execz .LBB38_65
; %bb.64:
	v_mov_b32_e32 v31, 0
	s_delay_alu instid0(VALU_DEP_1)
	v_mov_b32_e32 v32, v31
	ds_store_b64 v30, v[31:32]
.LBB38_65:
	s_and_not1_saveexec_b32 s8, s8
	s_cbranch_execz .LBB38_67
; %bb.66:
	flat_load_b64 v[31:32], v[1:2]
	s_waitcnt vmcnt(0) lgkmcnt(0)
	ds_store_b64 v30, v[31:32]
.LBB38_67:
	s_or_b32 exec_lo, exec_lo, s8
	v_add_nc_u32_e32 v31, 8, v7
	s_delay_alu instid0(VALU_DEP_1) | instskip(NEXT) | instid1(VALU_DEP_1)
	v_cmp_le_i32_e64 s8, s11, v31
	s_and_saveexec_b32 s19, s8
	s_delay_alu instid0(SALU_CYCLE_1)
	s_xor_b32 s8, exec_lo, s19
	s_cbranch_execz .LBB38_69
; %bb.68:
	v_mul_u32_u24_e32 v32, 33, v31
	v_mov_b32_e32 v31, 0
	s_delay_alu instid0(VALU_DEP_2) | instskip(NEXT) | instid1(VALU_DEP_2)
	v_add_lshl_u32 v33, v32, v0, 3
	v_mov_b32_e32 v32, v31
	ds_store_b64 v33, v[31:32]
.LBB38_69:
	s_and_not1_saveexec_b32 s19, s8
	s_cbranch_execz .LBB38_71
; %bb.70:
	s_lshl_b32 s30, s18, 3
	s_delay_alu instid0(SALU_CYCLE_1) | instskip(NEXT) | instid1(SALU_CYCLE_1)
	s_ashr_i32 s31, s30, 31
	s_lshl_b64 s[30:31], s[30:31], 3
	s_delay_alu instid0(SALU_CYCLE_1) | instskip(NEXT) | instid1(VALU_DEP_1)
	v_add_co_u32 v31, s8, v1, s30
	v_add_co_ci_u32_e64 v32, s8, s31, v2, s8
	flat_load_b64 v[31:32], v[31:32]
	s_waitcnt vmcnt(0) lgkmcnt(0)
	ds_store_b64 v30, v[31:32] offset:2112
.LBB38_71:
	s_or_b32 exec_lo, exec_lo, s19
	v_add_nc_u32_e32 v31, 16, v7
	s_delay_alu instid0(VALU_DEP_1) | instskip(NEXT) | instid1(VALU_DEP_1)
	v_cmp_le_i32_e64 s8, s11, v31
	s_and_saveexec_b32 s19, s8
	s_delay_alu instid0(SALU_CYCLE_1)
	s_xor_b32 s8, exec_lo, s19
	s_cbranch_execz .LBB38_73
; %bb.72:
	v_mul_u32_u24_e32 v32, 33, v31
	v_mov_b32_e32 v31, 0
	s_delay_alu instid0(VALU_DEP_2) | instskip(NEXT) | instid1(VALU_DEP_2)
	v_add_lshl_u32 v33, v32, v0, 3
	v_mov_b32_e32 v32, v31
	ds_store_b64 v33, v[31:32]
.LBB38_73:
	s_and_not1_saveexec_b32 s19, s8
	s_cbranch_execz .LBB38_75
; %bb.74:
	s_lshl_b32 s30, s18, 4
	s_delay_alu instid0(SALU_CYCLE_1) | instskip(NEXT) | instid1(SALU_CYCLE_1)
	s_ashr_i32 s31, s30, 31
	s_lshl_b64 s[30:31], s[30:31], 3
	s_delay_alu instid0(SALU_CYCLE_1) | instskip(NEXT) | instid1(VALU_DEP_1)
	v_add_co_u32 v31, s8, v1, s30
	v_add_co_ci_u32_e64 v32, s8, s31, v2, s8
	flat_load_b64 v[31:32], v[31:32]
	s_waitcnt vmcnt(0) lgkmcnt(0)
	ds_store_b64 v30, v[31:32] offset:4224
.LBB38_75:
	s_or_b32 exec_lo, exec_lo, s19
	v_add_nc_u32_e32 v31, 24, v7
	s_delay_alu instid0(VALU_DEP_1) | instskip(NEXT) | instid1(VALU_DEP_1)
	v_cmp_le_i32_e64 s8, s11, v31
	s_and_saveexec_b32 s11, s8
	s_delay_alu instid0(SALU_CYCLE_1)
	s_xor_b32 s8, exec_lo, s11
	s_cbranch_execz .LBB38_77
; %bb.76:
	v_mov_b32_e32 v31, 0
	s_delay_alu instid0(VALU_DEP_1)
	v_mov_b32_e32 v32, v31
	ds_store_b64 v30, v[31:32] offset:6336
                                        ; implicit-def: $vgpr30
.LBB38_77:
	s_and_not1_saveexec_b32 s11, s8
	s_cbranch_execz .LBB38_79
; %bb.78:
	s_mul_i32 s30, s18, 24
	s_delay_alu instid0(SALU_CYCLE_1) | instskip(NEXT) | instid1(SALU_CYCLE_1)
	s_ashr_i32 s31, s30, 31
	s_lshl_b64 s[30:31], s[30:31], 3
	s_delay_alu instid0(SALU_CYCLE_1) | instskip(NEXT) | instid1(VALU_DEP_1)
	v_add_co_u32 v31, s8, v1, s30
	v_add_co_ci_u32_e64 v32, s8, s31, v2, s8
	flat_load_b64 v[31:32], v[31:32]
	s_waitcnt vmcnt(0) lgkmcnt(0)
	ds_store_b64 v30, v[31:32] offset:6336
.LBB38_79:
	s_or_b32 exec_lo, exec_lo, s11
	v_add_co_u32 v1, s8, v1, v9
	s_delay_alu instid0(VALU_DEP_1) | instskip(NEXT) | instid1(VALU_DEP_2)
	v_add_co_ci_u32_e64 v2, s8, 0, v2, s8
	v_sub_co_u32 v1, s8, v1, s24
	s_delay_alu instid0(VALU_DEP_1) | instskip(NEXT) | instid1(VALU_DEP_2)
	v_subrev_co_ci_u32_e64 v2, s8, s25, v2, s8
	v_add_co_u32 v1, s8, 0x108, v1
	s_delay_alu instid0(VALU_DEP_1) | instskip(NEXT) | instid1(VALU_DEP_1)
	v_add_co_ci_u32_e64 v2, s8, 0, v2, s8
	v_dual_cndmask_b32 v1, v1, v3 :: v_dual_cndmask_b32 v2, v2, v4
	s_branch .LBB38_82
.LBB38_80:
                                        ; implicit-def: $vgpr1_vgpr2
	s_cbranch_execz .LBB38_82
; %bb.81:
	flat_load_b64 v[1:2], v[5:6] offset:256
	s_lshl_b32 s24, s18, 3
	v_add_lshl_u32 v30, v8, v0, 3
	s_ashr_i32 s25, s24, 31
	s_ashr_i32 s19, s18, 31
	s_lshl_b64 s[24:25], s[24:25], 3
	s_delay_alu instid0(SALU_CYCLE_1)
	v_add_co_u32 v5, vcc_lo, v5, s24
	v_add_co_ci_u32_e32 v6, vcc_lo, s25, v6, vcc_lo
	s_lshl_b64 s[24:25], s[18:19], 6
	s_waitcnt vmcnt(0) lgkmcnt(0)
	ds_store_b64 v30, v[1:2]
	flat_load_b64 v[1:2], v[5:6] offset:256
	v_add_co_u32 v5, vcc_lo, v5, s24
	v_add_co_ci_u32_e32 v6, vcc_lo, s25, v6, vcc_lo
	s_waitcnt vmcnt(0) lgkmcnt(0)
	ds_store_b64 v30, v[1:2] offset:2112
	flat_load_b64 v[1:2], v[5:6] offset:256
	v_add_co_u32 v5, vcc_lo, v5, s24
	v_add_co_ci_u32_e32 v6, vcc_lo, s25, v6, vcc_lo
	s_waitcnt vmcnt(0) lgkmcnt(0)
	ds_store_b64 v30, v[1:2] offset:4224
	flat_load_b64 v[5:6], v[5:6] offset:256
	v_dual_mov_b32 v1, v3 :: v_dual_mov_b32 v2, v4
	s_waitcnt vmcnt(0) lgkmcnt(0)
	ds_store_b64 v30, v[5:6] offset:6336
.LBB38_82:
	s_waitcnt lgkmcnt(0)
	s_barrier
	buffer_gl0_inv
	s_and_saveexec_b32 s8, s4
	s_delay_alu instid0(SALU_CYCLE_1)
	s_xor_b32 s4, exec_lo, s8
	s_cbranch_execnz .LBB38_111
; %bb.83:
	s_and_not1_saveexec_b32 s4, s4
	s_cbranch_execnz .LBB38_114
.LBB38_84:
	s_or_b32 exec_lo, exec_lo, s4
	s_and_saveexec_b32 s4, s5
	s_delay_alu instid0(SALU_CYCLE_1)
	s_xor_b32 s4, exec_lo, s4
	s_cbranch_execnz .LBB38_115
.LBB38_85:
	s_and_not1_saveexec_b32 s4, s4
	s_cbranch_execnz .LBB38_116
.LBB38_86:
	s_or_b32 exec_lo, exec_lo, s4
	s_and_saveexec_b32 s4, s6
	s_delay_alu instid0(SALU_CYCLE_1)
	s_xor_b32 s4, exec_lo, s4
	s_cbranch_execnz .LBB38_119
.LBB38_87:
	s_and_not1_saveexec_b32 s4, s4
	s_cbranch_execnz .LBB38_122
.LBB38_88:
	s_or_b32 exec_lo, exec_lo, s4
	s_and_saveexec_b32 s4, s7
	s_delay_alu instid0(SALU_CYCLE_1)
	s_xor_b32 s4, exec_lo, s4
	s_cbranch_execnz .LBB38_123
.LBB38_89:
	s_or_saveexec_b32 s4, s4
	v_add_nc_u32_e32 v19, 0x2380, v29
	s_xor_b32 exec_lo, exec_lo, s4
	s_cbranch_execz .LBB38_91
.LBB38_90:
	ds_load_b64 v[3:4], v18 offset:528
	s_waitcnt lgkmcnt(0)
	v_xor_b32_e32 v4, 0x80000000, v4
	ds_store_b64 v16, v[3:4] offset:24
.LBB38_91:
	s_or_b32 exec_lo, exec_lo, s4
	s_waitcnt lgkmcnt(0)
	s_barrier
	buffer_gl0_inv
	ds_load_b64 v[16:17], v11
	ds_load_b128 v[3:6], v19 offset:256
	ds_load_2addr_b64 v[29:32], v18 offset1:33
	ds_load_b128 v[33:36], v19 offset:272
	ds_load_b64 v[20:21], v18 offset:528
	v_cmp_eq_u32_e64 s4, 1, v7
	s_waitcnt lgkmcnt(0)
	s_barrier
	buffer_gl0_inv
	v_dual_mul_f32 v37, v4, v17 :: v_dual_mul_f32 v38, v6, v30
	v_dual_mul_f32 v17, v3, v17 :: v_dual_mul_f32 v30, v5, v30
	v_mul_f32_e32 v39, v34, v32
	s_delay_alu instid0(VALU_DEP_3) | instskip(SKIP_1) | instid1(VALU_DEP_4)
	v_fma_f32 v3, v3, v16, -v37
	v_mul_f32_e32 v32, v33, v32
	v_dual_fmac_f32 v17, v4, v16 :: v_dual_fmac_f32 v30, v6, v29
	v_fma_f32 v5, v5, v29, -v38
	s_delay_alu instid0(VALU_DEP_4) | instskip(NEXT) | instid1(VALU_DEP_4)
	v_add_f32_e32 v3, 0, v3
	v_fmac_f32_e32 v32, v34, v31
	v_mul_f32_e32 v4, v36, v21
	s_delay_alu instid0(VALU_DEP_3) | instskip(SKIP_4) | instid1(VALU_DEP_3)
	v_add_f32_e32 v3, v3, v5
	v_add_f32_e32 v6, 0, v17
	v_mul_f32_e32 v16, v35, v21
	v_fma_f32 v17, v33, v31, -v39
	v_fma_f32 v4, v35, v20, -v4
	v_dual_add_f32 v5, v6, v30 :: v_dual_fmac_f32 v16, v36, v20
	s_delay_alu instid0(VALU_DEP_3) | instskip(NEXT) | instid1(VALU_DEP_2)
	v_add_f32_e32 v3, v3, v17
	v_add_f32_e32 v5, v5, v32
	s_delay_alu instid0(VALU_DEP_2) | instskip(NEXT) | instid1(VALU_DEP_2)
	v_add_f32_e32 v3, v3, v4
	v_add_f32_e32 v4, v5, v16
	ds_store_b64 v28, v[3:4]
	s_waitcnt lgkmcnt(0)
	s_barrier
	buffer_gl0_inv
	s_and_saveexec_b32 s5, s4
	s_cbranch_execz .LBB38_93
; %bb.92:
	ds_load_2addr_b64 v[3:6], v23 offset1:7
	ds_load_2addr_b64 v[29:32], v23 offset0:1 offset1:2
	ds_load_2addr_b64 v[33:36], v23 offset0:3 offset1:4
	;; [unrolled: 1-line block ×3, first 2 shown]
	s_waitcnt lgkmcnt(2)
	v_dual_add_f32 v3, v29, v3 :: v_dual_add_f32 v4, v30, v4
	s_delay_alu instid0(VALU_DEP_1) | instskip(SKIP_1) | instid1(VALU_DEP_1)
	v_dual_add_f32 v3, v3, v31 :: v_dual_add_f32 v4, v4, v32
	s_waitcnt lgkmcnt(1)
	v_dual_add_f32 v3, v3, v33 :: v_dual_add_f32 v4, v4, v34
	s_delay_alu instid0(VALU_DEP_1) | instskip(SKIP_1) | instid1(VALU_DEP_1)
	v_dual_add_f32 v3, v3, v35 :: v_dual_add_f32 v4, v4, v36
	s_waitcnt lgkmcnt(0)
	v_dual_add_f32 v3, v3, v37 :: v_dual_add_f32 v4, v4, v38
	s_delay_alu instid0(VALU_DEP_1) | instskip(NEXT) | instid1(VALU_DEP_1)
	v_dual_add_f32 v3, v3, v39 :: v_dual_add_f32 v4, v4, v40
	v_dual_add_f32 v26, v3, v5 :: v_dual_add_f32 v27, v4, v6
.LBB38_93:
	s_or_b32 exec_lo, exec_lo, s5
	v_add_co_u32 v1, vcc_lo, 0xffffff00, v1
	v_add_co_ci_u32_e32 v2, vcc_lo, -1, v2, vcc_lo
	s_and_b32 vcc_lo, exec_lo, s17
	s_barrier
	buffer_gl0_inv
	s_cbranch_vccz .LBB38_126
; %bb.94:
	v_sub_co_u32 v3, vcc_lo, v1, v9
	s_ashr_i32 s11, s10, 31
	v_subrev_co_ci_u32_e32 v4, vcc_lo, 0, v2, vcc_lo
	s_lshl_b64 s[6:7], s[10:11], 3
	s_sub_i32 s8, s10, 32
	v_add_co_u32 v3, vcc_lo, v3, s6
	s_delay_alu instid0(VALU_DEP_2) | instskip(SKIP_1) | instid1(VALU_DEP_3)
	v_add_co_ci_u32_e32 v4, vcc_lo, s7, v4, vcc_lo
	v_cmp_le_i32_e64 s5, s8, v7
	v_add_co_u32 v3, vcc_lo, v3, -8
	s_delay_alu instid0(VALU_DEP_3) | instskip(SKIP_2) | instid1(VALU_DEP_3)
	v_add_co_ci_u32_e32 v4, vcc_lo, -1, v4, vcc_lo
	v_cmp_gt_i32_e32 vcc_lo, s10, v0
	v_add_lshl_u32 v16, v8, v0, 3
	v_dual_cndmask_b32 v4, v4, v2 :: v_dual_cndmask_b32 v3, v3, v1
	s_and_saveexec_b32 s11, s5
	s_delay_alu instid0(SALU_CYCLE_1)
	s_xor_b32 s5, exec_lo, s11
	s_cbranch_execz .LBB38_96
; %bb.95:
	v_mov_b32_e32 v5, 0
	s_delay_alu instid0(VALU_DEP_1)
	v_mov_b32_e32 v6, v5
	ds_store_b64 v16, v[5:6]
.LBB38_96:
	s_and_not1_saveexec_b32 s5, s5
	s_cbranch_execz .LBB38_98
; %bb.97:
	flat_load_b64 v[5:6], v[3:4]
	s_waitcnt vmcnt(0) lgkmcnt(0)
	ds_store_b64 v16, v[5:6]
.LBB38_98:
	s_or_b32 exec_lo, exec_lo, s5
	v_add_nc_u32_e32 v5, 8, v7
	s_delay_alu instid0(VALU_DEP_1) | instskip(NEXT) | instid1(VALU_DEP_1)
	v_cmp_le_i32_e64 s5, s8, v5
	s_and_saveexec_b32 s11, s5
	s_delay_alu instid0(SALU_CYCLE_1)
	s_xor_b32 s5, exec_lo, s11
	s_cbranch_execz .LBB38_100
; %bb.99:
	v_mul_u32_u24_e32 v6, 33, v5
	v_mov_b32_e32 v20, 0
	s_delay_alu instid0(VALU_DEP_2) | instskip(NEXT) | instid1(VALU_DEP_2)
	v_add_lshl_u32 v6, v6, v0, 3
	v_mov_b32_e32 v21, v20
	ds_store_b64 v6, v[20:21]
.LBB38_100:
	s_and_not1_saveexec_b32 s11, s5
	s_cbranch_execz .LBB38_102
; %bb.101:
	s_lshl_b32 s24, s18, 3
	s_delay_alu instid0(SALU_CYCLE_1) | instskip(NEXT) | instid1(SALU_CYCLE_1)
	s_ashr_i32 s25, s24, 31
	s_lshl_b64 s[24:25], s[24:25], 3
	s_delay_alu instid0(SALU_CYCLE_1) | instskip(NEXT) | instid1(VALU_DEP_1)
	v_add_co_u32 v20, s5, v3, s24
	v_add_co_ci_u32_e64 v21, s5, s25, v4, s5
	flat_load_b64 v[20:21], v[20:21]
	s_waitcnt vmcnt(0) lgkmcnt(0)
	ds_store_b64 v16, v[20:21] offset:2112
.LBB38_102:
	s_or_b32 exec_lo, exec_lo, s11
	v_add_nc_u32_e32 v6, 16, v7
	s_delay_alu instid0(VALU_DEP_1) | instskip(NEXT) | instid1(VALU_DEP_1)
	v_cmp_le_i32_e64 s5, s8, v6
	s_and_saveexec_b32 s11, s5
	s_delay_alu instid0(SALU_CYCLE_1)
	s_xor_b32 s5, exec_lo, s11
	s_cbranch_execz .LBB38_104
; %bb.103:
	v_mul_u32_u24_e32 v17, 33, v6
	v_mov_b32_e32 v20, 0
	s_delay_alu instid0(VALU_DEP_2) | instskip(NEXT) | instid1(VALU_DEP_2)
	v_add_lshl_u32 v17, v17, v0, 3
	v_mov_b32_e32 v21, v20
	ds_store_b64 v17, v[20:21]
.LBB38_104:
	s_and_not1_saveexec_b32 s11, s5
	s_cbranch_execz .LBB38_106
; %bb.105:
	s_lshl_b32 s24, s18, 4
	s_delay_alu instid0(SALU_CYCLE_1) | instskip(NEXT) | instid1(SALU_CYCLE_1)
	s_ashr_i32 s25, s24, 31
	s_lshl_b64 s[24:25], s[24:25], 3
	s_delay_alu instid0(SALU_CYCLE_1) | instskip(NEXT) | instid1(VALU_DEP_1)
	v_add_co_u32 v20, s5, v3, s24
	v_add_co_ci_u32_e64 v21, s5, s25, v4, s5
	flat_load_b64 v[20:21], v[20:21]
	s_waitcnt vmcnt(0) lgkmcnt(0)
	ds_store_b64 v16, v[20:21] offset:4224
.LBB38_106:
	s_or_b32 exec_lo, exec_lo, s11
	v_add_nc_u32_e32 v20, 24, v7
	s_delay_alu instid0(VALU_DEP_1) | instskip(NEXT) | instid1(VALU_DEP_1)
	v_cmp_le_i32_e64 s5, s8, v20
	s_and_saveexec_b32 s8, s5
	s_delay_alu instid0(SALU_CYCLE_1)
	s_xor_b32 s5, exec_lo, s8
	s_cbranch_execz .LBB38_108
; %bb.107:
	v_mov_b32_e32 v29, 0
	s_delay_alu instid0(VALU_DEP_1)
	v_mov_b32_e32 v30, v29
	ds_store_b64 v16, v[29:30] offset:6336
                                        ; implicit-def: $vgpr16
.LBB38_108:
	s_and_not1_saveexec_b32 s8, s5
	s_cbranch_execz .LBB38_110
; %bb.109:
	s_mul_i32 s24, s18, 24
	s_delay_alu instid0(SALU_CYCLE_1) | instskip(NEXT) | instid1(SALU_CYCLE_1)
	s_ashr_i32 s25, s24, 31
	s_lshl_b64 s[24:25], s[24:25], 3
	s_delay_alu instid0(SALU_CYCLE_1) | instskip(NEXT) | instid1(VALU_DEP_1)
	v_add_co_u32 v29, s5, v3, s24
	v_add_co_ci_u32_e64 v30, s5, s25, v4, s5
	flat_load_b64 v[29:30], v[29:30]
	s_waitcnt vmcnt(0) lgkmcnt(0)
	ds_store_b64 v16, v[29:30] offset:6336
.LBB38_110:
	s_or_b32 exec_lo, exec_lo, s8
	v_add_co_u32 v3, s5, v3, v9
	s_delay_alu instid0(VALU_DEP_1) | instskip(NEXT) | instid1(VALU_DEP_2)
	v_add_co_ci_u32_e64 v4, s5, 0, v4, s5
	v_sub_co_u32 v3, s5, v3, s6
	s_delay_alu instid0(VALU_DEP_1) | instskip(NEXT) | instid1(VALU_DEP_2)
	v_subrev_co_ci_u32_e64 v4, s5, s7, v4, s5
	v_add_co_u32 v3, s5, v3, 8
	s_delay_alu instid0(VALU_DEP_1) | instskip(NEXT) | instid1(VALU_DEP_1)
	v_add_co_ci_u32_e64 v4, s5, 0, v4, s5
	v_dual_cndmask_b32 v16, v3, v1 :: v_dual_cndmask_b32 v17, v4, v2
	s_branch .LBB38_128
.LBB38_111:
	s_mov_b32 s8, exec_lo
	v_cmpx_eq_u32_e64 v19, v0
	s_cbranch_execz .LBB38_113
; %bb.112:
	v_mul_u32_u24_e32 v3, 34, v0
	s_delay_alu instid0(VALU_DEP_1)
	v_dual_mov_b32 v4, 0 :: v_dual_lshlrev_b32 v3, 3, v3
	ds_store_b32 v3, v4 offset:4
.LBB38_113:
	s_or_b32 exec_lo, exec_lo, s8
	s_and_not1_saveexec_b32 s4, s4
	s_cbranch_execz .LBB38_84
.LBB38_114:
	ds_load_b64 v[3:4], v11
	s_waitcnt lgkmcnt(0)
	v_xor_b32_e32 v4, 0x80000000, v4
	ds_store_b64 v16, v[3:4]
	s_or_b32 exec_lo, exec_lo, s4
	s_and_saveexec_b32 s4, s5
	s_delay_alu instid0(SALU_CYCLE_1)
	s_xor_b32 s4, exec_lo, s4
	s_cbranch_execz .LBB38_85
.LBB38_115:
	ds_load_b64 v[3:4], v18
                                        ; implicit-def: $vgpr17
	s_waitcnt lgkmcnt(0)
	v_xor_b32_e32 v4, 0x80000000, v4
	ds_store_b64 v16, v[3:4] offset:8
	s_and_not1_saveexec_b32 s4, s4
	s_cbranch_execz .LBB38_86
.LBB38_116:
	s_mov_b32 s5, exec_lo
	v_cmpx_eq_u32_e64 v17, v0
	s_cbranch_execz .LBB38_118
; %bb.117:
	v_mul_u32_u24_e32 v3, 34, v0
	s_delay_alu instid0(VALU_DEP_1)
	v_dual_mov_b32 v4, 0 :: v_dual_lshlrev_b32 v3, 3, v3
	ds_store_b32 v3, v4 offset:4
.LBB38_118:
	s_or_b32 exec_lo, exec_lo, s5
	s_delay_alu instid0(SALU_CYCLE_1) | instskip(SKIP_1) | instid1(SALU_CYCLE_1)
	s_or_b32 exec_lo, exec_lo, s4
	s_and_saveexec_b32 s4, s6
	s_xor_b32 s4, exec_lo, s4
	s_cbranch_execz .LBB38_87
.LBB38_119:
	s_mov_b32 s5, exec_lo
	v_cmpx_eq_u32_e64 v20, v0
	s_cbranch_execz .LBB38_121
; %bb.120:
	v_mul_u32_u24_e32 v3, 34, v0
	s_delay_alu instid0(VALU_DEP_1)
	v_dual_mov_b32 v4, 0 :: v_dual_lshlrev_b32 v3, 3, v3
	ds_store_b32 v3, v4 offset:4
.LBB38_121:
	s_or_b32 exec_lo, exec_lo, s5
	s_and_not1_saveexec_b32 s4, s4
	s_cbranch_execz .LBB38_88
.LBB38_122:
	ds_load_b64 v[3:4], v18 offset:264
	s_waitcnt lgkmcnt(0)
	v_xor_b32_e32 v4, 0x80000000, v4
	ds_store_b64 v16, v[3:4] offset:16
	s_or_b32 exec_lo, exec_lo, s4
	s_and_saveexec_b32 s4, s7
	s_delay_alu instid0(SALU_CYCLE_1)
	s_xor_b32 s4, exec_lo, s4
	s_cbranch_execz .LBB38_89
.LBB38_123:
	s_mov_b32 s5, exec_lo
	v_cmpx_eq_u32_e64 v21, v0
	s_cbranch_execz .LBB38_125
; %bb.124:
	v_mul_u32_u24_e32 v3, 34, v0
	s_delay_alu instid0(VALU_DEP_1)
	v_dual_mov_b32 v4, 0 :: v_dual_lshlrev_b32 v3, 3, v3
	ds_store_b32 v3, v4 offset:4
.LBB38_125:
	s_or_b32 exec_lo, exec_lo, s5
                                        ; implicit-def: $vgpr16
	s_or_saveexec_b32 s4, s4
	v_add_nc_u32_e32 v19, 0x2380, v29
	s_xor_b32 exec_lo, exec_lo, s4
	s_cbranch_execnz .LBB38_90
	s_branch .LBB38_91
.LBB38_126:
                                        ; implicit-def: $vgpr16_vgpr17
                                        ; implicit-def: $vgpr5
                                        ; implicit-def: $vgpr6
                                        ; implicit-def: $vgpr20
	s_cbranch_execz .LBB38_128
; %bb.127:
	flat_load_b64 v[3:4], v[1:2]
	s_lshl_b32 s6, s18, 3
	v_add_lshl_u32 v0, v8, v0, 3
	s_ashr_i32 s7, s6, 31
	s_ashr_i32 s19, s18, 31
	s_lshl_b64 s[6:7], s[6:7], 3
	v_add_nc_u32_e32 v20, 24, v7
	v_add_co_u32 v5, vcc_lo, v1, s6
	v_add_co_ci_u32_e32 v6, vcc_lo, s7, v2, vcc_lo
	s_lshl_b64 s[6:7], s[18:19], 6
	v_dual_mov_b32 v17, v2 :: v_dual_mov_b32 v16, v1
	s_waitcnt vmcnt(0) lgkmcnt(0)
	ds_store_b64 v0, v[3:4]
	flat_load_b64 v[3:4], v[5:6]
	v_add_co_u32 v5, vcc_lo, v5, s6
	v_add_co_ci_u32_e32 v6, vcc_lo, s7, v6, vcc_lo
	s_waitcnt vmcnt(0) lgkmcnt(0)
	ds_store_b64 v0, v[3:4] offset:2112
	flat_load_b64 v[3:4], v[5:6]
	v_add_co_u32 v5, vcc_lo, v5, s6
	v_add_co_ci_u32_e32 v6, vcc_lo, s7, v6, vcc_lo
	s_waitcnt vmcnt(0) lgkmcnt(0)
	ds_store_b64 v0, v[3:4] offset:4224
	flat_load_b64 v[3:4], v[5:6]
	v_add_nc_u32_e32 v6, 16, v7
	v_add_nc_u32_e32 v5, 8, v7
	s_waitcnt vmcnt(0) lgkmcnt(0)
	ds_store_b64 v0, v[3:4] offset:6336
.LBB38_128:
	v_lshlrev_b32_e32 v0, 3, v7
	v_add_lshl_u32 v1, v5, v10, 3
	v_lshlrev_b32_e32 v2, 3, v5
	s_waitcnt lgkmcnt(0)
	s_barrier
	buffer_gl0_inv
	ds_load_b64 v[29:30], v28
	ds_load_b64 v[31:32], v0 offset:9088
	ds_load_b64 v[33:34], v1
	ds_load_b64 v[35:36], v2 offset:9088
	v_add_lshl_u32 v3, v6, v10, 3
	v_add_lshl_u32 v0, v20, v10, 3
	v_lshlrev_b32_e32 v1, 3, v20
	s_waitcnt lgkmcnt(2)
	v_mul_f32_e32 v45, v30, v32
	v_mul_f32_e32 v30, v30, v31
	s_delay_alu instid0(VALU_DEP_2)
	v_dual_fmac_f32 v45, v29, v31 :: v_dual_lshlrev_b32 v4, 3, v6
	ds_load_b64 v[37:38], v3
	ds_load_b64 v[39:40], v4 offset:9088
	ds_load_b64 v[41:42], v0
	ds_load_b64 v[43:44], v1 offset:9088
	ds_load_b64 v[20:21], v11
	ds_load_b128 v[8:11], v19 offset:256
	ds_load_2addr_b64 v[4:7], v18 offset1:33
	ds_load_b128 v[0:3], v19 offset:272
	ds_load_b64 v[18:19], v18 offset:528
	v_fma_f32 v29, v29, v32, -v30
	s_waitcnt lgkmcnt(9)
	v_mul_f32_e32 v46, v34, v36
	s_waitcnt lgkmcnt(0)
	v_add_f32_e32 v32, 0, v45
	s_barrier
	s_delay_alu instid0(VALU_DEP_2) | instskip(SKIP_2) | instid1(VALU_DEP_1)
	v_dual_add_f32 v29, 0, v29 :: v_dual_fmac_f32 v46, v33, v35
	buffer_gl0_inv
	v_dual_add_f32 v32, v32, v46 :: v_dual_mul_f32 v47, v38, v40
	v_dual_mul_f32 v30, v42, v44 :: v_dual_fmac_f32 v47, v37, v39
	s_delay_alu instid0(VALU_DEP_1) | instskip(NEXT) | instid1(VALU_DEP_2)
	v_fmac_f32_e32 v30, v41, v43
	v_add_f32_e32 v32, v32, v47
	v_mul_f32_e32 v34, v34, v35
	s_delay_alu instid0(VALU_DEP_1) | instskip(SKIP_1) | instid1(VALU_DEP_2)
	v_fma_f32 v31, v33, v36, -v34
	v_mul_f32_e32 v33, v42, v43
	v_add_f32_e32 v29, v29, v31
	v_mul_f32_e32 v38, v38, v39
	s_delay_alu instid0(VALU_DEP_3) | instskip(NEXT) | instid1(VALU_DEP_2)
	v_fma_f32 v31, v41, v44, -v33
	v_fma_f32 v34, v37, v40, -v38
	s_delay_alu instid0(VALU_DEP_1) | instskip(NEXT) | instid1(VALU_DEP_1)
	v_add_f32_e32 v33, v29, v34
	v_dual_add_f32 v29, v32, v30 :: v_dual_add_f32 v30, v33, v31
	ds_store_b64 v28, v[29:30]
	s_waitcnt lgkmcnt(0)
	s_barrier
	buffer_gl0_inv
	s_and_saveexec_b32 s5, s4
	s_cbranch_execz .LBB38_130
; %bb.129:
	ds_load_2addr_b64 v[29:32], v23 offset1:1
	ds_load_2addr_b64 v[33:36], v23 offset0:2 offset1:3
	ds_load_2addr_b64 v[37:40], v23 offset0:4 offset1:5
	s_waitcnt lgkmcnt(2)
	v_dual_add_f32 v26, v26, v29 :: v_dual_add_f32 v27, v27, v30
	s_delay_alu instid0(VALU_DEP_1) | instskip(SKIP_3) | instid1(VALU_DEP_1)
	v_dual_add_f32 v26, v26, v31 :: v_dual_add_f32 v27, v27, v32
	ds_load_2addr_b64 v[29:32], v23 offset0:6 offset1:7
	s_waitcnt lgkmcnt(2)
	v_dual_add_f32 v26, v26, v33 :: v_dual_add_f32 v27, v27, v34
	v_dual_add_f32 v26, v26, v35 :: v_dual_add_f32 v27, v27, v36
	s_waitcnt lgkmcnt(1)
	s_delay_alu instid0(VALU_DEP_1) | instskip(NEXT) | instid1(VALU_DEP_1)
	v_dual_add_f32 v26, v26, v37 :: v_dual_add_f32 v27, v27, v38
	v_dual_add_f32 v26, v26, v39 :: v_dual_add_f32 v27, v27, v40
	s_waitcnt lgkmcnt(0)
	s_delay_alu instid0(VALU_DEP_1) | instskip(NEXT) | instid1(VALU_DEP_1)
	v_dual_add_f32 v26, v26, v29 :: v_dual_add_f32 v27, v27, v30
	v_dual_add_f32 v26, v26, v31 :: v_dual_add_f32 v27, v27, v32
.LBB38_130:
	s_or_b32 exec_lo, exec_lo, s5
	v_mul_f32_e32 v29, v9, v21
	v_mul_f32_e32 v21, v8, v21
	v_dual_mul_f32 v30, v11, v5 :: v_dual_mul_f32 v31, v1, v7
	s_delay_alu instid0(VALU_DEP_3) | instskip(NEXT) | instid1(VALU_DEP_3)
	v_fma_f32 v8, v8, v20, -v29
	v_fmac_f32_e32 v21, v9, v20
	v_mul_f32_e32 v7, v0, v7
	s_delay_alu instid0(VALU_DEP_4)
	v_fma_f32 v0, v0, v6, -v31
	s_barrier
	v_dual_add_f32 v8, 0, v8 :: v_dual_mul_f32 v5, v10, v5
	v_fma_f32 v10, v10, v4, -v30
	buffer_gl0_inv
	v_dual_add_f32 v8, v8, v10 :: v_dual_mul_f32 v9, v3, v19
	v_fmac_f32_e32 v5, v11, v4
	s_delay_alu instid0(VALU_DEP_2) | instskip(NEXT) | instid1(VALU_DEP_3)
	v_dual_mul_f32 v11, v2, v19 :: v_dual_add_f32 v0, v8, v0
	v_fma_f32 v2, v2, v18, -v9
	s_delay_alu instid0(VALU_DEP_2) | instskip(NEXT) | instid1(VALU_DEP_2)
	v_fmac_f32_e32 v11, v3, v18
	v_add_f32_e32 v0, v0, v2
	v_dual_add_f32 v4, 0, v21 :: v_dual_fmac_f32 v7, v1, v6
	s_delay_alu instid0(VALU_DEP_1) | instskip(NEXT) | instid1(VALU_DEP_1)
	v_add_f32_e32 v1, v4, v5
	v_add_f32_e32 v1, v1, v7
	s_delay_alu instid0(VALU_DEP_1)
	v_add_f32_e32 v1, v1, v11
	ds_store_b64 v28, v[0:1]
	s_waitcnt lgkmcnt(0)
	s_barrier
	buffer_gl0_inv
	s_and_saveexec_b32 s4, s3
	s_cbranch_execz .LBB38_132
; %bb.131:
	ds_load_2addr_b64 v[0:3], v23 offset1:1
	ds_load_2addr_b64 v[4:7], v23 offset0:2 offset1:3
	ds_load_2addr_b64 v[8:11], v23 offset0:4 offset1:5
	s_waitcnt lgkmcnt(2)
	v_dual_add_f32 v0, v26, v0 :: v_dual_add_f32 v1, v27, v1
	s_delay_alu instid0(VALU_DEP_1) | instskip(SKIP_3) | instid1(VALU_DEP_1)
	v_dual_add_f32 v18, v0, v2 :: v_dual_add_f32 v19, v1, v3
	ds_load_2addr_b64 v[0:3], v23 offset0:6 offset1:7
	s_waitcnt lgkmcnt(2)
	v_dual_add_f32 v4, v18, v4 :: v_dual_add_f32 v5, v19, v5
	v_dual_add_f32 v4, v4, v6 :: v_dual_add_f32 v5, v5, v7
	s_waitcnt lgkmcnt(1)
	s_delay_alu instid0(VALU_DEP_1) | instskip(NEXT) | instid1(VALU_DEP_1)
	v_dual_add_f32 v4, v4, v8 :: v_dual_add_f32 v5, v5, v9
	v_dual_add_f32 v4, v4, v10 :: v_dual_add_f32 v5, v5, v11
	s_waitcnt lgkmcnt(0)
	s_delay_alu instid0(VALU_DEP_1) | instskip(NEXT) | instid1(VALU_DEP_1)
	v_dual_add_f32 v0, v4, v0 :: v_dual_add_f32 v1, v5, v1
	v_dual_add_f32 v26, v0, v2 :: v_dual_add_f32 v27, v1, v3
.LBB38_132:
	s_or_b32 exec_lo, exec_lo, s4
	s_load_b64 s[0:1], s[0:1], 0x68
	s_mul_hi_u32 s3, s13, s12
	s_mul_i32 s28, s28, s12
	s_mul_i32 s4, s13, s12
	s_add_i32 s3, s3, s28
	s_mul_hi_u32 s5, s4, s15
	s_mul_i32 s3, s3, s15
	s_mul_i32 s4, s4, s15
	s_add_i32 s5, s5, s3
	s_mul_hi_i32 s7, s13, s14
	s_lshl_b64 s[4:5], s[4:5], 3
	s_mul_i32 s6, s13, s14
	v_lshlrev_b32_e32 v96, 3, v25
	s_waitcnt lgkmcnt(0)
	s_barrier
	buffer_gl0_inv
	s_add_u32 s3, s0, s4
	s_addc_u32 s4, s1, s5
	s_lshl_b64 s[0:1], s[6:7], 3
	s_delay_alu instid0(SALU_CYCLE_1) | instskip(SKIP_2) | instid1(SALU_CYCLE_1)
	s_add_u32 s3, s3, s0
	s_addc_u32 s11, s4, s1
	s_add_i32 s1, s14, 1
	s_cmp_ge_u32 s1, s15
	s_cbranch_scc1 .LBB38_190
; %bb.133:
	v_dual_mov_b32 v30, 0 :: v_dual_lshlrev_b32 v97, 2, v95
	v_and_b32_e32 v2, 15, v25
	v_lshrrev_b32_e32 v3, 4, v22
	v_and_b32_e32 v4, 48, v25
	s_delay_alu instid0(VALU_DEP_4) | instskip(SKIP_2) | instid1(VALU_DEP_3)
	v_mad_u64_u32 v[0:1], null, v97, s18, v[25:26]
	v_or_b32_e32 v6, 0x78, v96
	s_mul_i32 s4, s16, s9
	v_lshlrev_b32_e32 v5, 3, v4
	s_ashr_i32 s5, s4, 31
	v_lshlrev_b32_e32 v7, 5, v3
	s_lshl_b64 s[4:5], s[4:5], 3
	s_delay_alu instid0(VALU_DEP_4)
	v_ashrrev_i32_e32 v1, 31, v0
	v_mad_u32_u24 v103, 0x218, v2, v6
	v_mul_i32_i24_e32 v6, 0xffffffe8, v3
	v_add_nc_u32_e32 v3, s16, v4
	v_sub_co_u32 v98, vcc_lo, v12, s4
	v_subrev_co_ci_u32_e32 v99, vcc_lo, s5, v13, vcc_lo
	v_mad_u32_u24 v102, 0x218, v2, v5
	v_mad_u32_u24 v104, 0x218, v2, v7
	v_add3_u32 v28, v3, v2, 64
	v_lshlrev_b64 v[2:3], 3, v[0:1]
	v_add_co_u32 v0, vcc_lo, s22, v0
	v_add_co_ci_u32_e32 v1, vcc_lo, s23, v1, vcc_lo
	s_ashr_i32 s19, s18, 31
	s_lshl_b32 s12, s18, 4
	s_lshl_b32 s28, s18, 1
	s_delay_alu instid0(VALU_DEP_1)
	v_lshlrev_b64 v[0:1], 3, v[0:1]
	s_mul_i32 s30, s18, 3
	s_mul_i32 s1, s9, s1
	s_lshl_b64 s[34:35], s[18:19], 4
	s_add_i32 s24, s15, -2
	s_lshl_b32 s25, s9, 6
	s_ashr_i32 s13, s12, 31
	s_ashr_i32 s29, s28, 31
	;; [unrolled: 1-line block ×3, first 2 shown]
	s_lshl_b64 s[8:9], s[18:19], 3
	s_lshl_b32 s4, s1, 6
	v_sub_co_u32 v122, vcc_lo, 0, v14
	s_add_u32 s1, s34, s20
	v_sub_co_ci_u32_e32 v123, vcc_lo, 0, v15, vcc_lo
	s_addc_u32 s5, s35, s21
	v_add_co_u32 v7, vcc_lo, s1, v2
	v_mad_i64_i32 v[4:5], null, s12, 24, v[0:1]
	v_add_co_ci_u32_e32 v8, vcc_lo, s5, v3, vcc_lo
	s_delay_alu instid0(VALU_DEP_3) | instskip(SKIP_1) | instid1(VALU_DEP_2)
	v_add_co_u32 v124, vcc_lo, v16, v7
	s_lshl_b64 s[16:17], s[30:31], 3
	v_add_co_ci_u32_e32 v125, vcc_lo, v17, v8, vcc_lo
	s_lshl_b64 s[6:7], s[12:13], 5
	s_delay_alu instid0(VALU_DEP_4)
	v_add_co_u32 v7, vcc_lo, v4, s16
	s_add_u32 s30, s8, s20
	v_add_co_ci_u32_e32 v8, vcc_lo, s17, v5, vcc_lo
	s_addc_u32 s31, s9, s21
	v_add_co_u32 v9, vcc_lo, s30, v2
	v_add_co_ci_u32_e32 v10, vcc_lo, s31, v3, vcc_lo
	v_add_co_u32 v126, vcc_lo, v16, v7
	v_add_co_ci_u32_e32 v127, vcc_lo, v17, v8, vcc_lo
	s_delay_alu instid0(VALU_DEP_4)
	v_add_co_u32 v128, vcc_lo, v16, v9
	s_mul_i32 s33, s18, 0x180
	s_lshl_b64 s[18:19], s[28:29], 3
	v_add_co_ci_u32_e32 v129, vcc_lo, v17, v10, vcc_lo
	v_add_co_u32 v7, vcc_lo, v4, s18
	v_add_co_ci_u32_e32 v8, vcc_lo, s19, v5, vcc_lo
	v_add_co_u32 v9, vcc_lo, s20, v2
	v_add_co_ci_u32_e32 v10, vcc_lo, s21, v3, vcc_lo
	s_delay_alu instid0(VALU_DEP_4) | instskip(NEXT) | instid1(VALU_DEP_4)
	v_add_co_u32 v130, vcc_lo, v16, v7
	v_add_co_ci_u32_e32 v131, vcc_lo, v17, v8, vcc_lo
	s_delay_alu instid0(VALU_DEP_4) | instskip(NEXT) | instid1(VALU_DEP_4)
	v_add_co_u32 v132, vcc_lo, v16, v9
	v_add_co_ci_u32_e32 v133, vcc_lo, v17, v10, vcc_lo
	v_add_co_u32 v134, vcc_lo, v16, v4
	s_add_u32 s22, s20, s18
	v_add_co_ci_u32_e32 v135, vcc_lo, v17, v5, vcc_lo
	s_addc_u32 s23, s21, s19
	v_add_co_u32 v7, vcc_lo, s22, v2
	v_add_co_ci_u32_e32 v8, vcc_lo, s23, v3, vcc_lo
	v_add_co_u32 v4, vcc_lo, v4, s8
	v_add_co_ci_u32_e32 v5, vcc_lo, s9, v5, vcc_lo
	s_delay_alu instid0(VALU_DEP_4) | instskip(NEXT) | instid1(VALU_DEP_4)
	v_add_co_u32 v136, vcc_lo, v16, v7
	v_add_co_ci_u32_e32 v137, vcc_lo, v17, v8, vcc_lo
	s_delay_alu instid0(VALU_DEP_4)
	v_add_co_u32 v138, vcc_lo, v16, v4
	s_add_u32 s28, s20, s16
	v_add_co_ci_u32_e32 v139, vcc_lo, v17, v5, vcc_lo
	s_addc_u32 s29, s21, s17
	s_lshl_b64 s[22:23], s[12:13], 3
	v_add_co_u32 v4, vcc_lo, s28, v2
	s_add_u32 s28, s1, s22
	v_add_co_ci_u32_e32 v5, vcc_lo, s29, v3, vcc_lo
	s_addc_u32 s29, s5, s23
	v_add_co_u32 v7, vcc_lo, s28, v2
	v_add_co_ci_u32_e32 v8, vcc_lo, s29, v3, vcc_lo
	v_add_co_u32 v140, vcc_lo, v16, v4
	v_add_co_ci_u32_e32 v141, vcc_lo, v17, v5, vcc_lo
	s_mul_hi_i32 s36, s12, 24
	v_add_co_u32 v142, vcc_lo, v16, v7
	s_add_u32 s28, s33, s34
	v_add_co_ci_u32_e32 v143, vcc_lo, v17, v8, vcc_lo
	s_addc_u32 s29, s36, s35
	s_lshl_b64 s[12:13], s[12:13], 4
	v_add_co_u32 v0, vcc_lo, s28, v0
	s_add_u32 s28, s12, s20
	v_add_co_ci_u32_e32 v1, vcc_lo, s29, v1, vcc_lo
	s_addc_u32 s29, s13, s21
	s_add_u32 s33, s28, s16
	s_addc_u32 s34, s29, s17
	v_add_co_u32 v4, vcc_lo, s33, v2
	v_add_co_ci_u32_e32 v5, vcc_lo, s34, v3, vcc_lo
	v_add_co_u32 v144, vcc_lo, v16, v0
	v_add_co_ci_u32_e32 v145, vcc_lo, v17, v1, vcc_lo
	s_delay_alu instid0(VALU_DEP_4)
	v_add_co_u32 v146, vcc_lo, v16, v4
	s_add_u32 s30, s30, s22
	v_add_co_ci_u32_e32 v147, vcc_lo, v17, v5, vcc_lo
	s_addc_u32 s31, s31, s23
	v_add_co_u32 v0, vcc_lo, s30, v2
	s_add_u32 s30, s28, s18
	v_add_co_ci_u32_e32 v1, vcc_lo, s31, v3, vcc_lo
	s_addc_u32 s31, s29, s19
	v_add_co_u32 v4, vcc_lo, s30, v2
	v_add_co_ci_u32_e32 v5, vcc_lo, s31, v3, vcc_lo
	v_add_co_u32 v148, vcc_lo, v16, v0
	v_add_co_ci_u32_e32 v149, vcc_lo, v17, v1, vcc_lo
	s_delay_alu instid0(VALU_DEP_4)
	v_add_co_u32 v150, vcc_lo, v16, v4
	s_add_u32 s20, s20, s22
	v_add_co_ci_u32_e32 v151, vcc_lo, v17, v5, vcc_lo
	s_addc_u32 s21, s21, s23
	v_add_co_u32 v0, vcc_lo, s20, v2
	v_add_co_ci_u32_e32 v1, vcc_lo, s21, v3, vcc_lo
	v_add_co_u32 v4, vcc_lo, s28, v2
	v_add_co_ci_u32_e32 v5, vcc_lo, s29, v3, vcc_lo
	s_delay_alu instid0(VALU_DEP_4) | instskip(NEXT) | instid1(VALU_DEP_4)
	v_add_co_u32 v152, vcc_lo, v16, v0
	v_add_co_ci_u32_e32 v153, vcc_lo, v17, v1, vcc_lo
	s_delay_alu instid0(VALU_DEP_4)
	v_add_co_u32 v154, vcc_lo, v16, v4
	s_add_u32 s18, s20, s18
	v_add_co_ci_u32_e32 v155, vcc_lo, v17, v5, vcc_lo
	s_addc_u32 s19, s21, s19
	v_add_co_u32 v0, vcc_lo, s18, v2
	s_add_u32 s8, s28, s8
	v_add_co_ci_u32_e32 v1, vcc_lo, s19, v3, vcc_lo
	s_addc_u32 s9, s29, s9
	v_add_co_u32 v4, vcc_lo, s8, v2
	v_add_co_ci_u32_e32 v5, vcc_lo, s9, v3, vcc_lo
	v_add_co_u32 v156, vcc_lo, v16, v0
	v_add_co_ci_u32_e32 v157, vcc_lo, v17, v1, vcc_lo
	s_delay_alu instid0(VALU_DEP_4)
	v_add_co_u32 v158, vcc_lo, v16, v4
	s_add_u32 s8, s20, s16
	v_add_co_ci_u32_e32 v159, vcc_lo, v17, v5, vcc_lo
	s_addc_u32 s9, s21, s17
	v_add_co_u32 v0, vcc_lo, s8, v2
	s_add_u32 s1, s1, s12
	v_add_co_ci_u32_e32 v1, vcc_lo, s9, v3, vcc_lo
	s_addc_u32 s5, s5, s13
	v_add_co_u32 v2, vcc_lo, s1, v2
	v_add_co_ci_u32_e32 v3, vcc_lo, s5, v3, vcc_lo
	v_add_co_u32 v160, vcc_lo, v16, v0
	v_add_co_ci_u32_e32 v161, vcc_lo, v17, v1, vcc_lo
	s_delay_alu instid0(VALU_DEP_4)
	v_add_co_u32 v162, vcc_lo, v16, v2
	v_add_nc_u32_e32 v100, 0x2180, v96
	v_add_nc_u32_e32 v101, 0x2380, v96
	v_cmp_gt_u32_e64 s0, 64, v22
	v_or_b32_e32 v105, 1, v97
	v_or_b32_e32 v106, 2, v97
	;; [unrolled: 1-line block ×3, first 2 shown]
	v_lshl_add_u32 v108, v95, 5, 0x2180
	v_mad_u32_u24 v109, 0x860, v95, v96
	v_add_nc_u32_e32 v110, 16, v97
	v_add_nc_u32_e32 v111, 17, v97
	;; [unrolled: 1-line block ×12, first 2 shown]
	v_add_co_ci_u32_e32 v163, vcc_lo, v17, v3, vcc_lo
	v_add_nc_u32_e32 v164, v104, v6
	s_cmp_eq_u32 s24, s14
	s_cselect_b32 s8, s26, 0
	s_and_saveexec_b32 s1, s2
	s_cbranch_execz .LBB38_138
.LBB38_134:
	v_cmp_le_i32_e32 vcc_lo, s8, v25
	s_cmp_lg_u32 s8, 0
	s_cselect_b32 s5, -1, 0
	s_delay_alu instid0(SALU_CYCLE_1) | instskip(NEXT) | instid1(SALU_CYCLE_1)
	s_and_b32 s5, s5, vcc_lo
	s_and_saveexec_b32 s9, s5
	s_delay_alu instid0(SALU_CYCLE_1)
	s_xor_b32 s5, exec_lo, s9
	s_cbranch_execz .LBB38_136
; %bb.135:
	v_mov_b32_e32 v31, v30
	ds_store_b64 v100, v[30:31]
.LBB38_136:
	s_and_not1_saveexec_b32 s5, s5
	s_cbranch_execz .LBB38_138
; %bb.137:
	s_ashr_i32 s5, s4, 31
	s_delay_alu instid0(SALU_CYCLE_1) | instskip(NEXT) | instid1(SALU_CYCLE_1)
	s_lshl_b64 s[12:13], s[4:5], 3
	v_add_co_u32 v0, vcc_lo, v98, s12
	v_add_co_ci_u32_e32 v1, vcc_lo, s13, v99, vcc_lo
	flat_load_b64 v[0:1], v[0:1]
	s_waitcnt vmcnt(0) lgkmcnt(0)
	ds_store_b64 v100, v[0:1]
.LBB38_138:                             ; =>This Inner Loop Header: Depth=1
	s_or_b32 exec_lo, exec_lo, s1
	s_cmp_eq_u32 s8, 0
	v_add_co_u32 v0, vcc_lo, v132, v122
	s_cselect_b32 s5, -1, 0
	s_cmp_lg_u32 s8, 0
	v_add_co_ci_u32_e32 v1, vcc_lo, v133, v123, vcc_lo
	s_cselect_b32 s1, -1, 0
	s_waitcnt lgkmcnt(0)
	s_and_b32 vcc_lo, exec_lo, s1
	s_barrier
	buffer_gl0_inv
	s_cbranch_vccz .LBB38_146
; %bb.139:                              ;   in Loop: Header=BB38_138 Depth=1
	v_dual_mov_b32 v33, 0 :: v_dual_mov_b32 v32, 0
	v_mov_b32_e32 v31, 0
	s_mov_b32 s9, exec_lo
	v_cmpx_gt_i32_e64 s8, v97
	s_cbranch_execz .LBB38_141
; %bb.140:                              ;   in Loop: Header=BB38_138 Depth=1
	flat_load_b64 v[31:32], v[0:1]
.LBB38_141:                             ;   in Loop: Header=BB38_138 Depth=1
	s_or_b32 exec_lo, exec_lo, s9
	v_mov_b32_e32 v34, 0
	s_mov_b32 s9, exec_lo
	v_cmpx_gt_i32_e64 s8, v105
	s_cbranch_execz .LBB38_143
; %bb.142:                              ;   in Loop: Header=BB38_138 Depth=1
	v_add_co_u32 v2, vcc_lo, v128, v122
	v_add_co_ci_u32_e32 v3, vcc_lo, v129, v123, vcc_lo
	flat_load_b64 v[33:34], v[2:3]
.LBB38_143:                             ;   in Loop: Header=BB38_138 Depth=1
	s_or_b32 exec_lo, exec_lo, s9
	v_dual_mov_b32 v35, 0 :: v_dual_mov_b32 v36, 0
	s_mov_b32 s13, 0
	s_mov_b32 s9, exec_lo
	v_cmpx_gt_i32_e64 s8, v106
	s_cbranch_execz .LBB38_145
; %bb.144:                              ;   in Loop: Header=BB38_138 Depth=1
	v_add_co_u32 v2, vcc_lo, v136, v122
	v_add_co_ci_u32_e32 v3, vcc_lo, v137, v123, vcc_lo
	flat_load_b64 v[35:36], v[2:3]
.LBB38_145:                             ;   in Loop: Header=BB38_138 Depth=1
	s_or_b32 exec_lo, exec_lo, s9
	v_cmp_gt_i32_e64 s9, s8, v107
	s_mov_b32 s12, 0
	s_and_b32 vcc_lo, exec_lo, s13
	s_cbranch_vccnz .LBB38_147
	s_branch .LBB38_148
.LBB38_146:                             ;   in Loop: Header=BB38_138 Depth=1
	s_mov_b32 s9, 0
                                        ; implicit-def: $vgpr32
                                        ; implicit-def: $vgpr34
                                        ; implicit-def: $vgpr36
                                        ; implicit-def: $sgpr12
	s_cbranch_execz .LBB38_148
.LBB38_147:                             ;   in Loop: Header=BB38_138 Depth=1
	v_add_co_u32 v2, vcc_lo, v128, v122
	v_add_co_ci_u32_e32 v3, vcc_lo, v129, v123, vcc_lo
	v_add_co_u32 v4, vcc_lo, v124, v122
	v_add_co_ci_u32_e32 v5, vcc_lo, v125, v123, vcc_lo
	s_waitcnt vmcnt(0) lgkmcnt(0)
	flat_load_b64 v[31:32], v[0:1]
	flat_load_b64 v[33:34], v[2:3]
	;; [unrolled: 1-line block ×3, first 2 shown]
	s_or_b32 s9, s9, exec_lo
                                        ; implicit-def: $sgpr12
.LBB38_148:                             ;   in Loop: Header=BB38_138 Depth=1
	v_dual_mov_b32 v37, s12 :: v_dual_mov_b32 v38, s12
	s_and_saveexec_b32 s12, s9
	s_cbranch_execz .LBB38_150
; %bb.149:                              ;   in Loop: Header=BB38_138 Depth=1
	v_add_co_u32 v0, vcc_lo, v140, v122
	v_add_co_ci_u32_e32 v1, vcc_lo, v141, v123, vcc_lo
	flat_load_b64 v[37:38], v[0:1]
.LBB38_150:                             ;   in Loop: Header=BB38_138 Depth=1
	s_or_b32 exec_lo, exec_lo, s12
	ds_load_b64 v[0:1], v101
	ds_load_b64 v[39:40], v108
	v_cndmask_b32_e64 v29, 0, 1, s1
	s_waitcnt vmcnt(0) lgkmcnt(1)
	v_dual_mul_f32 v2, v32, v1 :: v_dual_mul_f32 v5, v34, v0
	v_dual_mul_f32 v3, v32, v0 :: v_dual_mul_f32 v4, v34, v1
	v_dual_mul_f32 v6, v36, v1 :: v_dual_mul_f32 v9, v38, v0
	v_dual_mul_f32 v7, v36, v0 :: v_dual_mul_f32 v8, v38, v1
	s_delay_alu instid0(VALU_DEP_4) | instskip(NEXT) | instid1(VALU_DEP_4)
	v_fmac_f32_e32 v2, v31, v0
	v_fma_f32 v3, v31, v1, -v3
	v_fmac_f32_e32 v4, v33, v0
	v_fma_f32 v5, v33, v1, -v5
	;; [unrolled: 2-line block ×4, first 2 shown]
	ds_store_b64 v109, v[2:3]
	ds_load_b64 v[45:46], v108 offset:8
	ds_store_b64 v109, v[4:5] offset:536
	ds_load_b64 v[43:44], v108 offset:16
	ds_store_b64 v109, v[6:7] offset:1072
	;; [unrolled: 2-line block ×3, first 2 shown]
	s_waitcnt lgkmcnt(0)
	s_barrier
	buffer_gl0_inv
	ds_load_2addr_b64 v[4:7], v104 offset1:1
	ds_load_2addr_b64 v[0:3], v104 offset0:2 offset1:3
	v_add_co_u32 v8, vcc_lo, v152, v122
	v_add_co_ci_u32_e32 v9, vcc_lo, v153, v123, vcc_lo
	s_and_not1_b32 vcc_lo, exec_lo, s1
	s_waitcnt lgkmcnt(0)
	s_barrier
	buffer_gl0_inv
	s_cbranch_vccnz .LBB38_158
; %bb.151:                              ;   in Loop: Header=BB38_138 Depth=1
	v_dual_mov_b32 v47, 0 :: v_dual_mov_b32 v50, 0
	v_mov_b32_e32 v49, 0
	s_mov_b32 s1, exec_lo
	v_cmpx_gt_i32_e64 s8, v110
	s_cbranch_execz .LBB38_153
; %bb.152:                              ;   in Loop: Header=BB38_138 Depth=1
	flat_load_b64 v[49:50], v[8:9]
.LBB38_153:                             ;   in Loop: Header=BB38_138 Depth=1
	s_or_b32 exec_lo, exec_lo, s1
	v_mov_b32_e32 v48, 0
	s_mov_b32 s1, exec_lo
	v_cmpx_gt_i32_e64 s8, v111
	s_cbranch_execz .LBB38_155
; %bb.154:                              ;   in Loop: Header=BB38_138 Depth=1
	v_add_co_u32 v10, vcc_lo, v148, v122
	v_add_co_ci_u32_e32 v11, vcc_lo, v149, v123, vcc_lo
	flat_load_b64 v[47:48], v[10:11]
.LBB38_155:                             ;   in Loop: Header=BB38_138 Depth=1
	s_or_b32 exec_lo, exec_lo, s1
	v_dual_mov_b32 v51, 0 :: v_dual_mov_b32 v52, 0
	s_mov_b32 s12, 0
	s_mov_b32 s1, exec_lo
	v_cmpx_gt_i32_e64 s8, v112
	s_cbranch_execz .LBB38_157
; %bb.156:                              ;   in Loop: Header=BB38_138 Depth=1
	v_add_co_u32 v10, vcc_lo, v156, v122
	v_add_co_ci_u32_e32 v11, vcc_lo, v157, v123, vcc_lo
	flat_load_b64 v[51:52], v[10:11]
.LBB38_157:                             ;   in Loop: Header=BB38_138 Depth=1
	s_or_b32 exec_lo, exec_lo, s1
	v_cmp_gt_i32_e64 s1, s8, v113
	s_mov_b32 s9, 0
	s_and_b32 vcc_lo, exec_lo, s12
	s_cbranch_vccnz .LBB38_159
	s_branch .LBB38_160
.LBB38_158:                             ;   in Loop: Header=BB38_138 Depth=1
	s_mov_b32 s1, 0
                                        ; implicit-def: $vgpr50
                                        ; implicit-def: $vgpr48
                                        ; implicit-def: $vgpr52
                                        ; implicit-def: $sgpr9
	s_cbranch_execz .LBB38_160
.LBB38_159:                             ;   in Loop: Header=BB38_138 Depth=1
	v_add_co_u32 v10, vcc_lo, v148, v122
	v_add_co_ci_u32_e32 v11, vcc_lo, v149, v123, vcc_lo
	v_add_co_u32 v12, vcc_lo, v142, v122
	v_add_co_ci_u32_e32 v13, vcc_lo, v143, v123, vcc_lo
	s_waitcnt vmcnt(0) lgkmcnt(0)
	flat_load_b64 v[49:50], v[8:9]
	flat_load_b64 v[47:48], v[10:11]
	;; [unrolled: 1-line block ×3, first 2 shown]
	s_or_b32 s1, s1, exec_lo
                                        ; implicit-def: $sgpr9
.LBB38_160:                             ;   in Loop: Header=BB38_138 Depth=1
	v_dual_mov_b32 v53, s9 :: v_dual_mov_b32 v54, s9
	s_and_saveexec_b32 s9, s1
	s_cbranch_execz .LBB38_162
; %bb.161:                              ;   in Loop: Header=BB38_138 Depth=1
	v_add_co_u32 v8, vcc_lo, v160, v122
	v_add_co_ci_u32_e32 v9, vcc_lo, v161, v123, vcc_lo
	flat_load_b64 v[53:54], v[8:9]
.LBB38_162:                             ;   in Loop: Header=BB38_138 Depth=1
	s_or_b32 exec_lo, exec_lo, s9
	ds_load_b64 v[8:9], v101
	ds_load_b64 v[55:56], v108 offset:128
	v_cmp_ne_u32_e32 vcc_lo, 1, v29
	s_and_b32 vcc_lo, exec_lo, vcc_lo
	s_waitcnt vmcnt(0) lgkmcnt(1)
	v_dual_mul_f32 v10, v50, v9 :: v_dual_mul_f32 v13, v48, v8
	v_dual_mul_f32 v11, v50, v8 :: v_dual_mul_f32 v12, v48, v9
	;; [unrolled: 1-line block ×4, first 2 shown]
	s_delay_alu instid0(VALU_DEP_4) | instskip(NEXT) | instid1(VALU_DEP_4)
	v_fmac_f32_e32 v10, v49, v8
	v_fma_f32 v11, v49, v9, -v11
	v_fmac_f32_e32 v12, v47, v8
	v_fma_f32 v13, v47, v9, -v13
	;; [unrolled: 2-line block ×4, first 2 shown]
	ds_store_b64 v109, v[10:11]
	ds_load_b64 v[61:62], v108 offset:136
	ds_store_b64 v109, v[12:13] offset:536
	ds_load_b64 v[59:60], v108 offset:144
	ds_store_b64 v109, v[14:15] offset:1072
	;; [unrolled: 2-line block ×3, first 2 shown]
	s_waitcnt lgkmcnt(0)
	s_barrier
	buffer_gl0_inv
	ds_load_2addr_b64 v[12:15], v104 offset1:1
	ds_load_2addr_b64 v[8:11], v104 offset0:2 offset1:3
	v_add_co_u32 v16, s1, v154, v122
	s_delay_alu instid0(VALU_DEP_1)
	v_add_co_ci_u32_e64 v17, s1, v155, v123, s1
	s_waitcnt lgkmcnt(0)
	s_barrier
	buffer_gl0_inv
	s_cbranch_vccnz .LBB38_170
; %bb.163:                              ;   in Loop: Header=BB38_138 Depth=1
	v_dual_mov_b32 v63, 0 :: v_dual_mov_b32 v66, 0
	v_mov_b32_e32 v65, 0
	s_mov_b32 s1, exec_lo
	v_cmpx_gt_i32_e64 s8, v114
	s_cbranch_execz .LBB38_165
; %bb.164:                              ;   in Loop: Header=BB38_138 Depth=1
	flat_load_b64 v[65:66], v[16:17]
.LBB38_165:                             ;   in Loop: Header=BB38_138 Depth=1
	s_or_b32 exec_lo, exec_lo, s1
	v_mov_b32_e32 v64, 0
	s_mov_b32 s1, exec_lo
	v_cmpx_gt_i32_e64 s8, v115
	s_cbranch_execz .LBB38_167
; %bb.166:                              ;   in Loop: Header=BB38_138 Depth=1
	v_add_co_u32 v18, vcc_lo, v158, v122
	v_add_co_ci_u32_e32 v19, vcc_lo, v159, v123, vcc_lo
	flat_load_b64 v[63:64], v[18:19]
.LBB38_167:                             ;   in Loop: Header=BB38_138 Depth=1
	s_or_b32 exec_lo, exec_lo, s1
	v_dual_mov_b32 v67, 0 :: v_dual_mov_b32 v68, 0
	s_mov_b32 s12, 0
	s_mov_b32 s1, exec_lo
	v_cmpx_gt_i32_e64 s8, v116
	s_cbranch_execz .LBB38_169
; %bb.168:                              ;   in Loop: Header=BB38_138 Depth=1
	v_add_co_u32 v18, vcc_lo, v150, v122
	v_add_co_ci_u32_e32 v19, vcc_lo, v151, v123, vcc_lo
	flat_load_b64 v[67:68], v[18:19]
.LBB38_169:                             ;   in Loop: Header=BB38_138 Depth=1
	s_or_b32 exec_lo, exec_lo, s1
	v_cmp_gt_i32_e64 s1, s8, v117
	s_mov_b32 s9, 0
	s_and_b32 vcc_lo, exec_lo, s12
	s_cbranch_vccnz .LBB38_171
	s_branch .LBB38_172
.LBB38_170:                             ;   in Loop: Header=BB38_138 Depth=1
	s_mov_b32 s1, 0
                                        ; implicit-def: $vgpr66
                                        ; implicit-def: $vgpr64
                                        ; implicit-def: $vgpr68
                                        ; implicit-def: $sgpr9
	s_cbranch_execz .LBB38_172
.LBB38_171:                             ;   in Loop: Header=BB38_138 Depth=1
	v_add_co_u32 v18, vcc_lo, v158, v122
	v_add_co_ci_u32_e32 v19, vcc_lo, v159, v123, vcc_lo
	v_add_co_u32 v20, vcc_lo, v162, v122
	v_add_co_ci_u32_e32 v21, vcc_lo, v163, v123, vcc_lo
	s_waitcnt vmcnt(0) lgkmcnt(0)
	flat_load_b64 v[65:66], v[16:17]
	flat_load_b64 v[63:64], v[18:19]
	;; [unrolled: 1-line block ×3, first 2 shown]
	s_or_b32 s1, s1, exec_lo
                                        ; implicit-def: $sgpr9
.LBB38_172:                             ;   in Loop: Header=BB38_138 Depth=1
	v_dual_mov_b32 v69, s9 :: v_dual_mov_b32 v70, s9
	s_and_saveexec_b32 s9, s1
	s_cbranch_execz .LBB38_174
; %bb.173:                              ;   in Loop: Header=BB38_138 Depth=1
	v_add_co_u32 v16, vcc_lo, v146, v122
	v_add_co_ci_u32_e32 v17, vcc_lo, v147, v123, vcc_lo
	flat_load_b64 v[69:70], v[16:17]
.LBB38_174:                             ;   in Loop: Header=BB38_138 Depth=1
	s_or_b32 exec_lo, exec_lo, s9
	ds_load_b64 v[16:17], v101
	ds_load_b64 v[71:72], v108 offset:256
	v_cmp_ne_u32_e32 vcc_lo, 1, v29
	v_add_co_u32 v85, s1, v134, v122
	s_delay_alu instid0(VALU_DEP_1)
	v_add_co_ci_u32_e64 v86, s1, v135, v123, s1
	s_and_b32 vcc_lo, exec_lo, vcc_lo
	s_waitcnt vmcnt(0) lgkmcnt(1)
	v_dual_mul_f32 v18, v66, v17 :: v_dual_mul_f32 v21, v64, v16
	v_dual_mul_f32 v19, v66, v16 :: v_dual_mul_f32 v20, v64, v17
	;; [unrolled: 1-line block ×3, first 2 shown]
	v_mul_f32_e32 v23, v68, v16
	s_delay_alu instid0(VALU_DEP_4) | instskip(NEXT) | instid1(VALU_DEP_4)
	v_dual_mul_f32 v79, v70, v17 :: v_dual_fmac_f32 v18, v65, v16
	v_fma_f32 v19, v65, v17, -v19
	v_fmac_f32_e32 v20, v63, v16
	v_fma_f32 v21, v63, v17, -v21
	v_fmac_f32_e32 v22, v67, v16
	;; [unrolled: 2-line block ×3, first 2 shown]
	v_fma_f32 v80, v69, v17, -v73
	ds_store_b64 v109, v[18:19]
	ds_load_b64 v[77:78], v108 offset:264
	ds_store_b64 v109, v[20:21] offset:536
	ds_load_b64 v[75:76], v108 offset:272
	ds_store_b64 v109, v[22:23] offset:1072
	;; [unrolled: 2-line block ×3, first 2 shown]
	s_waitcnt lgkmcnt(0)
	s_barrier
	buffer_gl0_inv
	ds_load_2addr_b64 v[20:23], v104 offset1:1
	ds_load_2addr_b64 v[16:19], v104 offset0:2 offset1:3
	s_waitcnt lgkmcnt(0)
	s_barrier
	buffer_gl0_inv
	s_cbranch_vccnz .LBB38_182
; %bb.175:                              ;   in Loop: Header=BB38_138 Depth=1
	v_dual_mov_b32 v81, 0 :: v_dual_mov_b32 v80, 0
	v_mov_b32_e32 v79, 0
	s_mov_b32 s1, exec_lo
	v_cmpx_gt_i32_e64 s8, v118
	s_cbranch_execz .LBB38_177
; %bb.176:                              ;   in Loop: Header=BB38_138 Depth=1
	flat_load_b64 v[79:80], v[85:86]
.LBB38_177:                             ;   in Loop: Header=BB38_138 Depth=1
	s_or_b32 exec_lo, exec_lo, s1
	v_mov_b32_e32 v82, 0
	s_mov_b32 s1, exec_lo
	v_cmpx_gt_i32_e64 s8, v119
	s_cbranch_execz .LBB38_179
; %bb.178:                              ;   in Loop: Header=BB38_138 Depth=1
	v_add_co_u32 v81, vcc_lo, v138, v122
	v_add_co_ci_u32_e32 v82, vcc_lo, v139, v123, vcc_lo
	flat_load_b64 v[81:82], v[81:82]
.LBB38_179:                             ;   in Loop: Header=BB38_138 Depth=1
	s_or_b32 exec_lo, exec_lo, s1
	v_dual_mov_b32 v83, 0 :: v_dual_mov_b32 v84, 0
	s_mov_b32 s12, 0
	s_mov_b32 s1, exec_lo
	v_cmpx_gt_i32_e64 s8, v120
	s_cbranch_execz .LBB38_181
; %bb.180:                              ;   in Loop: Header=BB38_138 Depth=1
	v_add_co_u32 v83, vcc_lo, v130, v122
	v_add_co_ci_u32_e32 v84, vcc_lo, v131, v123, vcc_lo
	flat_load_b64 v[83:84], v[83:84]
.LBB38_181:                             ;   in Loop: Header=BB38_138 Depth=1
	s_or_b32 exec_lo, exec_lo, s1
	v_cmp_gt_i32_e64 s1, s8, v121
	s_mov_b32 s9, 0
	s_and_b32 vcc_lo, exec_lo, s12
	s_cbranch_vccnz .LBB38_183
	s_branch .LBB38_184
.LBB38_182:                             ;   in Loop: Header=BB38_138 Depth=1
	s_mov_b32 s1, 0
                                        ; implicit-def: $vgpr80
                                        ; implicit-def: $vgpr82
                                        ; implicit-def: $vgpr84
                                        ; implicit-def: $sgpr9
	s_cbranch_execz .LBB38_184
.LBB38_183:                             ;   in Loop: Header=BB38_138 Depth=1
	s_waitcnt vmcnt(0) lgkmcnt(0)
	v_add_co_u32 v81, vcc_lo, v138, v122
	v_add_co_ci_u32_e32 v82, vcc_lo, v139, v123, vcc_lo
	v_add_co_u32 v83, vcc_lo, v144, v122
	v_add_co_ci_u32_e32 v84, vcc_lo, v145, v123, vcc_lo
	flat_load_b64 v[79:80], v[85:86]
	flat_load_b64 v[81:82], v[81:82]
	;; [unrolled: 1-line block ×3, first 2 shown]
	s_or_b32 s1, s1, exec_lo
                                        ; implicit-def: $sgpr9
.LBB38_184:                             ;   in Loop: Header=BB38_138 Depth=1
	v_dual_mov_b32 v85, s9 :: v_dual_mov_b32 v86, s9
	s_and_saveexec_b32 s9, s1
	s_cbranch_execz .LBB38_186
; %bb.185:                              ;   in Loop: Header=BB38_138 Depth=1
	v_add_co_u32 v85, vcc_lo, v126, v122
	v_add_co_ci_u32_e32 v86, vcc_lo, v127, v123, vcc_lo
	flat_load_b64 v[85:86], v[85:86]
.LBB38_186:                             ;   in Loop: Header=BB38_138 Depth=1
	s_or_b32 exec_lo, exec_lo, s9
	ds_load_b64 v[89:90], v101
	ds_load_b64 v[87:88], v108 offset:384
	v_cmp_gt_i32_e32 vcc_lo, s8, v25
	v_add_f32_e32 v20, 0, v20
	v_add_f32_e32 v12, 0, v12
	;; [unrolled: 1-line block ×3, first 2 shown]
	s_or_b32 s1, s5, vcc_lo
	s_delay_alu instid0(SALU_CYCLE_1) | instskip(NEXT) | instid1(VALU_DEP_2)
	s_and_b32 s5, s0, s1
	v_add_f32_e32 v12, v12, v14
	s_delay_alu instid0(VALU_DEP_2) | instskip(NEXT) | instid1(VALU_DEP_2)
	v_add_f32_e32 v4, v4, v6
	v_dual_add_f32 v8, v12, v8 :: v_dual_add_f32 v5, 0, v5
	s_waitcnt vmcnt(0) lgkmcnt(1)
	v_mul_f32_e32 v29, v80, v89
	v_dual_mul_f32 v91, v80, v90 :: v_dual_mul_f32 v170, v86, v89
	v_dual_mul_f32 v165, v82, v90 :: v_dual_mul_f32 v94, v84, v89
	v_mul_f32_e32 v93, v82, v89
	v_mul_f32_e32 v167, v84, v90
	v_fma_f32 v92, v79, v90, -v29
	v_add_f32_e32 v29, v20, v22
	v_mul_f32_e32 v169, v86, v90
	v_fmac_f32_e32 v91, v79, v89
	v_fmac_f32_e32 v165, v81, v89
	v_fma_f32 v166, v81, v90, -v93
	v_fmac_f32_e32 v167, v83, v89
	v_fma_f32 v168, v83, v90, -v94
	v_fma_f32 v170, v85, v90, -v170
	v_add_f32_e32 v6, v29, v16
	v_fmac_f32_e32 v169, v85, v89
	ds_store_b64 v109, v[91:92]
	ds_load_b64 v[93:94], v108 offset:392
	ds_store_b64 v109, v[165:166] offset:536
	ds_load_b64 v[91:92], v108 offset:400
	ds_store_b64 v109, v[167:168] offset:1072
	;; [unrolled: 2-line block ×3, first 2 shown]
	s_waitcnt lgkmcnt(0)
	s_barrier
	buffer_gl0_inv
	ds_load_2addr_b64 v[165:168], v104 offset1:1
	v_add_f32_e32 v21, 0, v21
	v_add_f32_e32 v13, 0, v13
	s_delay_alu instid0(VALU_DEP_2)
	v_add_f32_e32 v169, v21, v23
	ds_load_2addr_b64 v[20:23], v104 offset0:2 offset1:3
	v_add_f32_e32 v13, v13, v15
	s_waitcnt lgkmcnt(0)
	s_barrier
	buffer_gl0_inv
	v_add_f32_e32 v9, v13, v9
	v_add_f32_e32 v13, v4, v0
	v_dual_add_f32 v4, v8, v10 :: v_dual_add_f32 v5, v5, v7
	v_add_f32_e32 v0, v6, v18
	s_delay_alu instid0(VALU_DEP_3) | instskip(SKIP_1) | instid1(VALU_DEP_4)
	v_add_f32_e32 v2, v13, v2
	v_add_f32_e32 v12, 0, v165
	v_dual_add_f32 v14, 0, v166 :: v_dual_add_f32 v15, v5, v1
	s_delay_alu instid0(VALU_DEP_1) | instskip(NEXT) | instid1(VALU_DEP_1)
	v_dual_add_f32 v5, v12, v167 :: v_dual_add_f32 v12, v14, v168
	v_dual_add_f32 v3, v15, v3 :: v_dual_add_f32 v6, v5, v20
	s_delay_alu instid0(VALU_DEP_1) | instskip(SKIP_1) | instid1(VALU_DEP_1)
	v_dual_add_f32 v5, v9, v11 :: v_dual_add_f32 v6, v6, v22
	v_add_f32_e32 v7, v169, v17
	v_add_f32_e32 v1, v7, v19
	;; [unrolled: 1-line block ×3, first 2 shown]
	s_delay_alu instid0(VALU_DEP_1)
	v_add_f32_e32 v7, v7, v23
	ds_store_2addr_b64 v164, v[2:3], v[4:5] offset1:16
	ds_store_2addr_b64 v164, v[0:1], v[6:7] offset0:32 offset1:48
	s_waitcnt lgkmcnt(0)
	s_barrier
	buffer_gl0_inv
	s_and_saveexec_b32 s1, s5
	s_cbranch_execz .LBB38_188
; %bb.187:                              ;   in Loop: Header=BB38_138 Depth=1
	ds_load_b64 v[11:12], v102
	ds_load_2addr_b64 v[0:3], v102 offset0:1 offset1:2
	ds_load_2addr_b64 v[4:7], v102 offset0:3 offset1:4
	v_ashrrev_i32_e32 v29, 31, v28
	s_waitcnt lgkmcnt(1)
	v_dual_add_f32 v0, v0, v11 :: v_dual_add_f32 v1, v1, v12
	ds_load_2addr_b64 v[8:11], v102 offset0:5 offset1:6
	v_add_f32_e32 v0, v0, v2
	v_add_f32_e32 v12, v1, v3
	s_waitcnt lgkmcnt(1)
	s_delay_alu instid0(VALU_DEP_2) | instskip(SKIP_3) | instid1(VALU_DEP_2)
	v_add_f32_e32 v4, v0, v4
	ds_load_2addr_b64 v[0:3], v102 offset0:7 offset1:8
	v_add_f32_e32 v5, v12, v5
	v_add_f32_e32 v4, v4, v6
	;; [unrolled: 1-line block ×3, first 2 shown]
	s_waitcnt lgkmcnt(1)
	s_delay_alu instid0(VALU_DEP_2) | instskip(SKIP_3) | instid1(VALU_DEP_2)
	v_add_f32_e32 v8, v4, v8
	ds_load_2addr_b64 v[4:7], v102 offset0:9 offset1:10
	v_add_f32_e32 v9, v12, v9
	v_add_f32_e32 v8, v8, v10
	;; [unrolled: 1-line block ×3, first 2 shown]
	s_waitcnt lgkmcnt(1)
	s_delay_alu instid0(VALU_DEP_2) | instskip(SKIP_4) | instid1(VALU_DEP_1)
	v_add_f32_e32 v0, v8, v0
	ds_load_2addr_b64 v[8:11], v102 offset0:11 offset1:12
	v_add_f32_e32 v1, v12, v1
	v_add_f32_e32 v12, v0, v2
	s_waitcnt lgkmcnt(1)
	v_add_f32_e32 v4, v12, v4
	s_delay_alu instid0(VALU_DEP_1) | instskip(SKIP_1) | instid1(VALU_DEP_1)
	v_add_f32_e32 v6, v4, v6
	s_waitcnt lgkmcnt(0)
	v_add_f32_e32 v6, v6, v8
	s_delay_alu instid0(VALU_DEP_1) | instskip(SKIP_2) | instid1(VALU_DEP_1)
	v_dual_add_f32 v6, v6, v10 :: v_dual_add_f32 v13, v1, v3
	ds_load_2addr_b64 v[0:3], v102 offset0:13 offset1:14
	v_add_f32_e32 v5, v13, v5
	v_add_f32_e32 v7, v5, v7
	ds_load_b64 v[4:5], v103
	v_add_f32_e32 v7, v7, v9
	s_waitcnt lgkmcnt(1)
	s_delay_alu instid0(VALU_DEP_1) | instskip(NEXT) | instid1(VALU_DEP_1)
	v_dual_add_f32 v7, v7, v11 :: v_dual_add_f32 v0, v6, v0
	v_dual_add_f32 v1, v7, v1 :: v_dual_add_f32 v2, v0, v2
	s_delay_alu instid0(VALU_DEP_1) | instskip(SKIP_2) | instid1(VALU_DEP_2)
	v_add_f32_e32 v3, v1, v3
	v_lshlrev_b64 v[0:1], 3, v[28:29]
	s_waitcnt lgkmcnt(0)
	v_dual_add_f32 v2, v2, v4 :: v_dual_add_f32 v3, v3, v5
	s_delay_alu instid0(VALU_DEP_2) | instskip(NEXT) | instid1(VALU_DEP_3)
	v_add_co_u32 v0, vcc_lo, s3, v0
	v_add_co_ci_u32_e32 v1, vcc_lo, s11, v1, vcc_lo
	global_store_b64 v[0:1], v[2:3], off
.LBB38_188:                             ;   in Loop: Header=BB38_138 Depth=1
	s_or_b32 exec_lo, exec_lo, s1
	v_dual_mul_f32 v0, v32, v40 :: v_dual_mul_f32 v3, v33, v46
	v_dual_mul_f32 v1, v31, v40 :: v_dual_mul_f32 v2, v34, v46
	;; [unrolled: 1-line block ×3, first 2 shown]
	s_delay_alu instid0(VALU_DEP_3) | instskip(SKIP_1) | instid1(VALU_DEP_4)
	v_fma_f32 v0, v31, v39, -v0
	v_dual_mul_f32 v5, v35, v44 :: v_dual_mul_f32 v6, v38, v42
	v_fma_f32 v2, v33, v45, -v2
	s_delay_alu instid0(VALU_DEP_3) | instskip(SKIP_2) | instid1(VALU_DEP_3)
	v_dual_fmac_f32 v1, v32, v39 :: v_dual_add_f32 v0, v26, v0
	v_mul_f32_e32 v9, v49, v56
	v_fma_f32 v4, v35, v43, -v4
	v_dual_mul_f32 v8, v50, v56 :: v_dual_add_f32 v1, v27, v1
	s_delay_alu instid0(VALU_DEP_4) | instskip(SKIP_3) | instid1(VALU_DEP_4)
	v_add_f32_e32 v0, v0, v2
	v_dual_mul_f32 v2, v48, v62 :: v_dual_fmac_f32 v3, v34, v45
	v_fma_f32 v6, v37, v41, -v6
	v_fmac_f32_e32 v5, v36, v43
	v_add_f32_e32 v0, v0, v4
	s_delay_alu instid0(VALU_DEP_4) | instskip(SKIP_1) | instid1(VALU_DEP_3)
	v_dual_mul_f32 v4, v47, v62 :: v_dual_add_f32 v1, v1, v3
	v_fma_f32 v3, v49, v55, -v8
	v_dual_fmac_f32 v7, v38, v41 :: v_dual_add_f32 v0, v0, v6
	s_delay_alu instid0(VALU_DEP_3) | instskip(SKIP_2) | instid1(VALU_DEP_4)
	v_dual_mul_f32 v6, v52, v60 :: v_dual_add_f32 v1, v1, v5
	v_fma_f32 v2, v47, v61, -v2
	v_fmac_f32_e32 v4, v48, v61
	v_dual_add_f32 v0, v0, v3 :: v_dual_mul_f32 v3, v54, v58
	v_fmac_f32_e32 v9, v50, v55
	v_add_f32_e32 v1, v1, v7
	v_fma_f32 v5, v51, v59, -v6
	s_delay_alu instid0(VALU_DEP_4) | instskip(SKIP_4) | instid1(VALU_DEP_4)
	v_add_f32_e32 v0, v0, v2
	v_mul_f32_e32 v2, v51, v60
	v_fma_f32 v3, v53, v57, -v3
	v_add_f32_e32 v1, v1, v9
	v_add_co_u32 v124, vcc_lo, v124, s6
	v_fmac_f32_e32 v2, v52, v59
	v_dual_add_f32 v0, v0, v5 :: v_dual_mul_f32 v5, v66, v72
	s_delay_alu instid0(VALU_DEP_4) | instskip(SKIP_2) | instid1(VALU_DEP_3)
	v_add_f32_e32 v1, v1, v4
	v_mul_f32_e32 v4, v53, v58
	v_add_co_ci_u32_e32 v125, vcc_lo, s7, v125, vcc_lo
	v_dual_add_f32 v0, v0, v3 :: v_dual_add_f32 v1, v1, v2
	v_fma_f32 v3, v65, v71, -v5
	v_mul_f32_e32 v5, v64, v78
	v_add_co_u32 v126, vcc_lo, v126, s6
	v_add_co_ci_u32_e32 v127, vcc_lo, s7, v127, vcc_lo
	s_delay_alu instid0(VALU_DEP_4) | instskip(NEXT) | instid1(VALU_DEP_4)
	v_add_f32_e32 v0, v0, v3
	v_fma_f32 v3, v63, v77, -v5
	v_dual_mul_f32 v5, v68, v76 :: v_dual_fmac_f32 v4, v54, v57
	v_add_co_u32 v128, vcc_lo, v128, s6
	v_add_co_ci_u32_e32 v129, vcc_lo, s7, v129, vcc_lo
	s_delay_alu instid0(VALU_DEP_3)
	v_add_f32_e32 v1, v1, v4
	v_mul_f32_e32 v2, v65, v72
	v_add_f32_e32 v0, v0, v3
	v_fma_f32 v3, v67, v75, -v5
	v_mul_f32_e32 v5, v70, v74
	v_add_co_u32 v130, vcc_lo, v130, s6
	v_add_co_ci_u32_e32 v131, vcc_lo, s7, v131, vcc_lo
	v_add_co_u32 v132, vcc_lo, v132, s6
	v_add_f32_e32 v0, v0, v3
	v_fma_f32 v3, v69, v73, -v5
	v_mul_f32_e32 v5, v69, v74
	v_mul_f32_e32 v4, v63, v78
	v_add_co_ci_u32_e32 v133, vcc_lo, s7, v133, vcc_lo
	v_add_co_u32 v134, vcc_lo, v134, s6
	s_delay_alu instid0(VALU_DEP_4)
	v_fmac_f32_e32 v5, v70, v73
	v_add_co_ci_u32_e32 v135, vcc_lo, s7, v135, vcc_lo
	v_add_co_u32 v136, vcc_lo, v136, s6
	v_fmac_f32_e32 v4, v64, v77
	v_fmac_f32_e32 v2, v66, v71
	v_add_co_ci_u32_e32 v137, vcc_lo, s7, v137, vcc_lo
	v_add_co_u32 v138, vcc_lo, v138, s6
	v_add_co_ci_u32_e32 v139, vcc_lo, s7, v139, vcc_lo
	s_delay_alu instid0(VALU_DEP_4) | instskip(SKIP_3) | instid1(VALU_DEP_4)
	v_dual_add_f32 v1, v1, v2 :: v_dual_mul_f32 v2, v67, v76
	v_add_co_u32 v140, vcc_lo, v140, s6
	v_add_co_ci_u32_e32 v141, vcc_lo, s7, v141, vcc_lo
	v_add_co_u32 v142, vcc_lo, v142, s6
	v_add_f32_e32 v1, v1, v4
	v_mul_f32_e32 v4, v80, v88
	v_dual_add_f32 v0, v0, v3 :: v_dual_mul_f32 v3, v82, v94
	v_fmac_f32_e32 v2, v68, v75
	v_add_co_ci_u32_e32 v143, vcc_lo, s7, v143, vcc_lo
	v_add_co_u32 v144, vcc_lo, v144, s6
	v_add_co_ci_u32_e32 v145, vcc_lo, s7, v145, vcc_lo
	v_add_co_u32 v146, vcc_lo, v146, s6
	v_add_f32_e32 v1, v1, v2
	v_fma_f32 v2, v79, v87, -v4
	v_mul_f32_e32 v4, v79, v88
	v_add_co_ci_u32_e32 v147, vcc_lo, s7, v147, vcc_lo
	v_add_co_u32 v148, vcc_lo, v148, s6
	v_add_co_ci_u32_e32 v149, vcc_lo, s7, v149, vcc_lo
	s_delay_alu instid0(VALU_DEP_4)
	v_dual_add_f32 v1, v1, v5 :: v_dual_fmac_f32 v4, v80, v87
	v_add_f32_e32 v0, v0, v2
	v_fma_f32 v2, v81, v93, -v3
	v_mul_f32_e32 v3, v81, v94
	v_dual_mul_f32 v5, v84, v92 :: v_dual_mul_f32 v6, v85, v90
	v_add_co_u32 v150, vcc_lo, v150, s6
	v_add_co_ci_u32_e32 v151, vcc_lo, s7, v151, vcc_lo
	v_add_co_u32 v152, vcc_lo, v152, s6
	v_fmac_f32_e32 v3, v82, v93
	v_dual_add_f32 v1, v1, v4 :: v_dual_add_f32 v0, v0, v2
	v_fmac_f32_e32 v6, v86, v89
	v_mul_f32_e32 v2, v83, v92
	v_add_co_ci_u32_e32 v153, vcc_lo, s7, v153, vcc_lo
	v_add_co_u32 v154, vcc_lo, v154, s6
	v_add_co_ci_u32_e32 v155, vcc_lo, s7, v155, vcc_lo
	v_add_co_u32 v156, vcc_lo, v156, s6
	v_fma_f32 v4, v83, v91, -v5
	v_dual_mul_f32 v5, v86, v90 :: v_dual_fmac_f32 v2, v84, v91
	v_add_f32_e32 v1, v1, v3
	v_add_co_ci_u32_e32 v157, vcc_lo, s7, v157, vcc_lo
	v_add_co_u32 v158, vcc_lo, v158, s6
	v_add_co_ci_u32_e32 v159, vcc_lo, s7, v159, vcc_lo
	v_add_f32_e32 v0, v0, v4
	v_fma_f32 v3, v85, v89, -v5
	v_add_f32_e32 v1, v1, v2
	v_add_co_u32 v160, vcc_lo, v160, s6
	v_add_co_ci_u32_e32 v161, vcc_lo, s7, v161, vcc_lo
	s_delay_alu instid0(VALU_DEP_3)
	v_add_f32_e32 v27, v1, v6
	v_add_co_u32 v162, vcc_lo, v162, s6
	v_add_f32_e32 v26, v0, v3
	v_add_nc_u32_e32 v28, 64, v28
	v_add_co_ci_u32_e32 v163, vcc_lo, s7, v163, vcc_lo
	s_add_i32 s5, s14, 2
	s_add_i32 s1, s14, 1
	;; [unrolled: 1-line block ×3, first 2 shown]
	s_cmp_ge_u32 s5, s15
	s_waitcnt_vscnt null, 0x0
	s_barrier
	buffer_gl0_inv
	s_cbranch_scc1 .LBB38_190
; %bb.189:                              ;   in Loop: Header=BB38_138 Depth=1
	s_mov_b32 s14, s1
	s_delay_alu instid0(SALU_CYCLE_1)
	s_cmp_eq_u32 s24, s14
	s_cselect_b32 s8, s26, 0
	s_and_saveexec_b32 s1, s2
	s_cbranch_execnz .LBB38_134
	s_branch .LBB38_138
.LBB38_190:
	v_cmp_gt_i32_e32 vcc_lo, s10, v25
	v_mad_u32_u24 v0, 0x218, v95, v96
	s_or_b32 s0, s27, vcc_lo
	ds_store_b64 v0, v[26:27]
	s_and_b32 s0, s2, s0
	s_waitcnt lgkmcnt(0)
	s_barrier
	buffer_gl0_inv
	s_and_saveexec_b32 s1, s0
	s_cbranch_execz .LBB38_192
; %bb.191:
	ds_load_2addr_b64 v[0:3], v96 offset1:67
	ds_load_2addr_b64 v[4:7], v96 offset0:134 offset1:201
	v_ashrrev_i32_e32 v25, 31, v24
	s_waitcnt lgkmcnt(1)
	v_dual_add_f32 v0, v2, v0 :: v_dual_add_f32 v1, v3, v1
	s_waitcnt lgkmcnt(0)
	s_delay_alu instid0(VALU_DEP_1) | instskip(SKIP_1) | instid1(VALU_DEP_2)
	v_dual_add_f32 v2, v0, v4 :: v_dual_add_f32 v3, v1, v5
	v_lshlrev_b64 v[0:1], 3, v[24:25]
	v_dual_add_f32 v2, v2, v6 :: v_dual_add_f32 v3, v3, v7
	s_delay_alu instid0(VALU_DEP_2) | instskip(NEXT) | instid1(VALU_DEP_3)
	v_add_co_u32 v0, vcc_lo, s3, v0
	v_add_co_ci_u32_e32 v1, vcc_lo, s11, v1, vcc_lo
	global_store_b64 v[0:1], v[2:3], off
.LBB38_192:
	s_nop 0
	s_sendmsg sendmsg(MSG_DEALLOC_VGPRS)
	s_endpgm
	.section	.rodata,"a",@progbits
	.p2align	6, 0x0
	.amdhsa_kernel _ZL26rocblas_hemvn_kernel_upperILb1ELi64ELi4ELi33ELi32ELi16Ei19rocblas_complex_numIfEPKPKS1_PS1_EviT6_lT7_lT5_lS8_lS9_lS7_lT8_i
		.amdhsa_group_segment_fixed_size 9600
		.amdhsa_private_segment_fixed_size 0
		.amdhsa_kernarg_size 376
		.amdhsa_user_sgpr_count 14
		.amdhsa_user_sgpr_dispatch_ptr 0
		.amdhsa_user_sgpr_queue_ptr 0
		.amdhsa_user_sgpr_kernarg_segment_ptr 1
		.amdhsa_user_sgpr_dispatch_id 0
		.amdhsa_user_sgpr_private_segment_size 0
		.amdhsa_wavefront_size32 1
		.amdhsa_uses_dynamic_stack 0
		.amdhsa_enable_private_segment 0
		.amdhsa_system_sgpr_workgroup_id_x 1
		.amdhsa_system_sgpr_workgroup_id_y 0
		.amdhsa_system_sgpr_workgroup_id_z 1
		.amdhsa_system_sgpr_workgroup_info 0
		.amdhsa_system_vgpr_workitem_id 1
		.amdhsa_next_free_vgpr 171
		.amdhsa_next_free_sgpr 37
		.amdhsa_reserve_vcc 1
		.amdhsa_float_round_mode_32 0
		.amdhsa_float_round_mode_16_64 0
		.amdhsa_float_denorm_mode_32 3
		.amdhsa_float_denorm_mode_16_64 3
		.amdhsa_dx10_clamp 1
		.amdhsa_ieee_mode 1
		.amdhsa_fp16_overflow 0
		.amdhsa_workgroup_processor_mode 1
		.amdhsa_memory_ordered 1
		.amdhsa_forward_progress 0
		.amdhsa_shared_vgpr_count 0
		.amdhsa_exception_fp_ieee_invalid_op 0
		.amdhsa_exception_fp_denorm_src 0
		.amdhsa_exception_fp_ieee_div_zero 0
		.amdhsa_exception_fp_ieee_overflow 0
		.amdhsa_exception_fp_ieee_underflow 0
		.amdhsa_exception_fp_ieee_inexact 0
		.amdhsa_exception_int_div_zero 0
	.end_amdhsa_kernel
	.section	.text._ZL26rocblas_hemvn_kernel_upperILb1ELi64ELi4ELi33ELi32ELi16Ei19rocblas_complex_numIfEPKPKS1_PS1_EviT6_lT7_lT5_lS8_lS9_lS7_lT8_i,"axG",@progbits,_ZL26rocblas_hemvn_kernel_upperILb1ELi64ELi4ELi33ELi32ELi16Ei19rocblas_complex_numIfEPKPKS1_PS1_EviT6_lT7_lT5_lS8_lS9_lS7_lT8_i,comdat
.Lfunc_end38:
	.size	_ZL26rocblas_hemvn_kernel_upperILb1ELi64ELi4ELi33ELi32ELi16Ei19rocblas_complex_numIfEPKPKS1_PS1_EviT6_lT7_lT5_lS8_lS9_lS7_lT8_i, .Lfunc_end38-_ZL26rocblas_hemvn_kernel_upperILb1ELi64ELi4ELi33ELi32ELi16Ei19rocblas_complex_numIfEPKPKS1_PS1_EviT6_lT7_lT5_lS8_lS9_lS7_lT8_i
                                        ; -- End function
	.section	.AMDGPU.csdata,"",@progbits
; Kernel info:
; codeLenInByte = 10568
; NumSgprs: 39
; NumVgprs: 171
; ScratchSize: 0
; MemoryBound: 1
; FloatMode: 240
; IeeeMode: 1
; LDSByteSize: 9600 bytes/workgroup (compile time only)
; SGPRBlocks: 4
; VGPRBlocks: 21
; NumSGPRsForWavesPerEU: 39
; NumVGPRsForWavesPerEU: 171
; Occupancy: 8
; WaveLimiterHint : 1
; COMPUTE_PGM_RSRC2:SCRATCH_EN: 0
; COMPUTE_PGM_RSRC2:USER_SGPR: 14
; COMPUTE_PGM_RSRC2:TRAP_HANDLER: 0
; COMPUTE_PGM_RSRC2:TGID_X_EN: 1
; COMPUTE_PGM_RSRC2:TGID_Y_EN: 0
; COMPUTE_PGM_RSRC2:TGID_Z_EN: 1
; COMPUTE_PGM_RSRC2:TIDIG_COMP_CNT: 1
	.section	.text._ZL36rocblas_hemvn_kernel_upper_block_sumILi64Ei19rocblas_complex_numIfEPKPS1_S1_EviT1_lS5_lT2_lT0_lPT3_i,"axG",@progbits,_ZL36rocblas_hemvn_kernel_upper_block_sumILi64Ei19rocblas_complex_numIfEPKPS1_S1_EviT1_lS5_lT2_lT0_lPT3_i,comdat
	.globl	_ZL36rocblas_hemvn_kernel_upper_block_sumILi64Ei19rocblas_complex_numIfEPKPS1_S1_EviT1_lS5_lT2_lT0_lPT3_i ; -- Begin function _ZL36rocblas_hemvn_kernel_upper_block_sumILi64Ei19rocblas_complex_numIfEPKPS1_S1_EviT1_lS5_lT2_lT0_lPT3_i
	.p2align	8
	.type	_ZL36rocblas_hemvn_kernel_upper_block_sumILi64Ei19rocblas_complex_numIfEPKPS1_S1_EviT1_lS5_lT2_lT0_lPT3_i,@function
_ZL36rocblas_hemvn_kernel_upper_block_sumILi64Ei19rocblas_complex_numIfEPKPS1_S1_EviT1_lS5_lT2_lT0_lPT3_i: ; @_ZL36rocblas_hemvn_kernel_upper_block_sumILi64Ei19rocblas_complex_numIfEPKPS1_S1_EviT1_lS5_lT2_lT0_lPT3_i
; %bb.0:
	s_clause 0x1
	s_load_b128 s[4:7], s[0:1], 0x0
	s_load_b64 s[8:9], s[0:1], 0x18
	s_mov_b32 s10, s15
	s_waitcnt lgkmcnt(0)
	s_or_b32 s2, s5, s6
	s_delay_alu instid0(SALU_CYCLE_1) | instskip(NEXT) | instid1(SALU_CYCLE_1)
	s_bitset0_b32 s2, 31
	s_cmp_eq_u32 s2, 0
	s_cselect_b32 s12, -1, 0
	s_cmp_lg_u32 s2, 0
	s_mov_b32 s2, -1
	s_cbranch_scc1 .LBB39_2
; %bb.1:
	v_cmp_neq_f32_e64 s2, s8, 1.0
	v_cmp_neq_f32_e64 s3, s9, 0
	s_delay_alu instid0(VALU_DEP_1)
	s_or_b32 s2, s2, s3
.LBB39_2:
	s_delay_alu instid0(SALU_CYCLE_1)
	s_and_not1_b32 vcc_lo, exec_lo, s2
	s_cbranch_vccnz .LBB39_19
; %bb.3:
	s_load_b128 s[16:19], s[0:1], 0x28
	s_mov_b32 s11, 0
	v_lshl_or_b32 v0, s14, 6, v0
	s_lshl_b64 s[2:3], s[10:11], 3
	s_load_b32 s11, s[0:1], 0x38
	s_waitcnt lgkmcnt(0)
	s_add_u32 s2, s16, s2
	s_addc_u32 s3, s17, s3
	s_lshl_b64 s[18:19], s[18:19], 3
	s_load_b64 s[16:17], s[2:3], 0x0
	v_cmp_gt_i32_e64 s2, s4, v0
	s_waitcnt lgkmcnt(0)
	s_add_u32 s3, s16, s18
	s_addc_u32 s7, s17, s19
	s_and_not1_b32 vcc_lo, exec_lo, s12
	s_mov_b32 s12, -1
	s_cbranch_vccnz .LBB39_9
; %bb.4:
	s_and_saveexec_b32 s12, s2
	s_cbranch_execz .LBB39_8
; %bb.5:
	v_mul_lo_u32 v1, v0, s11
	v_cmp_neq_f32_e64 s2, s8, 0
	v_cmp_neq_f32_e64 s13, s9, 0
	v_dual_mov_b32 v3, 0 :: v_dual_mov_b32 v4, 0
	s_delay_alu instid0(VALU_DEP_2) | instskip(NEXT) | instid1(VALU_DEP_4)
	s_or_b32 s2, s2, s13
	v_ashrrev_i32_e32 v2, 31, v1
	s_and_not1_b32 vcc_lo, exec_lo, s2
	s_delay_alu instid0(VALU_DEP_1)
	v_lshlrev_b64 v[1:2], 3, v[1:2]
	s_cbranch_vccnz .LBB39_7
; %bb.6:
	s_delay_alu instid0(VALU_DEP_1) | instskip(NEXT) | instid1(VALU_DEP_2)
	v_add_co_u32 v3, vcc_lo, s3, v1
	v_add_co_ci_u32_e32 v4, vcc_lo, s7, v2, vcc_lo
	global_load_b64 v[5:6], v[3:4], off
	s_waitcnt vmcnt(0)
	v_mul_f32_e32 v4, s8, v6
	s_delay_alu instid0(VALU_DEP_1) | instskip(NEXT) | instid1(VALU_DEP_1)
	v_dual_mul_f32 v3, s9, v6 :: v_dual_fmac_f32 v4, s9, v5
	v_fma_f32 v3, v5, s8, -v3
.LBB39_7:
	s_delay_alu instid0(VALU_DEP_1) | instskip(NEXT) | instid1(VALU_DEP_2)
	v_add_co_u32 v1, vcc_lo, s3, v1
	v_add_co_ci_u32_e32 v2, vcc_lo, s7, v2, vcc_lo
	global_store_b64 v[1:2], v[3:4], off
.LBB39_8:
	s_or_b32 exec_lo, exec_lo, s12
	s_mov_b32 s12, 0
.LBB39_9:
	s_delay_alu instid0(SALU_CYCLE_1)
	s_and_not1_b32 vcc_lo, exec_lo, s12
	s_cbranch_vccnz .LBB39_19
; %bb.10:
	s_mov_b32 s2, exec_lo
	v_cmpx_gt_i32_e64 s4, v0
	s_cbranch_execz .LBB39_19
; %bb.11:
	v_dual_mov_b32 v1, 0 :: v_dual_mov_b32 v4, 0
	s_cmp_lt_i32 s14, 0
	s_cbranch_scc1 .LBB39_14
; %bb.12:
	s_clause 0x1
	s_load_b32 s2, s[0:1], 0x58
	s_load_b64 s[0:1], s[0:1], 0x48
	s_ashr_i32 s13, s4, 31
	s_mul_hi_u32 s12, s4, s10
	s_mul_i32 s15, s13, s10
	v_mov_b32_e32 v1, 0
	s_add_i32 s12, s12, s15
	s_mul_i32 s10, s4, s10
	s_delay_alu instid0(VALU_DEP_1)
	v_lshlrev_b64 v[2:3], 3, v[0:1]
	v_mov_b32_e32 v4, v1
	s_waitcnt lgkmcnt(0)
	s_mul_i32 s12, s12, s2
	s_mul_hi_u32 s15, s10, s2
	s_mul_i32 s16, s10, s2
	s_add_i32 s17, s15, s12
	s_add_i32 s2, s14, 1
	s_lshl_b64 s[16:17], s[16:17], 3
	s_mov_b32 s12, s4
	s_add_u32 s0, s0, s16
	s_addc_u32 s1, s1, s17
	v_add_co_u32 v2, vcc_lo, s0, v2
	v_add_co_ci_u32_e32 v3, vcc_lo, s1, v3, vcc_lo
	s_lshl_b64 s[0:1], s[12:13], 3
	s_delay_alu instid0(VALU_DEP_2) | instskip(NEXT) | instid1(VALU_DEP_2)
	v_add_co_u32 v2, vcc_lo, v2, 4
	v_add_co_ci_u32_e32 v3, vcc_lo, 0, v3, vcc_lo
.LBB39_13:                              ; =>This Inner Loop Header: Depth=1
	global_load_b64 v[5:6], v[2:3], off offset:-4
	v_add_co_u32 v2, vcc_lo, v2, s0
	v_add_co_ci_u32_e32 v3, vcc_lo, s1, v3, vcc_lo
	s_add_i32 s2, s2, -1
	s_delay_alu instid0(SALU_CYCLE_1)
	s_cmp_eq_u32 s2, 0
	s_waitcnt vmcnt(0)
	v_dual_add_f32 v4, v4, v5 :: v_dual_add_f32 v1, v1, v6
	s_cbranch_scc0 .LBB39_13
.LBB39_14:
	v_mul_lo_u32 v2, v0, s11
	s_delay_alu instid0(VALU_DEP_2) | instskip(SKIP_3) | instid1(VALU_DEP_3)
	v_mul_f32_e32 v0, s6, v1
	v_mul_f32_e32 v1, s5, v1
	v_cmp_neq_f32_e64 s0, s8, 0
	v_cmp_neq_f32_e64 s1, s9, 0
	v_fmac_f32_e32 v1, s6, v4
	v_fma_f32 v0, v4, s5, -v0
	v_ashrrev_i32_e32 v3, 31, v2
	s_delay_alu instid0(VALU_DEP_4) | instskip(NEXT) | instid1(SALU_CYCLE_1)
	s_or_b32 s0, s0, s1
	s_and_not1_b32 vcc_lo, exec_lo, s0
	s_mov_b32 s0, 0
	s_cbranch_vccnz .LBB39_16
; %bb.15:
	s_mov_b32 s0, -1
.LBB39_16:
	s_delay_alu instid0(SALU_CYCLE_1)
	s_and_not1_b32 vcc_lo, exec_lo, s0
	s_cbranch_vccnz .LBB39_18
; %bb.17:
	v_lshlrev_b64 v[4:5], 3, v[2:3]
	s_delay_alu instid0(VALU_DEP_1) | instskip(NEXT) | instid1(VALU_DEP_2)
	v_add_co_u32 v4, vcc_lo, s3, v4
	v_add_co_ci_u32_e32 v5, vcc_lo, s7, v5, vcc_lo
	global_load_b64 v[4:5], v[4:5], off
	s_waitcnt vmcnt(0)
	v_mul_f32_e32 v6, s9, v5
	v_mul_f32_e32 v5, s8, v5
	s_delay_alu instid0(VALU_DEP_1) | instskip(NEXT) | instid1(VALU_DEP_3)
	v_fmac_f32_e32 v5, s9, v4
	v_fma_f32 v6, v4, s8, -v6
	s_delay_alu instid0(VALU_DEP_1)
	v_dual_add_f32 v1, v1, v5 :: v_dual_add_f32 v0, v0, v6
.LBB39_18:
	v_lshlrev_b64 v[2:3], 3, v[2:3]
	s_delay_alu instid0(VALU_DEP_1) | instskip(NEXT) | instid1(VALU_DEP_2)
	v_add_co_u32 v2, vcc_lo, s3, v2
	v_add_co_ci_u32_e32 v3, vcc_lo, s7, v3, vcc_lo
	global_store_b64 v[2:3], v[0:1], off
.LBB39_19:
	s_nop 0
	s_sendmsg sendmsg(MSG_DEALLOC_VGPRS)
	s_endpgm
	.section	.rodata,"a",@progbits
	.p2align	6, 0x0
	.amdhsa_kernel _ZL36rocblas_hemvn_kernel_upper_block_sumILi64Ei19rocblas_complex_numIfEPKPS1_S1_EviT1_lS5_lT2_lT0_lPT3_i
		.amdhsa_group_segment_fixed_size 0
		.amdhsa_private_segment_fixed_size 0
		.amdhsa_kernarg_size 344
		.amdhsa_user_sgpr_count 14
		.amdhsa_user_sgpr_dispatch_ptr 0
		.amdhsa_user_sgpr_queue_ptr 0
		.amdhsa_user_sgpr_kernarg_segment_ptr 1
		.amdhsa_user_sgpr_dispatch_id 0
		.amdhsa_user_sgpr_private_segment_size 0
		.amdhsa_wavefront_size32 1
		.amdhsa_uses_dynamic_stack 0
		.amdhsa_enable_private_segment 0
		.amdhsa_system_sgpr_workgroup_id_x 1
		.amdhsa_system_sgpr_workgroup_id_y 0
		.amdhsa_system_sgpr_workgroup_id_z 1
		.amdhsa_system_sgpr_workgroup_info 0
		.amdhsa_system_vgpr_workitem_id 0
		.amdhsa_next_free_vgpr 7
		.amdhsa_next_free_sgpr 20
		.amdhsa_reserve_vcc 1
		.amdhsa_float_round_mode_32 0
		.amdhsa_float_round_mode_16_64 0
		.amdhsa_float_denorm_mode_32 3
		.amdhsa_float_denorm_mode_16_64 3
		.amdhsa_dx10_clamp 1
		.amdhsa_ieee_mode 1
		.amdhsa_fp16_overflow 0
		.amdhsa_workgroup_processor_mode 1
		.amdhsa_memory_ordered 1
		.amdhsa_forward_progress 0
		.amdhsa_shared_vgpr_count 0
		.amdhsa_exception_fp_ieee_invalid_op 0
		.amdhsa_exception_fp_denorm_src 0
		.amdhsa_exception_fp_ieee_div_zero 0
		.amdhsa_exception_fp_ieee_overflow 0
		.amdhsa_exception_fp_ieee_underflow 0
		.amdhsa_exception_fp_ieee_inexact 0
		.amdhsa_exception_int_div_zero 0
	.end_amdhsa_kernel
	.section	.text._ZL36rocblas_hemvn_kernel_upper_block_sumILi64Ei19rocblas_complex_numIfEPKPS1_S1_EviT1_lS5_lT2_lT0_lPT3_i,"axG",@progbits,_ZL36rocblas_hemvn_kernel_upper_block_sumILi64Ei19rocblas_complex_numIfEPKPS1_S1_EviT1_lS5_lT2_lT0_lPT3_i,comdat
.Lfunc_end39:
	.size	_ZL36rocblas_hemvn_kernel_upper_block_sumILi64Ei19rocblas_complex_numIfEPKPS1_S1_EviT1_lS5_lT2_lT0_lPT3_i, .Lfunc_end39-_ZL36rocblas_hemvn_kernel_upper_block_sumILi64Ei19rocblas_complex_numIfEPKPS1_S1_EviT1_lS5_lT2_lT0_lPT3_i
                                        ; -- End function
	.section	.AMDGPU.csdata,"",@progbits
; Kernel info:
; codeLenInByte = 768
; NumSgprs: 22
; NumVgprs: 7
; ScratchSize: 0
; MemoryBound: 0
; FloatMode: 240
; IeeeMode: 1
; LDSByteSize: 0 bytes/workgroup (compile time only)
; SGPRBlocks: 2
; VGPRBlocks: 0
; NumSGPRsForWavesPerEU: 22
; NumVGPRsForWavesPerEU: 7
; Occupancy: 16
; WaveLimiterHint : 1
; COMPUTE_PGM_RSRC2:SCRATCH_EN: 0
; COMPUTE_PGM_RSRC2:USER_SGPR: 14
; COMPUTE_PGM_RSRC2:TRAP_HANDLER: 0
; COMPUTE_PGM_RSRC2:TGID_X_EN: 1
; COMPUTE_PGM_RSRC2:TGID_Y_EN: 0
; COMPUTE_PGM_RSRC2:TGID_Z_EN: 1
; COMPUTE_PGM_RSRC2:TIDIG_COMP_CNT: 0
	.section	.text._ZL26rocblas_hemvn_kernel_lowerILb1ELi64ELi4ELi33ELi32ELi16ElPK19rocblas_complex_numIfEPKS3_PS1_EviT6_lT7_lT5_lS8_lS9_lS7_lT8_i,"axG",@progbits,_ZL26rocblas_hemvn_kernel_lowerILb1ELi64ELi4ELi33ELi32ELi16ElPK19rocblas_complex_numIfEPKS3_PS1_EviT6_lT7_lT5_lS8_lS9_lS7_lT8_i,comdat
	.globl	_ZL26rocblas_hemvn_kernel_lowerILb1ELi64ELi4ELi33ELi32ELi16ElPK19rocblas_complex_numIfEPKS3_PS1_EviT6_lT7_lT5_lS8_lS9_lS7_lT8_i ; -- Begin function _ZL26rocblas_hemvn_kernel_lowerILb1ELi64ELi4ELi33ELi32ELi16ElPK19rocblas_complex_numIfEPKS3_PS1_EviT6_lT7_lT5_lS8_lS9_lS7_lT8_i
	.p2align	8
	.type	_ZL26rocblas_hemvn_kernel_lowerILb1ELi64ELi4ELi33ELi32ELi16ElPK19rocblas_complex_numIfEPKS3_PS1_EviT6_lT7_lT5_lS8_lS9_lS7_lT8_i,@function
_ZL26rocblas_hemvn_kernel_lowerILb1ELi64ELi4ELi33ELi32ELi16ElPK19rocblas_complex_numIfEPKS3_PS1_EviT6_lT7_lT5_lS8_lS9_lS7_lT8_i: ; @_ZL26rocblas_hemvn_kernel_lowerILb1ELi64ELi4ELi33ELi32ELi16ElPK19rocblas_complex_numIfEPKS3_PS1_EviT6_lT7_lT5_lS8_lS9_lS7_lT8_i
; %bb.0:
	s_load_b64 s[2:3], s[0:1], 0x84
	s_add_u32 s20, s0, 0x78
	s_addc_u32 s21, s1, 0
	s_waitcnt lgkmcnt(0)
	s_lshr_b32 s4, s2, 16
	s_and_b32 s2, s2, 0xffff
	s_and_b32 s3, s3, 0xffff
	s_mul_i32 s2, s4, s2
	s_delay_alu instid0(SALU_CYCLE_1) | instskip(NEXT) | instid1(SALU_CYCLE_1)
	s_mul_i32 s2, s2, s3
	s_cmpk_lg_i32 s2, 0x100
	s_cbranch_scc1 .LBB40_141
; %bb.1:
	s_load_b256 s[4:11], s[0:1], 0x8
	s_mov_b32 s16, s15
	s_mov_b32 s17, 0
	s_waitcnt lgkmcnt(0)
	s_mul_i32 s2, s15, s7
	s_mul_hi_u32 s3, s15, s6
	s_delay_alu instid0(SALU_CYCLE_1) | instskip(SKIP_1) | instid1(SALU_CYCLE_1)
	s_add_i32 s3, s3, s2
	s_mul_i32 s2, s15, s6
	s_lshl_b64 s[2:3], s[2:3], 3
	s_delay_alu instid0(SALU_CYCLE_1)
	s_add_u32 s2, s4, s2
	s_addc_u32 s3, s5, s3
	s_load_b64 s[2:3], s[2:3], 0x0
	s_clause 0x2
	s_load_b64 s[18:19], s[0:1], 0x68
	s_load_b64 s[12:13], s[0:1], 0x28
	s_load_b128 s[4:7], s[0:1], 0x58
	s_waitcnt lgkmcnt(0)
	s_or_b32 s2, s2, s3
	s_delay_alu instid0(SALU_CYCLE_1) | instskip(NEXT) | instid1(SALU_CYCLE_1)
	s_bitset0_b32 s2, 31
	s_cmp_lg_u32 s2, 0
	s_cselect_b32 s15, -1, 0
	s_delay_alu instid0(SALU_CYCLE_1)
	s_and_b32 vcc_lo, exec_lo, s15
	s_cbranch_vccnz .LBB40_4
; %bb.2:
	s_mul_i32 s3, s16, s7
	s_mul_hi_u32 s7, s16, s6
	s_mul_i32 s2, s16, s6
	s_add_i32 s3, s7, s3
	s_delay_alu instid0(SALU_CYCLE_1) | instskip(NEXT) | instid1(SALU_CYCLE_1)
	s_lshl_b64 s[2:3], s[2:3], 3
	s_add_u32 s2, s4, s2
	s_addc_u32 s3, s5, s3
	s_mov_b32 s5, 0
	s_load_b64 s[2:3], s[2:3], 0x0
	s_mov_b32 s4, 0
	s_waitcnt lgkmcnt(0)
	v_cmp_eq_f32_e64 s2, s2, 1.0
	v_cmp_eq_f32_e64 s3, s3, 0
	s_delay_alu instid0(VALU_DEP_1) | instskip(NEXT) | instid1(SALU_CYCLE_1)
	s_and_b32 s2, s2, s3
	s_and_not1_b32 vcc_lo, exec_lo, s2
                                        ; implicit-def: $sgpr2_sgpr3
	s_cbranch_vccz .LBB40_5
; %bb.3:
	s_mov_b32 s4, -1
	s_mov_b64 s[2:3], 0
	s_branch .LBB40_5
.LBB40_4:
	s_mov_b32 s5, -1
	s_mov_b32 s4, s17
                                        ; implicit-def: $sgpr2_sgpr3
.LBB40_5:
	s_and_b32 vcc_lo, exec_lo, s5
	s_cbranch_vccz .LBB40_7
; %bb.6:
	s_lshl_b64 s[2:3], s[16:17], 3
	s_delay_alu instid0(SALU_CYCLE_1)
	s_add_u32 s2, s8, s2
	s_addc_u32 s3, s9, s3
	s_lshl_b64 s[4:5], s[10:11], 3
	s_load_b64 s[2:3], s[2:3], 0x0
	s_waitcnt lgkmcnt(0)
	s_add_u32 s2, s2, s4
	s_addc_u32 s3, s3, s5
	s_mov_b32 s4, -1
.LBB40_7:
	s_delay_alu instid0(SALU_CYCLE_1)
	s_and_not1_b32 vcc_lo, exec_lo, s4
	s_cbranch_vccnz .LBB40_141
; %bb.8:
	s_clause 0x1
	s_load_b128 s[4:7], s[0:1], 0x38
	s_load_b64 s[8:9], s[0:1], 0x48
	v_cndmask_b32_e64 v1, 0, 1, s15
	s_and_not1_b32 vcc_lo, exec_lo, s15
	s_mov_b64 s[22:23], 0
	s_cbranch_vccnz .LBB40_10
; %bb.9:
	s_lshl_b64 s[10:11], s[16:17], 3
	s_waitcnt lgkmcnt(0)
	s_add_u32 s4, s4, s10
	s_addc_u32 s5, s5, s11
	s_lshl_b64 s[6:7], s[6:7], 3
	s_load_b64 s[4:5], s[4:5], 0x0
	s_waitcnt lgkmcnt(0)
	s_add_u32 s22, s4, s6
	s_addc_u32 s23, s5, s7
.LBB40_10:
	s_delay_alu instid0(VALU_DEP_1)
	v_cmp_ne_u32_e32 vcc_lo, 1, v1
	s_cbranch_vccnz .LBB40_141
; %bb.11:
	v_and_b32_e32 v26, 0x3ff, v0
	s_lshl_b32 s10, s14, 6
	s_load_b32 s15, s[0:1], 0x0
	s_load_b32 s17, s[20:21], 0x0
	v_bfe_u32 v72, v0, 10, 10
	v_add_nc_u32_e32 v16, s10, v26
	s_delay_alu instid0(VALU_DEP_1) | instskip(SKIP_3) | instid1(VALU_DEP_3)
	v_ashrrev_i32_e32 v17, 31, v16
	s_waitcnt lgkmcnt(0)
	v_mul_lo_u32 v3, v16, s9
	v_mad_u64_u32 v[1:2], null, v16, s8, 0
	v_mul_lo_u32 v4, v17, s8
	s_ashr_i32 s26, s15, 31
	s_delay_alu instid0(VALU_DEP_1)
	v_add3_u32 v2, v2, v3, v4
	s_lshr_b32 s0, s26, 26
	s_add_i32 s4, s17, -1
	s_add_i32 s1, s15, s0
	v_cmp_ne_u32_e64 s0, 0, v72
	v_lshlrev_b64 v[0:1], 3, v[1:2]
	s_and_not1_b32 s1, s1, 63
	s_delay_alu instid0(SALU_CYCLE_1) | instskip(SKIP_2) | instid1(VALU_DEP_2)
	s_sub_i32 s5, s15, s1
	v_cmp_eq_u32_e64 s1, 0, v72
	s_cmp_eq_u32 s14, s4
	v_add_co_u32 v20, vcc_lo, s22, v0
	v_add_co_ci_u32_e32 v21, vcc_lo, s23, v1, vcc_lo
	s_mov_b32 s4, -1
	s_cselect_b32 s20, s5, 0
	s_and_saveexec_b32 s5, s1
	s_cbranch_execz .LBB40_16
; %bb.12:
	v_cmp_le_i32_e32 vcc_lo, s20, v26
	s_cmp_lg_u32 s20, 0
	v_lshl_add_u32 v0, v26, 3, 0x2380
	s_cselect_b32 s6, -1, 0
	s_delay_alu instid0(SALU_CYCLE_1) | instskip(NEXT) | instid1(SALU_CYCLE_1)
	s_and_b32 s6, s6, vcc_lo
	s_and_saveexec_b32 s7, s6
	s_delay_alu instid0(SALU_CYCLE_1)
	s_xor_b32 s6, exec_lo, s7
	s_cbranch_execz .LBB40_14
; %bb.13:
	v_mov_b32_e32 v1, 0
	s_delay_alu instid0(VALU_DEP_1)
	v_mov_b32_e32 v2, v1
	ds_store_b64 v0, v[1:2]
                                        ; implicit-def: $vgpr0
.LBB40_14:
	s_and_not1_saveexec_b32 s6, s6
	s_cbranch_execz .LBB40_16
; %bb.15:
	flat_load_b64 v[1:2], v[20:21]
	s_waitcnt vmcnt(0) lgkmcnt(0)
	ds_store_b64 v0, v[1:2]
.LBB40_16:
	s_or_b32 exec_lo, exec_lo, s5
	v_lshl_add_u32 v27, v72, 6, v26
	v_dual_mov_b32 v1, 0 :: v_dual_and_b32 v0, 31, v26
	s_ashr_i32 s11, s10, 31
	s_mul_i32 s5, s10, s13
	s_delay_alu instid0(VALU_DEP_2)
	v_lshrrev_b32_e32 v5, 5, v27
	s_lshl_b64 s[6:7], s[10:11], 3
	s_mul_hi_u32 s21, s10, s12
	s_add_u32 s6, s2, s6
	s_mul_i32 s22, s11, s12
	v_mad_u64_u32 v[2:3], null, v5, s12, v[0:1]
	s_addc_u32 s7, s3, s7
	s_add_i32 s3, s21, s5
	s_mul_i32 s2, s10, s12
	s_add_i32 s3, s3, s22
	s_delay_alu instid0(SALU_CYCLE_1) | instskip(NEXT) | instid1(VALU_DEP_1)
	s_lshl_b64 s[22:23], s[2:3], 3
	v_mov_b32_e32 v1, v3
	s_add_u32 s2, s22, s6
	s_addc_u32 s3, s23, s7
	s_cmp_lg_u32 s20, 0
	s_cselect_b32 s27, -1, 0
	v_mad_u64_u32 v[3:4], null, v5, s13, v[1:2]
	s_cmp_eq_u32 s20, 0
	s_cselect_b32 s7, -1, 0
	s_delay_alu instid0(VALU_DEP_1) | instskip(NEXT) | instid1(VALU_DEP_1)
	v_lshlrev_b64 v[22:23], 3, v[2:3]
	v_add_co_u32 v1, vcc_lo, s2, v22
	s_delay_alu instid0(VALU_DEP_2)
	v_add_co_ci_u32_e32 v2, vcc_lo, s3, v23, vcc_lo
	s_and_b32 vcc_lo, exec_lo, s27
	s_cbranch_vccnz .LBB40_18
; %bb.17:
	flat_load_b64 v[3:4], v[1:2]
	v_mul_u32_u24_e32 v6, 33, v5
	s_lshl_b64 s[2:3], s[12:13], 6
	s_mov_b32 s4, 0
	s_delay_alu instid0(VALU_DEP_1)
	v_add_lshl_u32 v10, v6, v0, 3
	v_add_co_u32 v6, vcc_lo, v1, s2
	v_add_co_ci_u32_e32 v7, vcc_lo, s3, v2, vcc_lo
	s_waitcnt vmcnt(0) lgkmcnt(0)
	ds_store_b64 v10, v[3:4]
	flat_load_b64 v[3:4], v[6:7]
	v_add_co_u32 v6, vcc_lo, v6, s2
	v_add_co_ci_u32_e32 v7, vcc_lo, s3, v7, vcc_lo
	s_waitcnt vmcnt(0) lgkmcnt(0)
	ds_store_b64 v10, v[3:4] offset:2112
	flat_load_b64 v[3:4], v[6:7]
	v_mad_u64_u32 v[6:7], null, 0xc0, s12, v[1:2]
	s_delay_alu instid0(VALU_DEP_1) | instskip(NEXT) | instid1(VALU_DEP_1)
	v_mad_u64_u32 v[8:9], null, 0xc0, s13, v[7:8]
	v_mov_b32_e32 v7, v8
	s_waitcnt vmcnt(0) lgkmcnt(0)
	ds_store_b64 v10, v[3:4] offset:4224
	flat_load_b64 v[3:4], v[6:7]
	s_waitcnt vmcnt(0) lgkmcnt(0)
	ds_store_b64 v10, v[3:4] offset:6336
.LBB40_18:
	s_and_not1_b32 vcc_lo, exec_lo, s4
	s_cbranch_vccnz .LBB40_36
; %bb.19:
	v_lshlrev_b32_e32 v6, 3, v0
	s_ashr_i32 s21, s20, 31
	v_mul_u32_u24_e32 v7, 33, v5
	s_lshl_b64 s[4:5], s[20:21], 3
	v_cmp_le_i32_e64 s2, s20, v5
	v_sub_co_u32 v3, vcc_lo, v1, v6
	v_subrev_co_ci_u32_e32 v4, vcc_lo, 0, v2, vcc_lo
	v_add_lshl_u32 v7, v7, v0, 3
	s_delay_alu instid0(VALU_DEP_3) | instskip(NEXT) | instid1(VALU_DEP_3)
	v_add_co_u32 v3, vcc_lo, v3, s4
	v_add_co_ci_u32_e32 v4, vcc_lo, s5, v4, vcc_lo
	s_delay_alu instid0(VALU_DEP_2) | instskip(NEXT) | instid1(VALU_DEP_2)
	v_add_co_u32 v3, vcc_lo, v3, -8
	v_add_co_ci_u32_e32 v4, vcc_lo, -1, v4, vcc_lo
	v_cmp_gt_i32_e32 vcc_lo, s20, v0
	s_delay_alu instid0(VALU_DEP_2) | instskip(SKIP_1) | instid1(SALU_CYCLE_1)
	v_dual_cndmask_b32 v3, v3, v1 :: v_dual_cndmask_b32 v4, v4, v2
	s_and_saveexec_b32 s3, s2
	s_xor_b32 s2, exec_lo, s3
	s_cbranch_execz .LBB40_21
; %bb.20:
	v_mov_b32_e32 v8, 0
	s_delay_alu instid0(VALU_DEP_1)
	v_mov_b32_e32 v9, v8
	ds_store_b64 v7, v[8:9]
.LBB40_21:
	s_and_not1_saveexec_b32 s2, s2
	s_cbranch_execz .LBB40_23
; %bb.22:
	flat_load_b64 v[8:9], v[3:4]
	s_waitcnt vmcnt(0) lgkmcnt(0)
	ds_store_b64 v7, v[8:9]
.LBB40_23:
	s_or_b32 exec_lo, exec_lo, s2
	v_add_nc_u32_e32 v8, 8, v5
	s_delay_alu instid0(VALU_DEP_1) | instskip(NEXT) | instid1(VALU_DEP_1)
	v_cmp_le_i32_e64 s2, s20, v8
	s_and_saveexec_b32 s3, s2
	s_delay_alu instid0(SALU_CYCLE_1)
	s_xor_b32 s2, exec_lo, s3
	s_cbranch_execz .LBB40_25
; %bb.24:
	v_mul_u32_u24_e32 v9, 33, v8
	v_mov_b32_e32 v8, 0
	s_delay_alu instid0(VALU_DEP_2) | instskip(NEXT) | instid1(VALU_DEP_2)
	v_add_lshl_u32 v10, v9, v0, 3
	v_mov_b32_e32 v9, v8
	ds_store_b64 v10, v[8:9]
.LBB40_25:
	s_and_not1_saveexec_b32 s3, s2
	s_cbranch_execz .LBB40_27
; %bb.26:
	s_lshl_b64 s[24:25], s[12:13], 6
	s_delay_alu instid0(SALU_CYCLE_1) | instskip(NEXT) | instid1(VALU_DEP_1)
	v_add_co_u32 v8, s2, v3, s24
	v_add_co_ci_u32_e64 v9, s2, s25, v4, s2
	flat_load_b64 v[8:9], v[8:9]
	s_waitcnt vmcnt(0) lgkmcnt(0)
	ds_store_b64 v7, v[8:9] offset:2112
.LBB40_27:
	s_or_b32 exec_lo, exec_lo, s3
	v_add_nc_u32_e32 v8, 16, v5
	s_delay_alu instid0(VALU_DEP_1) | instskip(NEXT) | instid1(VALU_DEP_1)
	v_cmp_le_i32_e64 s2, s20, v8
	s_and_saveexec_b32 s3, s2
	s_delay_alu instid0(SALU_CYCLE_1)
	s_xor_b32 s2, exec_lo, s3
	s_cbranch_execz .LBB40_29
; %bb.28:
	v_mov_b32_e32 v8, 0
	s_delay_alu instid0(VALU_DEP_1)
	v_mov_b32_e32 v9, v8
	ds_store_b64 v7, v[8:9] offset:4224
.LBB40_29:
	s_and_not1_saveexec_b32 s3, s2
	s_cbranch_execz .LBB40_31
; %bb.30:
	s_lshl_b64 s[24:25], s[12:13], 7
	s_delay_alu instid0(SALU_CYCLE_1) | instskip(NEXT) | instid1(VALU_DEP_1)
	v_add_co_u32 v8, s2, v3, s24
	v_add_co_ci_u32_e64 v9, s2, s25, v4, s2
	flat_load_b64 v[8:9], v[8:9]
	s_waitcnt vmcnt(0) lgkmcnt(0)
	ds_store_b64 v7, v[8:9] offset:4224
.LBB40_31:
	s_or_b32 exec_lo, exec_lo, s3
	v_add_nc_u32_e32 v8, 24, v5
	s_delay_alu instid0(VALU_DEP_1) | instskip(NEXT) | instid1(VALU_DEP_1)
	v_cmp_le_i32_e64 s2, s20, v8
	s_and_saveexec_b32 s3, s2
	s_delay_alu instid0(SALU_CYCLE_1)
	s_xor_b32 s2, exec_lo, s3
	s_cbranch_execz .LBB40_33
; %bb.32:
	v_mov_b32_e32 v8, 0
	s_delay_alu instid0(VALU_DEP_1)
	v_mov_b32_e32 v9, v8
	ds_store_b64 v7, v[8:9] offset:6336
                                        ; implicit-def: $vgpr7
.LBB40_33:
	s_and_not1_saveexec_b32 s2, s2
	s_cbranch_execz .LBB40_35
; %bb.34:
	v_mad_u64_u32 v[8:9], null, 0xc0, s12, v[3:4]
	s_delay_alu instid0(VALU_DEP_1) | instskip(NEXT) | instid1(VALU_DEP_1)
	v_mad_u64_u32 v[10:11], null, 0xc0, s13, v[9:10]
	v_mov_b32_e32 v9, v10
	flat_load_b64 v[8:9], v[8:9]
	s_waitcnt vmcnt(0) lgkmcnt(0)
	ds_store_b64 v7, v[8:9] offset:6336
.LBB40_35:
	s_or_b32 exec_lo, exec_lo, s2
	v_add_co_u32 v3, s2, v3, v6
	s_delay_alu instid0(VALU_DEP_1) | instskip(NEXT) | instid1(VALU_DEP_2)
	v_add_co_ci_u32_e64 v4, s2, 0, v4, s2
	v_sub_co_u32 v3, s2, v3, s4
	s_delay_alu instid0(VALU_DEP_1) | instskip(NEXT) | instid1(VALU_DEP_2)
	v_subrev_co_ci_u32_e64 v4, s2, s5, v4, s2
	v_add_co_u32 v3, s2, v3, 8
	s_delay_alu instid0(VALU_DEP_1) | instskip(NEXT) | instid1(VALU_DEP_1)
	v_add_co_ci_u32_e64 v4, s2, 0, v4, s2
	v_dual_cndmask_b32 v1, v3, v1 :: v_dual_cndmask_b32 v2, v4, v2
.LBB40_36:
	v_lshlrev_b32_e32 v6, 2, v5
	s_waitcnt lgkmcnt(0)
	s_barrier
	buffer_gl0_inv
	v_cmp_ge_u32_e64 s3, v6, v0
	s_delay_alu instid0(VALU_DEP_1) | instskip(NEXT) | instid1(SALU_CYCLE_1)
	s_and_saveexec_b32 s2, s3
	s_xor_b32 s2, exec_lo, s2
	s_cbranch_execz .LBB40_40
; %bb.37:
	s_mov_b32 s4, exec_lo
	v_cmpx_eq_u32_e64 v6, v0
	s_cbranch_execz .LBB40_39
; %bb.38:
	v_mul_u32_u24_e32 v3, 34, v0
	s_delay_alu instid0(VALU_DEP_1)
	v_dual_mov_b32 v4, 0 :: v_dual_lshlrev_b32 v3, 3, v3
	ds_store_b32 v3, v4 offset:4
.LBB40_39:
	s_or_b32 exec_lo, exec_lo, s4
.LBB40_40:
	s_or_saveexec_b32 s2, s2
	v_mul_u32_u24_e32 v28, 33, v0
	v_mul_u32_u24_e32 v3, 0x84, v5
	s_delay_alu instid0(VALU_DEP_2)
	v_add_lshl_u32 v4, v6, v28, 3
	s_xor_b32 exec_lo, exec_lo, s2
	s_cbranch_execz .LBB40_42
; %bb.41:
	s_delay_alu instid0(VALU_DEP_2)
	v_add_lshl_u32 v7, v3, v0, 3
	ds_load_b64 v[7:8], v7
	s_waitcnt lgkmcnt(0)
	v_xor_b32_e32 v8, 0x80000000, v8
	ds_store_b64 v4, v[7:8]
.LBB40_42:
	s_or_b32 exec_lo, exec_lo, s2
	v_or_b32_e32 v7, 1, v6
	s_delay_alu instid0(VALU_DEP_1) | instskip(NEXT) | instid1(VALU_DEP_1)
	v_cmp_ge_u32_e64 s4, v7, v0
	s_and_saveexec_b32 s2, s4
	s_delay_alu instid0(SALU_CYCLE_1)
	s_xor_b32 s2, exec_lo, s2
	s_cbranch_execz .LBB40_46
; %bb.43:
	s_mov_b32 s5, exec_lo
	v_cmpx_eq_u32_e64 v7, v0
	s_cbranch_execz .LBB40_45
; %bb.44:
	v_mul_u32_u24_e32 v8, 34, v0
	s_delay_alu instid0(VALU_DEP_1)
	v_dual_mov_b32 v9, 0 :: v_dual_lshlrev_b32 v8, 3, v8
	ds_store_b32 v8, v9 offset:4
.LBB40_45:
	s_or_b32 exec_lo, exec_lo, s5
.LBB40_46:
	s_or_saveexec_b32 s2, s2
	v_mul_u32_u24_e32 v9, 33, v7
	s_xor_b32 exec_lo, exec_lo, s2
	s_cbranch_execz .LBB40_48
; %bb.47:
	s_delay_alu instid0(VALU_DEP_1)
	v_add_lshl_u32 v8, v9, v0, 3
	ds_load_b64 v[10:11], v8
	s_waitcnt lgkmcnt(0)
	v_xor_b32_e32 v11, 0x80000000, v11
	ds_store_b64 v4, v[10:11] offset:8
.LBB40_48:
	s_or_b32 exec_lo, exec_lo, s2
	v_or_b32_e32 v8, 2, v6
	s_delay_alu instid0(VALU_DEP_1) | instskip(NEXT) | instid1(VALU_DEP_1)
	v_cmp_ge_u32_e64 s5, v8, v0
	s_and_saveexec_b32 s2, s5
	s_delay_alu instid0(SALU_CYCLE_1)
	s_xor_b32 s2, exec_lo, s2
	s_cbranch_execz .LBB40_52
; %bb.49:
	s_mov_b32 s6, exec_lo
	v_cmpx_eq_u32_e64 v8, v0
	s_cbranch_execz .LBB40_51
; %bb.50:
	v_mul_u32_u24_e32 v10, 34, v0
	s_delay_alu instid0(VALU_DEP_1)
	v_dual_mov_b32 v11, 0 :: v_dual_lshlrev_b32 v10, 3, v10
	ds_store_b32 v10, v11 offset:4
.LBB40_51:
	s_or_b32 exec_lo, exec_lo, s6
.LBB40_52:
	s_and_not1_saveexec_b32 s2, s2
	s_cbranch_execz .LBB40_54
; %bb.53:
	v_mul_u32_u24_e32 v10, 33, v8
	s_delay_alu instid0(VALU_DEP_1)
	v_add_lshl_u32 v10, v10, v0, 3
	ds_load_b64 v[10:11], v10
	s_waitcnt lgkmcnt(0)
	v_xor_b32_e32 v11, 0x80000000, v11
	ds_store_b64 v4, v[10:11] offset:16
.LBB40_54:
	s_or_b32 exec_lo, exec_lo, s2
	v_or_b32_e32 v10, 3, v6
	s_delay_alu instid0(VALU_DEP_1) | instskip(NEXT) | instid1(VALU_DEP_1)
	v_cmp_ge_u32_e64 s6, v10, v0
	s_and_saveexec_b32 s2, s6
	s_delay_alu instid0(SALU_CYCLE_1)
	s_xor_b32 s2, exec_lo, s2
	s_cbranch_execz .LBB40_58
; %bb.55:
	s_mov_b32 s21, exec_lo
	v_cmpx_eq_u32_e64 v10, v0
	s_cbranch_execz .LBB40_57
; %bb.56:
	v_mul_u32_u24_e32 v11, 34, v0
	s_delay_alu instid0(VALU_DEP_1)
	v_dual_mov_b32 v12, 0 :: v_dual_lshlrev_b32 v11, 3, v11
	ds_store_b32 v11, v12 offset:4
.LBB40_57:
	s_or_b32 exec_lo, exec_lo, s21
.LBB40_58:
	s_and_not1_saveexec_b32 s2, s2
	s_cbranch_execz .LBB40_60
; %bb.59:
	v_mul_u32_u24_e32 v11, 33, v10
	s_delay_alu instid0(VALU_DEP_1)
	v_add_lshl_u32 v11, v11, v0, 3
	ds_load_b64 v[11:12], v11
	s_waitcnt lgkmcnt(0)
	v_xor_b32_e32 v12, 0x80000000, v12
	ds_store_b64 v4, v[11:12] offset:24
.LBB40_60:
	s_or_b32 exec_lo, exec_lo, s2
	v_add_lshl_u32 v11, v3, v0, 3
	v_lshlrev_b32_e32 v3, 3, v6
	v_add_lshl_u32 v9, v9, v0, 3
	s_waitcnt lgkmcnt(0)
	s_barrier
	buffer_gl0_inv
	ds_load_b64 v[18:19], v11
	ds_load_b128 v[12:15], v3 offset:9088
	ds_load_2addr_b64 v[29:32], v9 offset1:33
	ds_load_b128 v[33:36], v3 offset:9104
	ds_load_b64 v[24:25], v9 offset:528
	v_cmp_gt_u32_e64 s2, 32, v27
	s_waitcnt lgkmcnt(0)
	s_barrier
	buffer_gl0_inv
	v_dual_mul_f32 v37, v13, v19 :: v_dual_mul_f32 v38, v15, v30
	v_dual_mul_f32 v19, v12, v19 :: v_dual_mul_f32 v30, v14, v30
	v_mul_f32_e32 v39, v34, v32
	s_delay_alu instid0(VALU_DEP_3) | instskip(NEXT) | instid1(VALU_DEP_4)
	v_fma_f32 v12, v12, v18, -v37
	v_fma_f32 v14, v14, v29, -v38
	s_delay_alu instid0(VALU_DEP_4)
	v_fmac_f32_e32 v19, v13, v18
	v_mul_f32_e32 v32, v33, v32
	v_fmac_f32_e32 v30, v15, v29
	v_add_f32_e32 v12, 0, v12
	v_fma_f32 v18, v33, v31, -v39
	v_add_f32_e32 v15, 0, v19
	v_dual_mul_f32 v13, v36, v25 :: v_dual_fmac_f32 v32, v34, v31
	s_delay_alu instid0(VALU_DEP_4) | instskip(SKIP_1) | instid1(VALU_DEP_3)
	v_dual_add_f32 v12, v12, v14 :: v_dual_mul_f32 v19, v35, v25
	v_add_lshl_u32 v29, v5, v28, 3
	v_fma_f32 v13, v35, v24, -v13
	s_delay_alu instid0(VALU_DEP_3) | instskip(NEXT) | instid1(VALU_DEP_4)
	v_add_f32_e32 v12, v12, v18
	v_dual_add_f32 v14, v15, v30 :: v_dual_fmac_f32 v19, v36, v24
	s_delay_alu instid0(VALU_DEP_2) | instskip(NEXT) | instid1(VALU_DEP_2)
	v_add_f32_e32 v12, v12, v13
	v_add_f32_e32 v14, v14, v32
	s_delay_alu instid0(VALU_DEP_1)
	v_dual_mov_b32 v18, 0 :: v_dual_add_f32 v13, v14, v19
	v_mov_b32_e32 v19, 0
	ds_store_b64 v29, v[12:13]
	s_waitcnt lgkmcnt(0)
	s_barrier
	buffer_gl0_inv
	s_and_saveexec_b32 s21, s2
	s_cbranch_execz .LBB40_62
; %bb.61:
	v_lshlrev_b32_e32 v18, 3, v28
	ds_load_2addr_b64 v[12:15], v18 offset1:7
	ds_load_2addr_b64 v[30:33], v18 offset0:1 offset1:2
	ds_load_2addr_b64 v[34:37], v18 offset0:3 offset1:4
	;; [unrolled: 1-line block ×3, first 2 shown]
	s_waitcnt lgkmcnt(2)
	v_dual_add_f32 v13, v31, v13 :: v_dual_add_f32 v12, v30, v12
	s_delay_alu instid0(VALU_DEP_1) | instskip(SKIP_1) | instid1(VALU_DEP_1)
	v_dual_add_f32 v13, v13, v33 :: v_dual_add_f32 v12, v12, v32
	s_waitcnt lgkmcnt(1)
	v_dual_add_f32 v13, v13, v35 :: v_dual_add_f32 v12, v12, v34
	s_delay_alu instid0(VALU_DEP_1) | instskip(SKIP_1) | instid1(VALU_DEP_1)
	v_dual_add_f32 v13, v13, v37 :: v_dual_add_f32 v12, v12, v36
	s_waitcnt lgkmcnt(0)
	v_dual_add_f32 v13, v13, v39 :: v_dual_add_f32 v12, v12, v38
	s_delay_alu instid0(VALU_DEP_1) | instskip(NEXT) | instid1(VALU_DEP_1)
	v_dual_add_f32 v13, v13, v41 :: v_dual_add_f32 v12, v12, v40
	v_dual_add_f32 v19, v13, v15 :: v_dual_add_f32 v18, v12, v14
.LBB40_62:
	s_or_b32 exec_lo, exec_lo, s21
	s_lshl_b64 s[24:25], s[12:13], 8
	v_cndmask_b32_e64 v12, 0, 1, s7
	v_add_co_u32 v1, vcc_lo, v1, s24
	v_add_co_ci_u32_e32 v2, vcc_lo, s25, v2, vcc_lo
	s_delay_alu instid0(VALU_DEP_2) | instskip(NEXT) | instid1(VALU_DEP_2)
	v_add_co_u32 v13, vcc_lo, 0x100, v1
	v_add_co_ci_u32_e32 v14, vcc_lo, 0, v2, vcc_lo
	s_and_not1_b32 vcc_lo, exec_lo, s7
	s_barrier
	buffer_gl0_inv
	s_cbranch_vccnz .LBB40_64
; %bb.63:
	flat_load_b64 v[24:25], v[1:2] offset:256
	v_mul_u32_u24_e32 v15, 33, v5
	s_lshl_b64 s[24:25], s[12:13], 6
	s_delay_alu instid0(SALU_CYCLE_1) | instskip(NEXT) | instid1(VALU_DEP_2)
	v_add_co_u32 v30, vcc_lo, v1, s24
	v_add_lshl_u32 v15, v15, v0, 3
	v_add_co_ci_u32_e32 v31, vcc_lo, s25, v2, vcc_lo
	s_waitcnt vmcnt(0) lgkmcnt(0)
	ds_store_b64 v15, v[24:25]
	flat_load_b64 v[24:25], v[30:31] offset:256
	v_add_co_u32 v30, vcc_lo, v30, s24
	v_add_co_ci_u32_e32 v31, vcc_lo, s25, v31, vcc_lo
	s_waitcnt vmcnt(0) lgkmcnt(0)
	ds_store_b64 v15, v[24:25] offset:2112
	flat_load_b64 v[24:25], v[30:31] offset:256
	v_mad_u64_u32 v[30:31], null, 0xc0, s12, v[1:2]
	s_delay_alu instid0(VALU_DEP_1) | instskip(NEXT) | instid1(VALU_DEP_1)
	v_mov_b32_e32 v1, v31
	v_mad_u64_u32 v[31:32], null, 0xc0, s13, v[1:2]
	s_waitcnt vmcnt(0) lgkmcnt(0)
	ds_store_b64 v15, v[24:25] offset:4224
	flat_load_b64 v[1:2], v[30:31] offset:256
	s_waitcnt vmcnt(0) lgkmcnt(0)
	ds_store_b64 v15, v[1:2] offset:6336
	s_cbranch_execz .LBB40_65
	s_branch .LBB40_82
.LBB40_64:
.LBB40_65:
	v_or_b32_e32 v1, 32, v0
	s_ashr_i32 s21, s20, 31
	v_mul_u32_u24_e32 v24, 33, v5
	s_lshl_b64 s[24:25], s[20:21], 3
	s_sub_i32 s21, s20, 32
	v_lshlrev_b32_e32 v2, 3, v1
	v_cmp_le_i32_e64 s7, s21, v5
	s_delay_alu instid0(VALU_DEP_2) | instskip(SKIP_1) | instid1(VALU_DEP_2)
	v_sub_co_u32 v2, vcc_lo, v13, v2
	v_subrev_co_ci_u32_e32 v15, vcc_lo, 0, v14, vcc_lo
	v_add_co_u32 v2, vcc_lo, v2, s24
	s_delay_alu instid0(VALU_DEP_2) | instskip(NEXT) | instid1(VALU_DEP_2)
	v_add_co_ci_u32_e32 v15, vcc_lo, s25, v15, vcc_lo
	v_add_co_u32 v25, vcc_lo, v2, -8
	s_delay_alu instid0(VALU_DEP_2) | instskip(SKIP_2) | instid1(VALU_DEP_3)
	v_add_co_ci_u32_e32 v2, vcc_lo, -1, v15, vcc_lo
	v_cmp_gt_i32_e32 vcc_lo, s20, v1
	v_add_lshl_u32 v15, v24, v0, 3
	v_dual_cndmask_b32 v2, v2, v14 :: v_dual_cndmask_b32 v1, v25, v13
	s_and_saveexec_b32 s28, s7
	s_delay_alu instid0(SALU_CYCLE_1)
	s_xor_b32 s7, exec_lo, s28
	s_cbranch_execz .LBB40_67
; %bb.66:
	v_mov_b32_e32 v24, 0
	s_delay_alu instid0(VALU_DEP_1)
	v_mov_b32_e32 v25, v24
	ds_store_b64 v15, v[24:25]
.LBB40_67:
	s_and_not1_saveexec_b32 s7, s7
	s_cbranch_execz .LBB40_69
; %bb.68:
	flat_load_b64 v[24:25], v[1:2]
	s_waitcnt vmcnt(0) lgkmcnt(0)
	ds_store_b64 v15, v[24:25]
.LBB40_69:
	s_or_b32 exec_lo, exec_lo, s7
	v_add_nc_u32_e32 v24, 8, v5
	s_delay_alu instid0(VALU_DEP_1) | instskip(NEXT) | instid1(VALU_DEP_1)
	v_cmp_le_i32_e64 s7, s21, v24
	s_and_saveexec_b32 s28, s7
	s_delay_alu instid0(SALU_CYCLE_1)
	s_xor_b32 s7, exec_lo, s28
	s_cbranch_execz .LBB40_71
; %bb.70:
	v_mul_u32_u24_e32 v25, 33, v24
	v_mov_b32_e32 v24, 0
	s_delay_alu instid0(VALU_DEP_2) | instskip(NEXT) | instid1(VALU_DEP_2)
	v_add_lshl_u32 v30, v25, v0, 3
	v_mov_b32_e32 v25, v24
	ds_store_b64 v30, v[24:25]
.LBB40_71:
	s_and_not1_saveexec_b32 s28, s7
	s_cbranch_execz .LBB40_73
; %bb.72:
	s_lshl_b64 s[30:31], s[12:13], 6
	s_delay_alu instid0(SALU_CYCLE_1) | instskip(NEXT) | instid1(VALU_DEP_1)
	v_add_co_u32 v24, s7, v1, s30
	v_add_co_ci_u32_e64 v25, s7, s31, v2, s7
	flat_load_b64 v[24:25], v[24:25]
	s_waitcnt vmcnt(0) lgkmcnt(0)
	ds_store_b64 v15, v[24:25] offset:2112
.LBB40_73:
	s_or_b32 exec_lo, exec_lo, s28
	v_add_nc_u32_e32 v24, 16, v5
	s_delay_alu instid0(VALU_DEP_1) | instskip(NEXT) | instid1(VALU_DEP_1)
	v_cmp_le_i32_e64 s7, s21, v24
	s_and_saveexec_b32 s28, s7
	s_delay_alu instid0(SALU_CYCLE_1)
	s_xor_b32 s7, exec_lo, s28
	s_cbranch_execz .LBB40_75
; %bb.74:
	v_mov_b32_e32 v24, 0
	s_delay_alu instid0(VALU_DEP_1)
	v_mov_b32_e32 v25, v24
	ds_store_b64 v15, v[24:25] offset:4224
.LBB40_75:
	s_and_not1_saveexec_b32 s28, s7
	s_cbranch_execz .LBB40_77
; %bb.76:
	s_lshl_b64 s[30:31], s[12:13], 7
	s_delay_alu instid0(SALU_CYCLE_1) | instskip(NEXT) | instid1(VALU_DEP_1)
	v_add_co_u32 v24, s7, v1, s30
	v_add_co_ci_u32_e64 v25, s7, s31, v2, s7
	flat_load_b64 v[24:25], v[24:25]
	s_waitcnt vmcnt(0) lgkmcnt(0)
	ds_store_b64 v15, v[24:25] offset:4224
.LBB40_77:
	s_or_b32 exec_lo, exec_lo, s28
	v_add_nc_u32_e32 v24, 24, v5
	s_delay_alu instid0(VALU_DEP_1) | instskip(NEXT) | instid1(VALU_DEP_1)
	v_cmp_le_i32_e64 s7, s21, v24
	s_and_saveexec_b32 s21, s7
	s_delay_alu instid0(SALU_CYCLE_1)
	s_xor_b32 s7, exec_lo, s21
	s_cbranch_execz .LBB40_79
; %bb.78:
	v_mov_b32_e32 v24, 0
	s_delay_alu instid0(VALU_DEP_1)
	v_mov_b32_e32 v25, v24
	ds_store_b64 v15, v[24:25] offset:6336
                                        ; implicit-def: $vgpr15
.LBB40_79:
	s_and_not1_saveexec_b32 s7, s7
	s_cbranch_execz .LBB40_81
; %bb.80:
	v_mad_u64_u32 v[24:25], null, 0xc0, s12, v[1:2]
	s_delay_alu instid0(VALU_DEP_1) | instskip(NEXT) | instid1(VALU_DEP_1)
	v_mad_u64_u32 v[30:31], null, 0xc0, s13, v[25:26]
	v_mov_b32_e32 v25, v30
	flat_load_b64 v[24:25], v[24:25]
	s_waitcnt vmcnt(0) lgkmcnt(0)
	ds_store_b64 v15, v[24:25] offset:6336
.LBB40_81:
	s_or_b32 exec_lo, exec_lo, s7
	v_lshlrev_b32_e32 v15, 3, v0
	s_delay_alu instid0(VALU_DEP_1) | instskip(NEXT) | instid1(VALU_DEP_1)
	v_add_co_u32 v1, s7, v1, v15
	v_add_co_ci_u32_e64 v2, s7, 0, v2, s7
	s_delay_alu instid0(VALU_DEP_2) | instskip(NEXT) | instid1(VALU_DEP_1)
	v_sub_co_u32 v1, s7, v1, s24
	v_subrev_co_ci_u32_e64 v2, s7, s25, v2, s7
	s_delay_alu instid0(VALU_DEP_2) | instskip(NEXT) | instid1(VALU_DEP_1)
	v_add_co_u32 v1, s7, 0x108, v1
	v_add_co_ci_u32_e64 v2, s7, 0, v2, s7
	s_delay_alu instid0(VALU_DEP_1)
	v_dual_cndmask_b32 v13, v1, v13 :: v_dual_cndmask_b32 v14, v2, v14
.LBB40_82:
	v_add_nc_u32_e32 v3, 0x2380, v3
	s_lshl_b64 s[24:25], s[12:13], 5
	s_waitcnt lgkmcnt(0)
	s_barrier
	buffer_gl0_inv
	s_and_saveexec_b32 s7, s3
	s_delay_alu instid0(SALU_CYCLE_1)
	s_xor_b32 s3, exec_lo, s7
	s_cbranch_execnz .LBB40_95
; %bb.83:
	s_and_not1_saveexec_b32 s3, s3
	s_cbranch_execnz .LBB40_98
.LBB40_84:
	s_or_b32 exec_lo, exec_lo, s3
	s_and_saveexec_b32 s3, s4
	s_delay_alu instid0(SALU_CYCLE_1)
	s_xor_b32 s3, exec_lo, s3
	s_cbranch_execnz .LBB40_99
.LBB40_85:
	s_and_not1_saveexec_b32 s3, s3
	s_cbranch_execnz .LBB40_102
.LBB40_86:
	s_or_b32 exec_lo, exec_lo, s3
	s_and_saveexec_b32 s3, s5
	s_delay_alu instid0(SALU_CYCLE_1)
	s_xor_b32 s3, exec_lo, s3
	s_cbranch_execnz .LBB40_103
.LBB40_87:
	s_and_not1_saveexec_b32 s3, s3
	s_cbranch_execnz .LBB40_106
.LBB40_88:
	s_or_b32 exec_lo, exec_lo, s3
	s_and_saveexec_b32 s3, s6
	s_delay_alu instid0(SALU_CYCLE_1)
	s_xor_b32 s3, exec_lo, s3
	s_cbranch_execnz .LBB40_107
.LBB40_89:
	s_and_not1_saveexec_b32 s3, s3
	s_cbranch_execz .LBB40_91
.LBB40_90:
	ds_load_b64 v[1:2], v9 offset:528
	s_waitcnt lgkmcnt(0)
	v_xor_b32_e32 v2, 0x80000000, v2
	ds_store_b64 v4, v[1:2] offset:24
.LBB40_91:
	s_or_b32 exec_lo, exec_lo, s3
	s_waitcnt lgkmcnt(0)
	s_barrier
	buffer_gl0_inv
	ds_load_b64 v[1:2], v11
	ds_load_b128 v[30:33], v3 offset:256
	ds_load_2addr_b64 v[34:37], v9 offset1:33
	ds_load_b128 v[38:41], v3 offset:272
	ds_load_b64 v[6:7], v9 offset:528
	v_cmp_eq_u32_e64 s3, 1, v5
	s_waitcnt lgkmcnt(0)
	s_barrier
	buffer_gl0_inv
	v_dual_mul_f32 v8, v31, v2 :: v_dual_mul_f32 v9, v33, v35
	v_dual_mul_f32 v2, v30, v2 :: v_dual_mul_f32 v11, v39, v37
	;; [unrolled: 1-line block ×3, first 2 shown]
	s_delay_alu instid0(VALU_DEP_3) | instskip(NEXT) | instid1(VALU_DEP_3)
	v_fma_f32 v8, v30, v1, -v8
	v_dual_fmac_f32 v2, v31, v1 :: v_dual_mul_f32 v1, v41, v7
	v_fma_f32 v9, v32, v34, -v9
	s_delay_alu instid0(VALU_DEP_4) | instskip(NEXT) | instid1(VALU_DEP_4)
	v_dual_fmac_f32 v10, v33, v34 :: v_dual_mul_f32 v7, v40, v7
	v_add_f32_e32 v8, 0, v8
	s_delay_alu instid0(VALU_DEP_4) | instskip(SKIP_1) | instid1(VALU_DEP_3)
	v_dual_add_f32 v2, 0, v2 :: v_dual_fmac_f32 v15, v39, v36
	v_fma_f32 v11, v38, v36, -v11
	v_dual_fmac_f32 v7, v41, v6 :: v_dual_add_f32 v8, v8, v9
	s_delay_alu instid0(VALU_DEP_3) | instskip(SKIP_1) | instid1(VALU_DEP_3)
	v_add_f32_e32 v2, v2, v10
	v_fma_f32 v1, v40, v6, -v1
	v_add_f32_e32 v6, v8, v11
	s_delay_alu instid0(VALU_DEP_3) | instskip(NEXT) | instid1(VALU_DEP_2)
	v_add_f32_e32 v2, v2, v15
	v_add_f32_e32 v1, v6, v1
	s_delay_alu instid0(VALU_DEP_2)
	v_add_f32_e32 v2, v2, v7
	ds_store_b64 v29, v[1:2]
	s_waitcnt lgkmcnt(0)
	s_barrier
	buffer_gl0_inv
	s_and_saveexec_b32 s4, s3
	s_cbranch_execz .LBB40_93
; %bb.92:
	v_lshlrev_b32_e32 v1, 3, v28
	ds_load_2addr_b64 v[6:9], v1 offset1:7
	ds_load_2addr_b64 v[30:33], v1 offset0:1 offset1:2
	ds_load_2addr_b64 v[34:37], v1 offset0:3 offset1:4
	;; [unrolled: 1-line block ×3, first 2 shown]
	s_waitcnt lgkmcnt(2)
	v_dual_add_f32 v2, v31, v7 :: v_dual_add_f32 v1, v30, v6
	s_delay_alu instid0(VALU_DEP_1) | instskip(SKIP_1) | instid1(VALU_DEP_1)
	v_dual_add_f32 v2, v2, v33 :: v_dual_add_f32 v1, v1, v32
	s_waitcnt lgkmcnt(1)
	v_dual_add_f32 v2, v2, v35 :: v_dual_add_f32 v1, v1, v34
	s_delay_alu instid0(VALU_DEP_1) | instskip(SKIP_1) | instid1(VALU_DEP_1)
	v_dual_add_f32 v2, v2, v37 :: v_dual_add_f32 v1, v1, v36
	s_waitcnt lgkmcnt(0)
	v_dual_add_f32 v2, v2, v39 :: v_dual_add_f32 v1, v1, v38
	s_delay_alu instid0(VALU_DEP_1) | instskip(NEXT) | instid1(VALU_DEP_1)
	v_dual_add_f32 v2, v2, v41 :: v_dual_add_f32 v1, v1, v40
	v_dual_add_f32 v19, v2, v9 :: v_dual_add_f32 v18, v1, v8
.LBB40_93:
	s_or_b32 exec_lo, exec_lo, s4
	s_lshl_b64 s[4:5], s[24:25], 3
	v_cmp_ne_u32_e32 vcc_lo, 1, v12
	v_sub_co_u32 v24, s4, v13, s4
	s_delay_alu instid0(VALU_DEP_1)
	v_subrev_co_ci_u32_e64 v25, s4, s5, v14, s4
	s_barrier
	buffer_gl0_inv
	s_cbranch_vccnz .LBB40_110
; %bb.94:
	flat_load_b64 v[1:2], v[24:25]
	v_mad_u32_u24 v6, v5, 33, v0
	s_lshl_b64 s[4:5], s[12:13], 6
	s_delay_alu instid0(SALU_CYCLE_1) | instskip(NEXT) | instid1(VALU_DEP_2)
	v_add_co_u32 v7, vcc_lo, v24, s4
	v_lshlrev_b32_e32 v13, 3, v6
	v_add_co_ci_u32_e32 v8, vcc_lo, s5, v25, vcc_lo
	s_waitcnt vmcnt(0) lgkmcnt(0)
	ds_store_b64 v13, v[1:2]
	flat_load_b64 v[1:2], v[7:8]
	v_add_co_u32 v7, vcc_lo, v7, s4
	v_add_co_ci_u32_e32 v8, vcc_lo, s5, v8, vcc_lo
	s_waitcnt vmcnt(0) lgkmcnt(0)
	ds_store_b64 v13, v[1:2] offset:2112
	flat_load_b64 v[1:2], v[7:8]
	v_mad_u64_u32 v[7:8], null, 0xc0, s12, v[24:25]
	s_delay_alu instid0(VALU_DEP_1) | instskip(SKIP_1) | instid1(VALU_DEP_2)
	v_mad_u64_u32 v[9:10], null, 0xc0, s13, v[8:9]
	v_add_nc_u32_e32 v10, 0x318, v6
	v_dual_mov_b32 v8, v9 :: v_dual_add_nc_u32 v9, 24, v5
	s_waitcnt vmcnt(0) lgkmcnt(0)
	ds_store_b64 v13, v[1:2] offset:4224
	flat_load_b64 v[11:12], v[7:8]
	v_add_nc_u32_e32 v7, 8, v5
	v_add_nc_u32_e32 v1, 0x108, v6
	v_add_nc_u32_e32 v8, 16, v5
	v_add_nc_u32_e32 v2, 0x210, v6
	s_waitcnt vmcnt(0) lgkmcnt(0)
	ds_store_b64 v13, v[11:12] offset:6336
	s_cbranch_execz .LBB40_111
	s_branch .LBB40_128
.LBB40_95:
	s_mov_b32 s7, exec_lo
	v_cmpx_eq_u32_e64 v6, v0
	s_cbranch_execz .LBB40_97
; %bb.96:
	v_mul_u32_u24_e32 v1, 34, v0
	s_delay_alu instid0(VALU_DEP_1)
	v_dual_mov_b32 v2, 0 :: v_dual_lshlrev_b32 v1, 3, v1
	ds_store_b32 v1, v2 offset:4
.LBB40_97:
	s_or_b32 exec_lo, exec_lo, s7
	s_and_not1_saveexec_b32 s3, s3
	s_cbranch_execz .LBB40_84
.LBB40_98:
	ds_load_b64 v[1:2], v11
	s_waitcnt lgkmcnt(0)
	v_xor_b32_e32 v2, 0x80000000, v2
	ds_store_b64 v4, v[1:2]
	s_or_b32 exec_lo, exec_lo, s3
	s_and_saveexec_b32 s3, s4
	s_delay_alu instid0(SALU_CYCLE_1)
	s_xor_b32 s3, exec_lo, s3
	s_cbranch_execz .LBB40_85
.LBB40_99:
	s_mov_b32 s4, exec_lo
	v_cmpx_eq_u32_e64 v7, v0
	s_cbranch_execz .LBB40_101
; %bb.100:
	v_mul_u32_u24_e32 v1, 34, v0
	s_delay_alu instid0(VALU_DEP_1)
	v_dual_mov_b32 v2, 0 :: v_dual_lshlrev_b32 v1, 3, v1
	ds_store_b32 v1, v2 offset:4
.LBB40_101:
	s_or_b32 exec_lo, exec_lo, s4
	s_and_not1_saveexec_b32 s3, s3
	s_cbranch_execz .LBB40_86
.LBB40_102:
	ds_load_b64 v[1:2], v9
	s_waitcnt lgkmcnt(0)
	v_xor_b32_e32 v2, 0x80000000, v2
	ds_store_b64 v4, v[1:2] offset:8
	s_or_b32 exec_lo, exec_lo, s3
	s_and_saveexec_b32 s3, s5
	s_delay_alu instid0(SALU_CYCLE_1)
	s_xor_b32 s3, exec_lo, s3
	s_cbranch_execz .LBB40_87
.LBB40_103:
	s_mov_b32 s4, exec_lo
	v_cmpx_eq_u32_e64 v8, v0
	s_cbranch_execz .LBB40_105
; %bb.104:
	v_mul_u32_u24_e32 v1, 34, v0
	s_delay_alu instid0(VALU_DEP_1)
	v_dual_mov_b32 v2, 0 :: v_dual_lshlrev_b32 v1, 3, v1
	ds_store_b32 v1, v2 offset:4
.LBB40_105:
	s_or_b32 exec_lo, exec_lo, s4
	s_and_not1_saveexec_b32 s3, s3
	s_cbranch_execz .LBB40_88
.LBB40_106:
	ds_load_b64 v[1:2], v9 offset:264
	s_waitcnt lgkmcnt(0)
	v_xor_b32_e32 v2, 0x80000000, v2
	ds_store_b64 v4, v[1:2] offset:16
	s_or_b32 exec_lo, exec_lo, s3
	s_and_saveexec_b32 s3, s6
	s_delay_alu instid0(SALU_CYCLE_1)
	s_xor_b32 s3, exec_lo, s3
	s_cbranch_execz .LBB40_89
.LBB40_107:
	s_mov_b32 s4, exec_lo
	v_cmpx_eq_u32_e64 v10, v0
	s_cbranch_execz .LBB40_109
; %bb.108:
	v_mul_u32_u24_e32 v1, 34, v0
	s_delay_alu instid0(VALU_DEP_1)
	v_dual_mov_b32 v2, 0 :: v_dual_lshlrev_b32 v1, 3, v1
	ds_store_b32 v1, v2 offset:4
.LBB40_109:
	s_or_b32 exec_lo, exec_lo, s4
	s_and_not1_saveexec_b32 s3, s3
	s_cbranch_execnz .LBB40_90
	s_branch .LBB40_91
.LBB40_110:
                                        ; implicit-def: $vgpr6
                                        ; implicit-def: $vgpr7
                                        ; implicit-def: $vgpr1
                                        ; implicit-def: $vgpr8
                                        ; implicit-def: $vgpr2
                                        ; implicit-def: $vgpr9
                                        ; implicit-def: $vgpr10
.LBB40_111:
	v_or_b32_e32 v1, 32, v0
	s_ashr_i32 s21, s20, 31
	v_cmp_le_i32_e64 s4, s20, v5
	s_lshl_b64 s[6:7], s[20:21], 3
	s_delay_alu instid0(VALU_DEP_2) | instskip(NEXT) | instid1(VALU_DEP_1)
	v_lshlrev_b32_e32 v2, 3, v1
	v_sub_co_u32 v2, vcc_lo, v24, v2
	v_subrev_co_ci_u32_e32 v6, vcc_lo, 0, v25, vcc_lo
	s_delay_alu instid0(VALU_DEP_2) | instskip(NEXT) | instid1(VALU_DEP_2)
	v_add_co_u32 v2, vcc_lo, v2, s6
	v_add_co_ci_u32_e32 v6, vcc_lo, s7, v6, vcc_lo
	s_delay_alu instid0(VALU_DEP_2) | instskip(NEXT) | instid1(VALU_DEP_2)
	v_add_co_u32 v7, vcc_lo, v2, -8
	v_add_co_ci_u32_e32 v2, vcc_lo, -1, v6, vcc_lo
	v_cmp_gt_i32_e32 vcc_lo, s20, v1
	v_mad_u32_u24 v6, v5, 33, v0
	s_delay_alu instid0(VALU_DEP_3) | instskip(NEXT) | instid1(VALU_DEP_2)
	v_dual_cndmask_b32 v1, v7, v24 :: v_dual_cndmask_b32 v2, v2, v25
	v_lshlrev_b32_e32 v11, 3, v6
	s_and_saveexec_b32 s5, s4
	s_delay_alu instid0(SALU_CYCLE_1)
	s_xor_b32 s4, exec_lo, s5
	s_cbranch_execz .LBB40_113
; %bb.112:
	v_mov_b32_e32 v7, 0
	s_delay_alu instid0(VALU_DEP_1)
	v_mov_b32_e32 v8, v7
	ds_store_b64 v11, v[7:8]
.LBB40_113:
	s_and_not1_saveexec_b32 s4, s4
	s_cbranch_execz .LBB40_115
; %bb.114:
	flat_load_b64 v[7:8], v[1:2]
	s_waitcnt vmcnt(0) lgkmcnt(0)
	ds_store_b64 v11, v[7:8]
.LBB40_115:
	s_or_b32 exec_lo, exec_lo, s4
	v_add_nc_u32_e32 v7, 8, v5
	s_delay_alu instid0(VALU_DEP_1) | instskip(NEXT) | instid1(VALU_DEP_1)
	v_cmp_le_i32_e64 s4, s20, v7
	s_and_saveexec_b32 s5, s4
	s_delay_alu instid0(SALU_CYCLE_1)
	s_xor_b32 s4, exec_lo, s5
	s_cbranch_execz .LBB40_117
; %bb.116:
	v_mul_u32_u24_e32 v9, 33, v7
	v_mov_b32_e32 v8, 0
	s_delay_alu instid0(VALU_DEP_2) | instskip(NEXT) | instid1(VALU_DEP_2)
	v_add_lshl_u32 v10, v9, v0, 3
	v_mov_b32_e32 v9, v8
	ds_store_b64 v10, v[8:9]
.LBB40_117:
	s_and_not1_saveexec_b32 s5, s4
	s_cbranch_execz .LBB40_119
; %bb.118:
	s_lshl_b64 s[24:25], s[12:13], 6
	s_delay_alu instid0(SALU_CYCLE_1) | instskip(NEXT) | instid1(VALU_DEP_1)
	v_add_co_u32 v8, s4, v1, s24
	v_add_co_ci_u32_e64 v9, s4, s25, v2, s4
	flat_load_b64 v[8:9], v[8:9]
	s_waitcnt vmcnt(0) lgkmcnt(0)
	ds_store_b64 v11, v[8:9] offset:2112
.LBB40_119:
	s_or_b32 exec_lo, exec_lo, s5
	v_add_nc_u32_e32 v8, 16, v5
	s_delay_alu instid0(VALU_DEP_1) | instskip(NEXT) | instid1(VALU_DEP_1)
	v_cmp_le_i32_e64 s4, s20, v8
	s_and_saveexec_b32 s5, s4
	s_delay_alu instid0(SALU_CYCLE_1)
	s_xor_b32 s4, exec_lo, s5
	s_cbranch_execz .LBB40_121
; %bb.120:
	v_mul_u32_u24_e32 v10, 33, v8
	v_mov_b32_e32 v9, 0
	s_delay_alu instid0(VALU_DEP_2) | instskip(NEXT) | instid1(VALU_DEP_2)
	v_add_lshl_u32 v12, v10, v0, 3
	v_mov_b32_e32 v10, v9
	ds_store_b64 v12, v[9:10]
.LBB40_121:
	s_and_not1_saveexec_b32 s5, s4
	s_cbranch_execz .LBB40_123
; %bb.122:
	s_lshl_b64 s[24:25], s[12:13], 7
	s_delay_alu instid0(SALU_CYCLE_1) | instskip(NEXT) | instid1(VALU_DEP_1)
	v_add_co_u32 v9, s4, v1, s24
	v_add_co_ci_u32_e64 v10, s4, s25, v2, s4
	flat_load_b64 v[9:10], v[9:10]
	s_waitcnt vmcnt(0) lgkmcnt(0)
	ds_store_b64 v11, v[9:10] offset:4224
.LBB40_123:
	s_or_b32 exec_lo, exec_lo, s5
	v_add_nc_u32_e32 v9, 24, v5
                                        ; implicit-def: $vgpr10
	s_delay_alu instid0(VALU_DEP_1) | instskip(NEXT) | instid1(VALU_DEP_1)
	v_cmp_le_i32_e64 s4, s20, v9
	s_and_saveexec_b32 s5, s4
	s_delay_alu instid0(SALU_CYCLE_1)
	s_xor_b32 s4, exec_lo, s5
	s_cbranch_execz .LBB40_125
; %bb.124:
	v_mov_b32_e32 v12, 0
	s_delay_alu instid0(VALU_DEP_1)
	v_dual_mov_b32 v13, v12 :: v_dual_add_nc_u32 v10, 0x318, v6
	ds_store_b64 v11, v[12:13] offset:6336
                                        ; implicit-def: $vgpr11
.LBB40_125:
	s_and_not1_saveexec_b32 s4, s4
	s_cbranch_execz .LBB40_127
; %bb.126:
	v_mad_u64_u32 v[12:13], null, 0xc0, s12, v[1:2]
	s_delay_alu instid0(VALU_DEP_1) | instskip(NEXT) | instid1(VALU_DEP_1)
	v_mov_b32_e32 v10, v13
	v_mad_u64_u32 v[13:14], null, 0xc0, s13, v[10:11]
	v_add_nc_u32_e32 v10, 0x318, v6
	flat_load_b64 v[12:13], v[12:13]
	s_waitcnt vmcnt(0) lgkmcnt(0)
	ds_store_b64 v11, v[12:13] offset:6336
.LBB40_127:
	s_or_b32 exec_lo, exec_lo, s4
	v_lshlrev_b32_e32 v0, 3, v0
	s_delay_alu instid0(VALU_DEP_1) | instskip(NEXT) | instid1(VALU_DEP_1)
	v_add_co_u32 v0, s4, v1, v0
	v_add_co_ci_u32_e64 v1, s4, 0, v2, s4
	s_delay_alu instid0(VALU_DEP_2) | instskip(NEXT) | instid1(VALU_DEP_1)
	v_sub_co_u32 v0, s4, v0, s6
	v_subrev_co_ci_u32_e64 v1, s4, s7, v1, s4
	s_delay_alu instid0(VALU_DEP_2) | instskip(NEXT) | instid1(VALU_DEP_1)
	v_add_co_u32 v0, s4, 0x108, v0
	v_add_co_ci_u32_e64 v2, s4, 0, v1, s4
	s_delay_alu instid0(VALU_DEP_2) | instskip(NEXT) | instid1(VALU_DEP_2)
	v_dual_cndmask_b32 v24, v0, v24 :: v_dual_add_nc_u32 v1, 0x108, v6
	v_dual_cndmask_b32 v25, v2, v25 :: v_dual_add_nc_u32 v2, 0x210, v6
.LBB40_128:
	v_lshlrev_b32_e32 v0, 3, v6
	v_lshlrev_b32_e32 v5, 3, v5
	s_delay_alu instid0(VALU_DEP_4)
	v_lshlrev_b32_e32 v1, 3, v1
	v_lshlrev_b32_e32 v6, 3, v7
	;; [unrolled: 1-line block ×6, first 2 shown]
	s_waitcnt lgkmcnt(0)
	s_barrier
	buffer_gl0_inv
	ds_load_b64 v[30:31], v0
	ds_load_b64 v[32:33], v5 offset:9088
	ds_load_b64 v[34:35], v1
	ds_load_b64 v[36:37], v6 offset:9088
	;; [unrolled: 2-line block ×4, first 2 shown]
	ds_load_b128 v[8:11], v3 offset:256
	ds_load_b128 v[0:3], v3 offset:272
	ds_load_2addr_b64 v[12:15], v4 offset1:1
	ds_load_2addr_b64 v[4:7], v4 offset0:2 offset1:3
	s_waitcnt lgkmcnt(0)
	s_barrier
	buffer_gl0_inv
	v_mul_f32_e32 v46, v33, v31
	v_mul_f32_e32 v31, v32, v31
	;; [unrolled: 1-line block ×4, first 2 shown]
	s_delay_alu instid0(VALU_DEP_4) | instskip(NEXT) | instid1(VALU_DEP_4)
	v_fma_f32 v32, v32, v30, -v46
	v_dual_fmac_f32 v31, v33, v30 :: v_dual_mul_f32 v30, v40, v39
	v_mul_f32_e32 v35, v36, v35
	v_fma_f32 v33, v36, v34, -v47
	s_delay_alu instid0(VALU_DEP_3) | instskip(NEXT) | instid1(VALU_DEP_4)
	v_dual_add_f32 v32, 0, v32 :: v_dual_add_f32 v31, 0, v31
	v_fmac_f32_e32 v30, v41, v38
	s_delay_alu instid0(VALU_DEP_4) | instskip(SKIP_2) | instid1(VALU_DEP_3)
	v_dual_fmac_f32 v35, v37, v34 :: v_dual_mul_f32 v34, v44, v43
	v_mul_f32_e32 v49, v45, v43
	v_fma_f32 v36, v40, v38, -v48
	v_dual_add_f32 v32, v32, v33 :: v_dual_add_f32 v31, v31, v35
	s_delay_alu instid0(VALU_DEP_4) | instskip(NEXT) | instid1(VALU_DEP_4)
	v_fmac_f32_e32 v34, v45, v42
	v_fma_f32 v33, v44, v42, -v49
	s_delay_alu instid0(VALU_DEP_3) | instskip(NEXT) | instid1(VALU_DEP_1)
	v_dual_add_f32 v32, v32, v36 :: v_dual_add_f32 v31, v31, v30
	v_dual_add_f32 v30, v32, v33 :: v_dual_add_f32 v31, v31, v34
	ds_store_b64 v29, v[30:31]
	s_waitcnt lgkmcnt(0)
	s_barrier
	buffer_gl0_inv
	s_and_saveexec_b32 s4, s3
	s_cbranch_execz .LBB40_130
; %bb.129:
	v_lshlrev_b32_e32 v42, 3, v28
	ds_load_2addr_b64 v[30:33], v42 offset1:1
	ds_load_2addr_b64 v[34:37], v42 offset0:2 offset1:3
	s_waitcnt lgkmcnt(1)
	v_dual_add_f32 v19, v19, v31 :: v_dual_add_f32 v18, v18, v30
	ds_load_2addr_b64 v[38:41], v42 offset0:4 offset1:5
	v_dual_add_f32 v19, v19, v33 :: v_dual_add_f32 v18, v18, v32
	ds_load_2addr_b64 v[30:33], v42 offset0:6 offset1:7
	s_waitcnt lgkmcnt(2)
	v_dual_add_f32 v19, v19, v35 :: v_dual_add_f32 v18, v18, v34
	s_delay_alu instid0(VALU_DEP_1) | instskip(SKIP_1) | instid1(VALU_DEP_1)
	v_dual_add_f32 v19, v19, v37 :: v_dual_add_f32 v18, v18, v36
	s_waitcnt lgkmcnt(1)
	v_dual_add_f32 v19, v19, v39 :: v_dual_add_f32 v18, v18, v38
	s_delay_alu instid0(VALU_DEP_1) | instskip(SKIP_1) | instid1(VALU_DEP_1)
	v_dual_add_f32 v19, v19, v41 :: v_dual_add_f32 v18, v18, v40
	s_waitcnt lgkmcnt(0)
	v_dual_add_f32 v19, v19, v31 :: v_dual_add_f32 v18, v18, v30
	s_delay_alu instid0(VALU_DEP_1)
	v_dual_add_f32 v19, v19, v33 :: v_dual_add_f32 v18, v18, v32
.LBB40_130:
	s_or_b32 exec_lo, exec_lo, s4
	v_dual_mul_f32 v30, v13, v9 :: v_dual_mul_f32 v31, v15, v11
	v_dual_mul_f32 v15, v15, v10 :: v_dual_mul_f32 v32, v5, v1
	s_delay_alu instid0(VALU_DEP_2) | instskip(SKIP_1) | instid1(VALU_DEP_4)
	v_fmac_f32_e32 v30, v12, v8
	v_mul_f32_e32 v13, v13, v8
	v_fmac_f32_e32 v31, v14, v10
	s_delay_alu instid0(VALU_DEP_4)
	v_fma_f32 v11, v14, v11, -v15
	s_barrier
	v_add_f32_e32 v10, 0, v30
	v_fma_f32 v8, v12, v9, -v13
	v_mul_f32_e32 v9, v7, v3
	v_dual_mul_f32 v7, v7, v2 :: v_dual_fmac_f32 v32, v4, v0
	buffer_gl0_inv
	v_add_f32_e32 v8, 0, v8
	v_dual_mul_f32 v5, v5, v0 :: v_dual_add_f32 v0, v10, v31
	v_fmac_f32_e32 v9, v6, v2
	v_fma_f32 v2, v6, v3, -v7
	s_delay_alu instid0(VALU_DEP_3) | instskip(SKIP_1) | instid1(VALU_DEP_1)
	v_fma_f32 v1, v4, v1, -v5
	v_add_f32_e32 v4, v8, v11
	v_add_f32_e32 v1, v4, v1
	s_delay_alu instid0(VALU_DEP_1) | instskip(NEXT) | instid1(VALU_DEP_1)
	v_dual_add_f32 v0, v0, v32 :: v_dual_add_f32 v1, v1, v2
	v_add_f32_e32 v0, v0, v9
	ds_store_b64 v29, v[0:1]
	s_waitcnt lgkmcnt(0)
	s_barrier
	buffer_gl0_inv
	s_and_saveexec_b32 s3, s2
	s_cbranch_execz .LBB40_132
; %bb.131:
	v_lshlrev_b32_e32 v12, 3, v28
	ds_load_2addr_b64 v[0:3], v12 offset1:1
	ds_load_2addr_b64 v[4:7], v12 offset0:2 offset1:3
	s_waitcnt lgkmcnt(1)
	v_add_f32_e32 v1, v19, v1
	ds_load_2addr_b64 v[8:11], v12 offset0:4 offset1:5
	v_add_f32_e32 v14, v1, v3
	s_waitcnt lgkmcnt(1)
	s_delay_alu instid0(VALU_DEP_1) | instskip(NEXT) | instid1(VALU_DEP_1)
	v_add_f32_e32 v5, v14, v5
	v_dual_add_f32 v0, v18, v0 :: v_dual_add_f32 v5, v5, v7
	s_delay_alu instid0(VALU_DEP_1) | instskip(SKIP_3) | instid1(VALU_DEP_1)
	v_add_f32_e32 v13, v0, v2
	ds_load_2addr_b64 v[0:3], v12 offset0:6 offset1:7
	v_add_f32_e32 v4, v13, v4
	s_waitcnt lgkmcnt(1)
	v_dual_add_f32 v5, v5, v9 :: v_dual_add_f32 v4, v4, v6
	s_delay_alu instid0(VALU_DEP_1) | instskip(SKIP_1) | instid1(VALU_DEP_1)
	v_dual_add_f32 v5, v5, v11 :: v_dual_add_f32 v4, v4, v8
	s_waitcnt lgkmcnt(0)
	v_dual_add_f32 v4, v4, v10 :: v_dual_add_f32 v1, v5, v1
	s_delay_alu instid0(VALU_DEP_1) | instskip(NEXT) | instid1(VALU_DEP_1)
	v_dual_add_f32 v0, v4, v0 :: v_dual_add_f32 v19, v1, v3
	v_add_f32_e32 v18, v0, v2
.LBB40_132:
	s_or_b32 exec_lo, exec_lo, s3
	s_mul_hi_u32 s2, s15, s16
	s_mul_i32 s26, s26, s16
	s_mul_i32 s3, s15, s16
	s_add_i32 s2, s2, s26
	s_mul_hi_u32 s5, s3, s17
	s_mul_i32 s4, s2, s17
	s_mul_i32 s2, s3, s17
	s_add_i32 s3, s5, s4
	s_mul_i32 s4, s14, s15
	s_lshl_b64 s[2:3], s[2:3], 3
	v_cmp_le_i32_e32 vcc_lo, s20, v26
	s_add_u32 s6, s18, s2
	s_addc_u32 s7, s19, s3
	s_ashr_i32 s5, s4, 31
	v_lshlrev_b32_e32 v73, 3, v26
	s_lshl_b64 s[2:3], s[4:5], 3
	s_delay_alu instid0(SALU_CYCLE_1)
	s_add_u32 s6, s6, s2
	s_addc_u32 s7, s7, s3
	s_and_b32 vcc_lo, s27, vcc_lo
	s_cmp_lt_i32 s14, 1
	s_barrier
	buffer_gl0_inv
	s_cbranch_scc1 .LBB40_139
; %bb.133:
	v_lshlrev_b32_e32 v1, 2, v72
	s_ashr_i32 s21, s20, 31
	s_mul_i32 s3, s10, s9
	s_mul_hi_u32 s5, s10, s8
	s_mul_i32 s15, s11, s8
	v_mad_u64_u32 v[2:3], null, v1, s12, 0
	s_mul_i32 s4, s10, s8
	s_lshl_b64 s[10:11], s[20:21], 3
	v_and_b32_e32 v6, 15, v26
	v_lshrrev_b32_e32 v7, 4, v27
	s_add_i32 s3, s5, s3
	v_add_nc_u32_e32 v74, 0x2180, v73
	s_delay_alu instid0(VALU_DEP_4)
	v_mov_b32_e32 v0, v3
	s_add_i32 s5, s3, s15
	v_lshl_add_u32 v81, v72, 5, 0x2180
	s_lshl_b64 s[4:5], s[4:5], 3
	v_mad_u32_u24 v82, 0x860, v72, v73
	v_mad_u64_u32 v[3:4], null, v1, s13, v[0:1]
	v_mov_b32_e32 v1, 0
	v_sub_co_u32 v0, s2, v24, s22
	s_delay_alu instid0(VALU_DEP_1) | instskip(SKIP_1) | instid1(VALU_DEP_4)
	v_subrev_co_ci_u32_e64 v4, s2, s23, v25, s2
	s_mul_i32 s3, s13, 0x68
	v_lshlrev_b64 v[2:3], 3, v[2:3]
	s_delay_alu instid0(VALU_DEP_3) | instskip(NEXT) | instid1(VALU_DEP_1)
	v_sub_co_u32 v0, s2, v0, v22
	v_sub_co_ci_u32_e64 v4, s2, v4, v23, s2
	s_delay_alu instid0(VALU_DEP_2) | instskip(NEXT) | instid1(VALU_DEP_1)
	v_add_co_u32 v0, s2, v0, v2
	v_add_co_ci_u32_e64 v2, s2, v4, v3, s2
	s_delay_alu instid0(VALU_DEP_2) | instskip(NEXT) | instid1(VALU_DEP_1)
	v_add_co_u32 v0, s2, 0xffffff00, v0
	v_add_co_ci_u32_e64 v2, s2, -1, v2, s2
	s_delay_alu instid0(VALU_DEP_2) | instskip(NEXT) | instid1(VALU_DEP_1)
	v_add_co_u32 v4, s2, v0, s10
	v_add_co_ci_u32_e64 v5, s2, s11, v2, s2
	v_add_co_u32 v0, s2, v0, v73
	s_delay_alu instid0(VALU_DEP_1) | instskip(NEXT) | instid1(VALU_DEP_4)
	v_add_co_ci_u32_e64 v2, s2, 0, v2, s2
	v_add_co_u32 v4, s2, v4, -8
	s_delay_alu instid0(VALU_DEP_1) | instskip(SKIP_1) | instid1(VALU_DEP_3)
	v_add_co_ci_u32_e64 v5, s2, -1, v5, s2
	v_and_b32_e32 v8, 48, v26
	v_dual_cndmask_b32 v4, v0, v4 :: v_dual_add_nc_u32 v75, 0x2380, v73
	s_delay_alu instid0(VALU_DEP_3) | instskip(SKIP_1) | instid1(VALU_DEP_4)
	v_cndmask_b32_e32 v5, v2, v5, vcc_lo
	v_or_b32_e32 v0, 0x78, v73
	v_lshlrev_b32_e32 v3, 3, v8
	v_lshlrev_b32_e32 v2, 5, v7
	v_sub_co_u32 v76, s2, v20, s4
	s_delay_alu instid0(VALU_DEP_1) | instskip(NEXT) | instid1(VALU_DEP_4)
	v_subrev_co_ci_u32_e64 v77, s2, s5, v21, s2
	v_mad_u32_u24 v78, 0x218, v6, v3
	v_lshlrev_b32_e32 v3, 3, v7
	v_cmp_gt_u32_e64 s2, 64, v27
	v_mad_u32_u24 v79, 0x218, v6, v0
	v_mad_u32_u24 v80, 0x218, v6, v2
	v_or_b32_e32 v84, v8, v6
	v_mad_u32_u24 v83, 0x218, v6, v3
	s_mul_hi_u32 s10, s12, 0x68
	s_lshl_b64 s[4:5], s[12:13], 3
	s_add_i32 s10, s10, s3
	s_mul_i32 s11, s12, 0x68
	s_mov_b32 s12, 0
	s_branch .LBB40_135
.LBB40_134:                             ;   in Loop: Header=BB40_135 Depth=1
	s_or_b32 exec_lo, exec_lo, s13
	v_mul_f32_e32 v0, v3, v11
	v_dual_mul_f32 v11, v2, v11 :: v_dual_mul_f32 v86, v9, v29
	v_mul_f32_e32 v85, v7, v27
	v_mul_f32_e32 v27, v6, v27
	s_delay_alu instid0(VALU_DEP_4)
	v_fma_f32 v0, v2, v10, -v0
	v_mul_f32_e32 v2, v8, v29
	v_mul_f32_e32 v29, v5, v25
	;; [unrolled: 1-line block ×3, first 2 shown]
	v_fma_f32 v6, v6, v26, -v85
	v_dual_add_f32 v0, v18, v0 :: v_dual_fmac_f32 v11, v3, v10
	v_mul_f32_e32 v18, v23, v41
	v_mul_f32_e32 v41, v22, v41
	v_fma_f32 v3, v8, v28, -v86
	s_delay_alu instid0(VALU_DEP_4) | instskip(SKIP_3) | instid1(VALU_DEP_4)
	v_add_f32_e32 v0, v0, v6
	v_dual_mul_f32 v6, v21, v45 :: v_dual_fmac_f32 v27, v7, v26
	v_dual_add_f32 v7, v19, v11 :: v_dual_fmac_f32 v2, v9, v28
	v_fma_f32 v4, v4, v24, -v29
	v_add_f32_e32 v0, v0, v3
	v_fma_f32 v8, v22, v40, -v18
	s_delay_alu instid0(VALU_DEP_4)
	v_add_f32_e32 v7, v7, v27
	v_mul_f32_e32 v3, v20, v45
	v_fmac_f32_e32 v41, v23, v40
	v_add_f32_e32 v0, v0, v4
	v_dual_mul_f32 v4, v15, v43 :: v_dual_fmac_f32 v25, v5, v24
	v_add_f32_e32 v2, v7, v2
	v_fma_f32 v5, v20, v44, -v6
	s_delay_alu instid0(VALU_DEP_4) | instskip(SKIP_1) | instid1(VALU_DEP_4)
	v_add_f32_e32 v0, v0, v8
	v_mul_f32_e32 v6, v13, v39
	v_dual_fmac_f32 v3, v21, v44 :: v_dual_add_f32 v2, v2, v25
	v_fma_f32 v4, v14, v42, -v4
	s_delay_alu instid0(VALU_DEP_4) | instskip(NEXT) | instid1(VALU_DEP_4)
	v_dual_add_f32 v0, v0, v5 :: v_dual_mul_f32 v5, v14, v43
	v_fma_f32 v6, v12, v38, -v6
	s_delay_alu instid0(VALU_DEP_4)
	v_add_f32_e32 v2, v2, v41
	s_add_i32 s14, s14, -1
	s_add_i32 s12, s12, 64
	v_fmac_f32_e32 v5, v15, v42
	s_cmp_eq_u32 s14, 0
	v_add_f32_e32 v2, v2, v3
	v_mul_f32_e32 v3, v12, v39
	v_add_f32_e32 v0, v0, v4
	v_mul_f32_e32 v4, v37, v57
	s_waitcnt_vscnt null, 0x0
	s_delay_alu instid0(VALU_DEP_3) | instskip(SKIP_4) | instid1(VALU_DEP_3)
	v_dual_add_f32 v2, v2, v5 :: v_dual_fmac_f32 v3, v13, v38
	v_mul_f32_e32 v5, v36, v57
	v_add_f32_e32 v0, v0, v6
	v_mul_f32_e32 v6, v35, v63
	s_barrier
	v_dual_add_f32 v2, v2, v3 :: v_dual_fmac_f32 v5, v37, v56
	v_mul_f32_e32 v3, v34, v63
	v_fma_f32 v4, v36, v56, -v4
	v_mul_f32_e32 v7, v48, v67
	buffer_gl0_inv
	v_dual_add_f32 v2, v2, v5 :: v_dual_fmac_f32 v3, v35, v62
	v_mul_f32_e32 v5, v32, v61
	v_add_f32_e32 v0, v0, v4
	v_fma_f32 v4, v34, v62, -v6
	s_delay_alu instid0(VALU_DEP_4) | instskip(NEXT) | instid1(VALU_DEP_4)
	v_dual_fmac_f32 v7, v49, v66 :: v_dual_add_f32 v2, v2, v3
	v_fmac_f32_e32 v5, v33, v60
	s_delay_alu instid0(VALU_DEP_3) | instskip(NEXT) | instid1(VALU_DEP_2)
	v_dual_mul_f32 v3, v55, v65 :: v_dual_add_f32 v0, v0, v4
	v_add_f32_e32 v2, v2, v5
	v_mul_f32_e32 v5, v54, v65
	v_mul_f32_e32 v6, v33, v61
	s_delay_alu instid0(VALU_DEP_4) | instskip(NEXT) | instid1(VALU_DEP_3)
	v_fma_f32 v3, v54, v64, -v3
	v_fmac_f32_e32 v5, v55, v64
	s_delay_alu instid0(VALU_DEP_3) | instskip(SKIP_1) | instid1(VALU_DEP_2)
	v_fma_f32 v4, v32, v60, -v6
	v_mul_f32_e32 v6, v31, v59
	v_add_f32_e32 v0, v0, v4
	s_delay_alu instid0(VALU_DEP_2) | instskip(SKIP_1) | instid1(VALU_DEP_2)
	v_fma_f32 v4, v30, v58, -v6
	v_mul_f32_e32 v6, v30, v59
	v_add_f32_e32 v0, v0, v4
	v_mul_f32_e32 v4, v53, v71
	s_delay_alu instid0(VALU_DEP_3) | instskip(NEXT) | instid1(VALU_DEP_3)
	v_fmac_f32_e32 v6, v31, v58
	v_add_f32_e32 v0, v0, v3
	s_delay_alu instid0(VALU_DEP_3) | instskip(NEXT) | instid1(VALU_DEP_3)
	v_fma_f32 v3, v52, v70, -v4
	v_add_f32_e32 v2, v2, v6
	v_mul_f32_e32 v4, v52, v71
	v_mul_f32_e32 v6, v51, v69
	s_delay_alu instid0(VALU_DEP_4) | instskip(NEXT) | instid1(VALU_DEP_3)
	v_dual_add_f32 v0, v0, v3 :: v_dual_mul_f32 v3, v50, v69
	v_fmac_f32_e32 v4, v53, v70
	v_add_f32_e32 v2, v2, v5
	s_delay_alu instid0(VALU_DEP_4) | instskip(NEXT) | instid1(VALU_DEP_4)
	v_fma_f32 v5, v50, v68, -v6
	v_dual_mul_f32 v6, v49, v67 :: v_dual_fmac_f32 v3, v51, v68
	s_delay_alu instid0(VALU_DEP_3) | instskip(NEXT) | instid1(VALU_DEP_3)
	v_add_f32_e32 v2, v2, v4
	v_add_f32_e32 v0, v0, v5
	s_delay_alu instid0(VALU_DEP_3) | instskip(NEXT) | instid1(VALU_DEP_3)
	v_fma_f32 v4, v48, v66, -v6
	v_add_f32_e32 v2, v2, v3
	s_delay_alu instid0(VALU_DEP_2) | instskip(SKIP_1) | instid1(VALU_DEP_3)
	v_add_f32_e32 v18, v0, v4
	v_add_co_u32 v4, s3, v46, s11
	v_add_f32_e32 v19, v2, v7
	v_add_co_ci_u32_e64 v5, s3, s10, v47, s3
	s_cbranch_scc1 .LBB40_139
.LBB40_135:                             ; =>This Inner Loop Header: Depth=1
	s_and_saveexec_b32 s13, s1
	s_cbranch_execz .LBB40_137
; %bb.136:                              ;   in Loop: Header=BB40_135 Depth=1
	s_mul_i32 s3, s12, s9
	s_mul_hi_u32 s15, s12, s8
	s_mul_i32 s16, s12, s8
	s_add_i32 s17, s15, s3
	s_delay_alu instid0(SALU_CYCLE_1) | instskip(NEXT) | instid1(SALU_CYCLE_1)
	s_lshl_b64 s[16:17], s[16:17], 3
	v_add_co_u32 v2, s3, v76, s16
	s_delay_alu instid0(VALU_DEP_1)
	v_add_co_ci_u32_e64 v3, s3, s17, v77, s3
	flat_load_b64 v[2:3], v[2:3]
	s_waitcnt vmcnt(0) lgkmcnt(0)
	ds_store_b64 v74, v[2:3]
.LBB40_137:                             ;   in Loop: Header=BB40_135 Depth=1
	s_or_b32 exec_lo, exec_lo, s13
	s_waitcnt lgkmcnt(0)
	s_barrier
	buffer_gl0_inv
	flat_load_b64 v[2:3], v[4:5]
	v_add_co_u32 v4, s3, v4, s4
	s_delay_alu instid0(VALU_DEP_1) | instskip(SKIP_2) | instid1(VALU_DEP_1)
	v_add_co_ci_u32_e64 v5, s3, s5, v5, s3
	flat_load_b64 v[6:7], v[4:5]
	v_add_co_u32 v4, s3, v4, s4
	v_add_co_ci_u32_e64 v5, s3, s5, v5, s3
	s_delay_alu instid0(VALU_DEP_2) | instskip(NEXT) | instid1(VALU_DEP_1)
	v_add_co_u32 v12, s3, v4, s4
	v_add_co_ci_u32_e64 v13, s3, s5, v5, s3
	s_clause 0x1
	flat_load_b64 v[8:9], v[4:5]
	flat_load_b64 v[4:5], v[12:13]
	ds_load_b64 v[14:15], v75
	ds_load_b64 v[10:11], v81
	v_add_co_u32 v12, s3, v12, s11
	s_delay_alu instid0(VALU_DEP_1) | instskip(NEXT) | instid1(VALU_DEP_2)
	v_add_co_ci_u32_e64 v13, s3, s10, v13, s3
	v_add_co_u32 v30, s3, v12, s4
	s_delay_alu instid0(VALU_DEP_1) | instskip(NEXT) | instid1(VALU_DEP_2)
	v_add_co_ci_u32_e64 v31, s3, s5, v13, s3
	v_add_co_u32 v32, s3, v30, s4
	s_delay_alu instid0(VALU_DEP_1) | instskip(SKIP_3) | instid1(VALU_DEP_2)
	v_add_co_ci_u32_e64 v33, s3, s5, v31, s3
	s_waitcnt vmcnt(3) lgkmcnt(1)
	v_mul_f32_e32 v20, v3, v15
	v_mul_f32_e32 v0, v3, v14
	v_fmac_f32_e32 v20, v2, v14
	s_delay_alu instid0(VALU_DEP_2)
	v_fma_f32 v21, v2, v15, -v0
	s_waitcnt vmcnt(2)
	v_mul_f32_e32 v0, v7, v14
	v_mul_f32_e32 v22, v7, v15
	ds_store_b64 v82, v[20:21]
	ds_load_b64 v[26:27], v81 offset:8
	v_fma_f32 v23, v6, v15, -v0
	v_fmac_f32_e32 v22, v6, v14
	s_waitcnt vmcnt(1)
	v_mul_f32_e32 v20, v9, v15
	v_mul_f32_e32 v21, v9, v14
	s_waitcnt vmcnt(0)
	v_mul_f32_e32 v34, v5, v15
	v_mul_f32_e32 v0, v5, v14
	ds_store_b64 v82, v[22:23] offset:536
	v_fmac_f32_e32 v20, v8, v14
	v_fma_f32 v21, v8, v15, -v21
	v_fmac_f32_e32 v34, v4, v14
	v_fma_f32 v35, v4, v15, -v0
	ds_load_b64 v[28:29], v81 offset:16
	ds_store_b64 v82, v[20:21] offset:1072
	ds_load_b64 v[24:25], v81 offset:24
	ds_store_b64 v82, v[34:35] offset:1608
	v_add_co_u32 v34, s3, v32, s4
	s_waitcnt lgkmcnt(0)
	s_barrier
	buffer_gl0_inv
	ds_load_2addr_b64 v[85:88], v80 offset1:1
	ds_load_2addr_b64 v[89:92], v80 offset0:2 offset1:3
	s_waitcnt lgkmcnt(0)
	s_barrier
	buffer_gl0_inv
	flat_load_b64 v[22:23], v[12:13]
	v_add_co_ci_u32_e64 v35, s3, s5, v33, s3
	s_clause 0x1
	flat_load_b64 v[20:21], v[30:31]
	flat_load_b64 v[14:15], v[32:33]
	;; [unrolled: 1-line block ×3, first 2 shown]
	ds_load_b64 v[30:31], v75
	ds_load_b64 v[40:41], v81 offset:128
	v_add_co_u32 v32, s3, v34, s11
	s_delay_alu instid0(VALU_DEP_1) | instskip(NEXT) | instid1(VALU_DEP_2)
	v_add_co_ci_u32_e64 v33, s3, s10, v35, s3
	v_add_co_u32 v34, s3, v32, s4
	s_delay_alu instid0(VALU_DEP_1) | instskip(SKIP_1) | instid1(VALU_DEP_3)
	v_add_co_ci_u32_e64 v35, s3, s5, v33, s3
	v_add_f32_e32 v113, 0, v86
	v_add_co_u32 v46, s3, v34, s4
	s_delay_alu instid0(VALU_DEP_1)
	v_add_co_ci_u32_e64 v47, s3, s5, v35, s3
	s_waitcnt vmcnt(3) lgkmcnt(1)
	v_mul_f32_e32 v36, v23, v31
	v_mul_f32_e32 v0, v23, v30
	s_waitcnt vmcnt(2)
	v_mul_f32_e32 v38, v21, v31
	s_waitcnt vmcnt(1)
	v_dual_mul_f32 v39, v21, v30 :: v_dual_mul_f32 v48, v15, v31
	v_mul_f32_e32 v42, v15, v30
	s_waitcnt vmcnt(0)
	v_mul_f32_e32 v50, v13, v31
	v_mul_f32_e32 v43, v13, v30
	v_fmac_f32_e32 v36, v22, v30
	v_fma_f32 v37, v22, v31, -v0
	v_fmac_f32_e32 v38, v20, v30
	v_fma_f32 v39, v20, v31, -v39
	;; [unrolled: 2-line block ×4, first 2 shown]
	ds_store_b64 v82, v[36:37]
	ds_load_b64 v[44:45], v81 offset:136
	ds_store_b64 v82, v[38:39] offset:536
	ds_load_b64 v[42:43], v81 offset:144
	ds_store_b64 v82, v[48:49] offset:1072
	v_add_co_u32 v48, s3, v46, s4
	ds_load_b64 v[38:39], v81 offset:152
	ds_store_b64 v82, v[50:51] offset:1608
	s_waitcnt lgkmcnt(0)
	s_barrier
	buffer_gl0_inv
	ds_load_2addr_b64 v[93:96], v80 offset1:1
	ds_load_2addr_b64 v[97:100], v80 offset0:2 offset1:3
	s_waitcnt lgkmcnt(0)
	s_barrier
	buffer_gl0_inv
	flat_load_b64 v[36:37], v[32:33]
	v_add_co_ci_u32_e64 v49, s3, s5, v47, s3
	flat_load_b64 v[34:35], v[34:35]
	flat_load_b64 v[32:33], v[46:47]
	;; [unrolled: 1-line block ×3, first 2 shown]
	ds_load_b64 v[46:47], v75
	ds_load_b64 v[56:57], v81 offset:256
	v_add_co_u32 v48, s3, v48, s11
	s_delay_alu instid0(VALU_DEP_1) | instskip(NEXT) | instid1(VALU_DEP_2)
	v_add_co_ci_u32_e64 v49, s3, s10, v49, s3
	v_add_co_u32 v50, s3, v48, s4
	s_delay_alu instid0(VALU_DEP_1) | instskip(SKIP_1) | instid1(VALU_DEP_3)
	v_add_co_ci_u32_e64 v51, s3, s5, v49, s3
	v_add_f32_e32 v93, 0, v93
	v_add_co_u32 v64, s3, v50, s4
	s_delay_alu instid0(VALU_DEP_1) | instskip(NEXT) | instid1(VALU_DEP_3)
	v_add_co_ci_u32_e64 v65, s3, s5, v51, s3
	v_dual_add_f32 v93, v93, v95 :: v_dual_add_f32 v94, 0, v94
	s_waitcnt vmcnt(3) lgkmcnt(1)
	v_mul_f32_e32 v52, v37, v47
	v_mul_f32_e32 v0, v37, v46
	s_waitcnt vmcnt(2)
	v_mul_f32_e32 v54, v35, v47
	s_waitcnt vmcnt(1)
	v_dual_mul_f32 v55, v35, v46 :: v_dual_mul_f32 v58, v33, v47
	s_waitcnt vmcnt(0)
	v_dual_mul_f32 v59, v33, v46 :: v_dual_mul_f32 v66, v31, v47
	v_mul_f32_e32 v60, v31, v46
	v_fmac_f32_e32 v52, v36, v46
	v_fma_f32 v53, v36, v47, -v0
	v_fmac_f32_e32 v54, v34, v46
	v_fma_f32 v55, v34, v47, -v55
	;; [unrolled: 2-line block ×4, first 2 shown]
	ds_store_b64 v82, v[52:53]
	ds_load_b64 v[62:63], v81 offset:264
	ds_store_b64 v82, v[54:55] offset:536
	v_add_co_u32 v46, s3, v64, s4
	ds_load_b64 v[60:61], v81 offset:272
	ds_store_b64 v82, v[58:59] offset:1072
	ds_load_b64 v[58:59], v81 offset:280
	ds_store_b64 v82, v[66:67] offset:1608
	s_waitcnt lgkmcnt(0)
	s_barrier
	buffer_gl0_inv
	ds_load_2addr_b64 v[101:104], v80 offset1:1
	ds_load_2addr_b64 v[105:108], v80 offset0:2 offset1:3
	s_waitcnt lgkmcnt(0)
	s_barrier
	buffer_gl0_inv
	flat_load_b64 v[54:55], v[48:49]
	v_add_co_ci_u32_e64 v47, s3, s5, v65, s3
	flat_load_b64 v[52:53], v[50:51]
	flat_load_b64 v[50:51], v[64:65]
	;; [unrolled: 1-line block ×3, first 2 shown]
	ds_load_b64 v[66:67], v75
	ds_load_b64 v[64:65], v81 offset:384
	v_add_f32_e32 v0, 0, v85
	s_delay_alu instid0(VALU_DEP_1) | instskip(NEXT) | instid1(VALU_DEP_1)
	v_add_f32_e32 v0, v0, v87
	v_add_f32_e32 v0, v0, v89
	s_delay_alu instid0(VALU_DEP_1) | instskip(SKIP_2) | instid1(VALU_DEP_2)
	v_add_f32_e32 v89, v0, v91
	v_add_f32_e32 v91, v93, v97
	v_dual_add_f32 v93, 0, v102 :: v_dual_add_f32 v0, v94, v96
	v_add_f32_e32 v91, v91, v99
	s_delay_alu instid0(VALU_DEP_2) | instskip(SKIP_1) | instid1(VALU_DEP_1)
	v_dual_add_f32 v93, v93, v104 :: v_dual_add_f32 v0, v0, v98
	s_waitcnt vmcnt(3) lgkmcnt(1)
	v_dual_add_f32 v93, v93, v106 :: v_dual_mul_f32 v68, v55, v67
	v_mul_f32_e32 v69, v55, v66
	s_waitcnt vmcnt(2)
	v_mul_f32_e32 v85, v53, v67
	s_waitcnt vmcnt(1)
	v_dual_mul_f32 v70, v53, v66 :: v_dual_mul_f32 v109, v51, v67
	v_mul_f32_e32 v71, v51, v66
	s_waitcnt vmcnt(0)
	v_mul_f32_e32 v111, v49, v67
	v_mul_f32_e32 v112, v49, v66
	v_fma_f32 v69, v54, v67, -v69
	v_fmac_f32_e32 v68, v54, v66
	v_fmac_f32_e32 v85, v52, v66
	v_fma_f32 v86, v52, v67, -v70
	v_fmac_f32_e32 v109, v50, v66
	v_fma_f32 v110, v50, v67, -v71
	;; [unrolled: 2-line block ×3, first 2 shown]
	ds_store_b64 v82, v[68:69]
	ds_load_b64 v[70:71], v81 offset:392
	ds_store_b64 v82, v[85:86] offset:536
	ds_load_b64 v[68:69], v81 offset:400
	ds_store_b64 v82, v[109:110] offset:1072
	;; [unrolled: 2-line block ×3, first 2 shown]
	s_waitcnt lgkmcnt(0)
	s_barrier
	buffer_gl0_inv
	ds_load_2addr_b64 v[109:112], v80 offset1:1
	v_add_f32_e32 v85, v113, v88
	s_delay_alu instid0(VALU_DEP_1)
	v_add_f32_e32 v90, v85, v90
	ds_load_2addr_b64 v[85:88], v80 offset0:2 offset1:3
	s_waitcnt lgkmcnt(0)
	s_barrier
	buffer_gl0_inv
	v_add_f32_e32 v90, v90, v92
	v_add_f32_e32 v92, 0, v101
	s_delay_alu instid0(VALU_DEP_1) | instskip(SKIP_1) | instid1(VALU_DEP_2)
	v_add_f32_e32 v92, v92, v103
	v_dual_add_f32 v94, 0, v109 :: v_dual_add_f32 v95, 0, v110
	v_add_f32_e32 v96, v92, v105
	v_add_f32_e32 v92, v0, v100
	s_delay_alu instid0(VALU_DEP_3) | instskip(NEXT) | instid1(VALU_DEP_1)
	v_dual_add_f32 v94, v94, v111 :: v_dual_add_f32 v95, v95, v112
	v_dual_add_f32 v94, v94, v85 :: v_dual_add_f32 v95, v95, v86
	s_delay_alu instid0(VALU_DEP_4) | instskip(NEXT) | instid1(VALU_DEP_2)
	v_dual_add_f32 v85, v96, v107 :: v_dual_add_f32 v86, v93, v108
	v_dual_add_f32 v87, v94, v87 :: v_dual_add_f32 v88, v95, v88
	ds_store_2addr_b64 v83, v[89:90], v[91:92] offset1:16
	ds_store_2addr_b64 v83, v[85:86], v[87:88] offset0:32 offset1:48
	s_waitcnt lgkmcnt(0)
	s_barrier
	buffer_gl0_inv
	s_and_saveexec_b32 s13, s2
	s_cbranch_execz .LBB40_134
; %bb.138:                              ;   in Loop: Header=BB40_135 Depth=1
	ds_load_b64 v[96:97], v78
	ds_load_2addr_b64 v[85:88], v78 offset0:1 offset1:2
	ds_load_2addr_b64 v[89:92], v78 offset0:3 offset1:4
	s_waitcnt lgkmcnt(1)
	v_dual_add_f32 v0, v85, v96 :: v_dual_add_f32 v85, v86, v97
	ds_load_2addr_b64 v[93:96], v78 offset0:5 offset1:6
	v_dual_add_f32 v0, v0, v87 :: v_dual_add_f32 v97, v85, v88
	ds_load_2addr_b64 v[85:88], v78 offset0:7 offset1:8
	s_waitcnt lgkmcnt(2)
	v_dual_add_f32 v0, v0, v89 :: v_dual_add_f32 v89, v97, v90
	s_delay_alu instid0(VALU_DEP_1) | instskip(SKIP_3) | instid1(VALU_DEP_1)
	v_dual_add_f32 v0, v0, v91 :: v_dual_add_f32 v97, v89, v92
	ds_load_2addr_b64 v[89:92], v78 offset0:9 offset1:10
	s_waitcnt lgkmcnt(2)
	v_dual_add_f32 v0, v0, v93 :: v_dual_add_f32 v93, v97, v94
	v_dual_add_f32 v0, v0, v95 :: v_dual_add_f32 v97, v93, v96
	ds_load_2addr_b64 v[93:96], v78 offset0:11 offset1:12
	s_waitcnt lgkmcnt(2)
	v_dual_add_f32 v0, v0, v85 :: v_dual_add_f32 v85, v97, v86
	s_delay_alu instid0(VALU_DEP_1) | instskip(SKIP_3) | instid1(VALU_DEP_1)
	v_dual_add_f32 v0, v0, v87 :: v_dual_add_f32 v97, v85, v88
	ds_load_2addr_b64 v[85:88], v78 offset0:13 offset1:14
	s_waitcnt lgkmcnt(2)
	v_dual_add_f32 v0, v0, v89 :: v_dual_add_f32 v89, v97, v90
	v_dual_add_f32 v0, v0, v91 :: v_dual_add_f32 v91, v89, v92
	ds_load_b64 v[89:90], v79
	s_waitcnt lgkmcnt(2)
	v_dual_add_f32 v0, v0, v93 :: v_dual_add_f32 v91, v91, v94
	s_delay_alu instid0(VALU_DEP_1) | instskip(SKIP_1) | instid1(VALU_DEP_1)
	v_dual_add_f32 v0, v0, v95 :: v_dual_add_f32 v91, v91, v96
	s_waitcnt lgkmcnt(1)
	v_dual_add_f32 v85, v0, v85 :: v_dual_add_f32 v86, v91, v86
	s_delay_alu instid0(VALU_DEP_1) | instskip(NEXT) | instid1(VALU_DEP_2)
	v_dual_add_f32 v87, v85, v87 :: v_dual_add_nc_u32 v0, s12, v84
	v_add_f32_e32 v88, v86, v88
	s_delay_alu instid0(VALU_DEP_2) | instskip(SKIP_1) | instid1(VALU_DEP_2)
	v_lshlrev_b64 v[85:86], 3, v[0:1]
	s_waitcnt lgkmcnt(0)
	v_dual_add_f32 v87, v87, v89 :: v_dual_add_f32 v88, v88, v90
	s_delay_alu instid0(VALU_DEP_2) | instskip(NEXT) | instid1(VALU_DEP_1)
	v_add_co_u32 v85, s3, s6, v85
	v_add_co_ci_u32_e64 v86, s3, s7, v86, s3
	global_store_b64 v[85:86], v[87:88], off
	s_branch .LBB40_134
.LBB40_139:
	v_mad_u32_u24 v0, 0x218, v72, v73
	s_or_b32 s0, s0, vcc_lo
	s_delay_alu instid0(SALU_CYCLE_1)
	s_xor_b32 s0, s0, -1
	ds_store_b64 v0, v[18:19]
	s_waitcnt lgkmcnt(0)
	s_barrier
	buffer_gl0_inv
	s_and_saveexec_b32 s1, s0
	s_cbranch_execz .LBB40_141
; %bb.140:
	ds_load_2addr_b64 v[0:3], v73 offset1:67
	ds_load_2addr_b64 v[4:7], v73 offset0:134 offset1:201
	s_waitcnt lgkmcnt(1)
	v_dual_add_f32 v0, v2, v0 :: v_dual_add_f32 v1, v3, v1
	s_waitcnt lgkmcnt(0)
	s_delay_alu instid0(VALU_DEP_1) | instskip(SKIP_1) | instid1(VALU_DEP_2)
	v_dual_add_f32 v2, v0, v4 :: v_dual_add_f32 v3, v1, v5
	v_lshlrev_b64 v[0:1], 3, v[16:17]
	v_dual_add_f32 v2, v2, v6 :: v_dual_add_f32 v3, v3, v7
	s_delay_alu instid0(VALU_DEP_2) | instskip(NEXT) | instid1(VALU_DEP_3)
	v_add_co_u32 v0, vcc_lo, s6, v0
	v_add_co_ci_u32_e32 v1, vcc_lo, s7, v1, vcc_lo
	global_store_b64 v[0:1], v[2:3], off
.LBB40_141:
	s_nop 0
	s_sendmsg sendmsg(MSG_DEALLOC_VGPRS)
	s_endpgm
	.section	.rodata,"a",@progbits
	.p2align	6, 0x0
	.amdhsa_kernel _ZL26rocblas_hemvn_kernel_lowerILb1ELi64ELi4ELi33ELi32ELi16ElPK19rocblas_complex_numIfEPKS3_PS1_EviT6_lT7_lT5_lS8_lS9_lS7_lT8_i
		.amdhsa_group_segment_fixed_size 9600
		.amdhsa_private_segment_fixed_size 0
		.amdhsa_kernarg_size 376
		.amdhsa_user_sgpr_count 14
		.amdhsa_user_sgpr_dispatch_ptr 0
		.amdhsa_user_sgpr_queue_ptr 0
		.amdhsa_user_sgpr_kernarg_segment_ptr 1
		.amdhsa_user_sgpr_dispatch_id 0
		.amdhsa_user_sgpr_private_segment_size 0
		.amdhsa_wavefront_size32 1
		.amdhsa_uses_dynamic_stack 0
		.amdhsa_enable_private_segment 0
		.amdhsa_system_sgpr_workgroup_id_x 1
		.amdhsa_system_sgpr_workgroup_id_y 0
		.amdhsa_system_sgpr_workgroup_id_z 1
		.amdhsa_system_sgpr_workgroup_info 0
		.amdhsa_system_vgpr_workitem_id 1
		.amdhsa_next_free_vgpr 114
		.amdhsa_next_free_sgpr 32
		.amdhsa_reserve_vcc 1
		.amdhsa_float_round_mode_32 0
		.amdhsa_float_round_mode_16_64 0
		.amdhsa_float_denorm_mode_32 3
		.amdhsa_float_denorm_mode_16_64 3
		.amdhsa_dx10_clamp 1
		.amdhsa_ieee_mode 1
		.amdhsa_fp16_overflow 0
		.amdhsa_workgroup_processor_mode 1
		.amdhsa_memory_ordered 1
		.amdhsa_forward_progress 0
		.amdhsa_shared_vgpr_count 0
		.amdhsa_exception_fp_ieee_invalid_op 0
		.amdhsa_exception_fp_denorm_src 0
		.amdhsa_exception_fp_ieee_div_zero 0
		.amdhsa_exception_fp_ieee_overflow 0
		.amdhsa_exception_fp_ieee_underflow 0
		.amdhsa_exception_fp_ieee_inexact 0
		.amdhsa_exception_int_div_zero 0
	.end_amdhsa_kernel
	.section	.text._ZL26rocblas_hemvn_kernel_lowerILb1ELi64ELi4ELi33ELi32ELi16ElPK19rocblas_complex_numIfEPKS3_PS1_EviT6_lT7_lT5_lS8_lS9_lS7_lT8_i,"axG",@progbits,_ZL26rocblas_hemvn_kernel_lowerILb1ELi64ELi4ELi33ELi32ELi16ElPK19rocblas_complex_numIfEPKS3_PS1_EviT6_lT7_lT5_lS8_lS9_lS7_lT8_i,comdat
.Lfunc_end40:
	.size	_ZL26rocblas_hemvn_kernel_lowerILb1ELi64ELi4ELi33ELi32ELi16ElPK19rocblas_complex_numIfEPKS3_PS1_EviT6_lT7_lT5_lS8_lS9_lS7_lT8_i, .Lfunc_end40-_ZL26rocblas_hemvn_kernel_lowerILb1ELi64ELi4ELi33ELi32ELi16ElPK19rocblas_complex_numIfEPKS3_PS1_EviT6_lT7_lT5_lS8_lS9_lS7_lT8_i
                                        ; -- End function
	.section	.AMDGPU.csdata,"",@progbits
; Kernel info:
; codeLenInByte = 9060
; NumSgprs: 34
; NumVgprs: 114
; ScratchSize: 0
; MemoryBound: 1
; FloatMode: 240
; IeeeMode: 1
; LDSByteSize: 9600 bytes/workgroup (compile time only)
; SGPRBlocks: 4
; VGPRBlocks: 14
; NumSGPRsForWavesPerEU: 34
; NumVGPRsForWavesPerEU: 114
; Occupancy: 12
; WaveLimiterHint : 1
; COMPUTE_PGM_RSRC2:SCRATCH_EN: 0
; COMPUTE_PGM_RSRC2:USER_SGPR: 14
; COMPUTE_PGM_RSRC2:TRAP_HANDLER: 0
; COMPUTE_PGM_RSRC2:TGID_X_EN: 1
; COMPUTE_PGM_RSRC2:TGID_Y_EN: 0
; COMPUTE_PGM_RSRC2:TGID_Z_EN: 1
; COMPUTE_PGM_RSRC2:TIDIG_COMP_CNT: 1
	.section	.text._ZL36rocblas_hemvn_kernel_lower_block_sumILi64ElPK19rocblas_complex_numIfEPKPS1_S1_EviT1_lS7_lT2_lT0_lPT3_i,"axG",@progbits,_ZL36rocblas_hemvn_kernel_lower_block_sumILi64ElPK19rocblas_complex_numIfEPKPS1_S1_EviT1_lS7_lT2_lT0_lPT3_i,comdat
	.globl	_ZL36rocblas_hemvn_kernel_lower_block_sumILi64ElPK19rocblas_complex_numIfEPKPS1_S1_EviT1_lS7_lT2_lT0_lPT3_i ; -- Begin function _ZL36rocblas_hemvn_kernel_lower_block_sumILi64ElPK19rocblas_complex_numIfEPKPS1_S1_EviT1_lS7_lT2_lT0_lPT3_i
	.p2align	8
	.type	_ZL36rocblas_hemvn_kernel_lower_block_sumILi64ElPK19rocblas_complex_numIfEPKPS1_S1_EviT1_lS7_lT2_lT0_lPT3_i,@function
_ZL36rocblas_hemvn_kernel_lower_block_sumILi64ElPK19rocblas_complex_numIfEPKPS1_S1_EviT1_lS7_lT2_lT0_lPT3_i: ; @_ZL36rocblas_hemvn_kernel_lower_block_sumILi64ElPK19rocblas_complex_numIfEPKPS1_S1_EviT1_lS7_lT2_lT0_lPT3_i
; %bb.0:
	s_load_b256 s[16:23], s[0:1], 0x8
	s_mov_b32 s12, s15
	s_mov_b32 s13, 0
	s_waitcnt lgkmcnt(0)
	s_mul_i32 s3, s15, s19
	s_mul_hi_u32 s4, s15, s18
	s_mul_i32 s2, s15, s18
	s_add_i32 s3, s4, s3
	s_mul_i32 s4, s15, s23
	s_lshl_b64 s[2:3], s[2:3], 3
	s_delay_alu instid0(SALU_CYCLE_1)
	s_add_u32 s2, s16, s2
	s_addc_u32 s3, s17, s3
	s_load_b64 s[10:11], s[2:3], 0x0
	s_mul_hi_u32 s3, s15, s22
	s_mul_i32 s2, s15, s22
	s_add_i32 s3, s3, s4
	s_delay_alu instid0(SALU_CYCLE_1) | instskip(NEXT) | instid1(SALU_CYCLE_1)
	s_lshl_b64 s[2:3], s[2:3], 3
	s_add_u32 s2, s20, s2
	s_addc_u32 s3, s21, s3
	s_load_b64 s[8:9], s[2:3], 0x0
	s_waitcnt lgkmcnt(0)
	s_or_b32 s2, s10, s11
	s_delay_alu instid0(SALU_CYCLE_1) | instskip(NEXT) | instid1(SALU_CYCLE_1)
	s_bitset0_b32 s2, 31
	s_cmp_eq_u32 s2, 0
	s_cselect_b32 s15, -1, 0
	s_cmp_lg_u32 s2, 0
	s_mov_b32 s2, -1
	s_cbranch_scc1 .LBB41_2
; %bb.1:
	v_cmp_neq_f32_e64 s2, s8, 1.0
	v_cmp_neq_f32_e64 s3, s9, 0
	s_delay_alu instid0(VALU_DEP_1)
	s_or_b32 s2, s2, s3
.LBB41_2:
	s_delay_alu instid0(SALU_CYCLE_1)
	s_and_not1_b32 vcc_lo, exec_lo, s2
	s_cbranch_vccnz .LBB41_19
; %bb.3:
	s_clause 0x1
	s_load_b64 s[2:3], s[0:1], 0x28
	s_load_b32 s16, s[0:1], 0x0
	s_lshl_b64 s[18:19], s[12:13], 3
	s_load_b128 s[4:7], s[0:1], 0x30
	v_lshl_or_b32 v0, s14, 6, v0
	s_waitcnt lgkmcnt(0)
	s_add_u32 s2, s2, s18
	s_addc_u32 s3, s3, s19
	s_lshl_b64 s[4:5], s[4:5], 3
	s_load_b64 s[18:19], s[2:3], 0x0
	v_cmp_gt_i32_e64 s2, s16, v0
	s_waitcnt lgkmcnt(0)
	s_add_u32 s3, s18, s4
	s_addc_u32 s4, s19, s5
	s_and_not1_b32 vcc_lo, exec_lo, s15
	s_mov_b32 s5, -1
	s_cbranch_vccnz .LBB41_9
; %bb.4:
	s_and_saveexec_b32 s5, s2
	s_cbranch_execz .LBB41_8
; %bb.5:
	v_ashrrev_i32_e32 v1, 31, v0
	v_mul_lo_u32 v3, v0, s7
	v_cmp_neq_f32_e64 s2, s8, 0
	v_cmp_neq_f32_e64 s13, s9, 0
	s_delay_alu instid0(VALU_DEP_4) | instskip(SKIP_1) | instid1(VALU_DEP_3)
	v_mul_lo_u32 v4, v1, s6
	v_mad_u64_u32 v[1:2], null, v0, s6, 0
	s_or_b32 s2, s2, s13
	s_delay_alu instid0(SALU_CYCLE_1) | instskip(NEXT) | instid1(VALU_DEP_1)
	s_and_not1_b32 vcc_lo, exec_lo, s2
	v_add3_u32 v2, v2, v3, v4
	v_dual_mov_b32 v3, 0 :: v_dual_mov_b32 v4, 0
	s_delay_alu instid0(VALU_DEP_2)
	v_lshlrev_b64 v[1:2], 3, v[1:2]
	s_cbranch_vccnz .LBB41_7
; %bb.6:
	s_delay_alu instid0(VALU_DEP_1) | instskip(NEXT) | instid1(VALU_DEP_2)
	v_add_co_u32 v3, vcc_lo, s3, v1
	v_add_co_ci_u32_e32 v4, vcc_lo, s4, v2, vcc_lo
	global_load_b64 v[5:6], v[3:4], off
	s_waitcnt vmcnt(0)
	v_mul_f32_e32 v4, s8, v6
	s_delay_alu instid0(VALU_DEP_1) | instskip(NEXT) | instid1(VALU_DEP_1)
	v_dual_mul_f32 v3, s9, v6 :: v_dual_fmac_f32 v4, s9, v5
	v_fma_f32 v3, v5, s8, -v3
.LBB41_7:
	s_delay_alu instid0(VALU_DEP_1) | instskip(NEXT) | instid1(VALU_DEP_2)
	v_add_co_u32 v1, vcc_lo, s3, v1
	v_add_co_ci_u32_e32 v2, vcc_lo, s4, v2, vcc_lo
	global_store_b64 v[1:2], v[3:4], off
.LBB41_8:
	s_or_b32 exec_lo, exec_lo, s5
	s_mov_b32 s5, 0
.LBB41_9:
	s_delay_alu instid0(SALU_CYCLE_1)
	s_and_not1_b32 vcc_lo, exec_lo, s5
	s_cbranch_vccnz .LBB41_19
; %bb.10:
	s_mov_b32 s2, exec_lo
	v_cmpx_gt_i32_e64 s16, v0
	s_cbranch_execz .LBB41_19
; %bb.11:
	s_load_b32 s2, s[0:1], 0x58
	v_dual_mov_b32 v3, 0 :: v_dual_mov_b32 v4, 0
	s_waitcnt lgkmcnt(0)
	s_cmp_ge_i32 s14, s2
	s_cbranch_scc1 .LBB41_14
; %bb.12:
	s_load_b64 s[0:1], s[0:1], 0x48
	v_mad_u64_u32 v[1:2], null, s14, s16, v[0:1]
	s_ashr_i32 s17, s16, 31
	s_mul_hi_u32 s5, s16, s12
	s_mul_i32 s13, s17, s12
	s_mul_i32 s12, s16, s12
	s_add_i32 s5, s5, s13
	s_mul_hi_u32 s13, s12, s2
	s_delay_alu instid0(VALU_DEP_1)
	v_ashrrev_i32_e32 v2, 31, v1
	s_mul_i32 s5, s5, s2
	s_mul_i32 s12, s12, s2
	s_add_i32 s13, s13, s5
	v_dual_mov_b32 v3, 0 :: v_dual_mov_b32 v4, 0
	v_lshlrev_b64 v[1:2], 3, v[1:2]
	s_lshl_b64 s[12:13], s[12:13], 3
	s_waitcnt lgkmcnt(0)
	s_add_u32 s0, s0, s12
	s_addc_u32 s1, s1, s13
	s_delay_alu instid0(VALU_DEP_1) | instskip(SKIP_2) | instid1(VALU_DEP_2)
	v_add_co_u32 v1, vcc_lo, s0, v1
	v_add_co_ci_u32_e32 v2, vcc_lo, s1, v2, vcc_lo
	s_lshl_b64 s[0:1], s[16:17], 3
	v_add_co_u32 v1, vcc_lo, v1, 4
	s_delay_alu instid0(VALU_DEP_2)
	v_add_co_ci_u32_e32 v2, vcc_lo, 0, v2, vcc_lo
.LBB41_13:                              ; =>This Inner Loop Header: Depth=1
	global_load_b64 v[5:6], v[1:2], off offset:-4
	v_add_co_u32 v1, vcc_lo, v1, s0
	v_add_co_ci_u32_e32 v2, vcc_lo, s1, v2, vcc_lo
	s_add_i32 s14, s14, 1
	s_delay_alu instid0(SALU_CYCLE_1)
	s_cmp_ge_i32 s14, s2
	s_waitcnt vmcnt(0)
	v_dual_add_f32 v4, v4, v5 :: v_dual_add_f32 v3, v3, v6
	s_cbranch_scc0 .LBB41_13
.LBB41_14:
	v_ashrrev_i32_e32 v1, 31, v0
	s_delay_alu instid0(VALU_DEP_2)
	v_mul_f32_e32 v2, s10, v3
	v_mul_f32_e32 v7, s11, v3
	v_cmp_neq_f32_e64 s0, s8, 0
	v_cmp_neq_f32_e64 s1, s9, 0
	v_mul_lo_u32 v5, v0, s7
	v_fmac_f32_e32 v2, s11, v4
	v_mul_lo_u32 v6, v1, s6
	v_fma_f32 v1, v4, s10, -v7
	s_or_b32 s0, s0, s1
	s_delay_alu instid0(SALU_CYCLE_1)
	s_and_not1_b32 vcc_lo, exec_lo, s0
	s_mov_b32 s0, 0
	s_cbranch_vccz .LBB41_16
; %bb.15:
	v_mad_u64_u32 v[3:4], null, v0, s6, 0
	s_delay_alu instid0(VALU_DEP_1)
	v_add3_u32 v4, v4, v5, v6
	s_and_not1_b32 vcc_lo, exec_lo, s0
	s_cbranch_vccz .LBB41_17
	s_branch .LBB41_18
.LBB41_16:
                                        ; implicit-def: $vgpr3_vgpr4
.LBB41_17:
	v_mad_u64_u32 v[3:4], null, v0, s6, 0
	s_delay_alu instid0(VALU_DEP_1) | instskip(NEXT) | instid1(VALU_DEP_1)
	v_add3_u32 v4, v4, v5, v6
	v_lshlrev_b64 v[5:6], 3, v[3:4]
	s_delay_alu instid0(VALU_DEP_1) | instskip(NEXT) | instid1(VALU_DEP_2)
	v_add_co_u32 v5, vcc_lo, s3, v5
	v_add_co_ci_u32_e32 v6, vcc_lo, s4, v6, vcc_lo
	global_load_b64 v[5:6], v[5:6], off
	s_waitcnt vmcnt(0)
	v_mul_f32_e32 v0, s9, v6
	s_delay_alu instid0(VALU_DEP_1) | instskip(NEXT) | instid1(VALU_DEP_1)
	v_fma_f32 v0, v5, s8, -v0
	v_dual_mul_f32 v6, s8, v6 :: v_dual_add_f32 v1, v1, v0
	s_delay_alu instid0(VALU_DEP_1) | instskip(NEXT) | instid1(VALU_DEP_1)
	v_fmac_f32_e32 v6, s9, v5
	v_add_f32_e32 v2, v2, v6
.LBB41_18:
	s_delay_alu instid0(VALU_DEP_1) | instskip(NEXT) | instid1(VALU_DEP_1)
	v_lshlrev_b64 v[3:4], 3, v[3:4]
	v_add_co_u32 v3, vcc_lo, s3, v3
	s_delay_alu instid0(VALU_DEP_2)
	v_add_co_ci_u32_e32 v4, vcc_lo, s4, v4, vcc_lo
	global_store_b64 v[3:4], v[1:2], off
.LBB41_19:
	s_nop 0
	s_sendmsg sendmsg(MSG_DEALLOC_VGPRS)
	s_endpgm
	.section	.rodata,"a",@progbits
	.p2align	6, 0x0
	.amdhsa_kernel _ZL36rocblas_hemvn_kernel_lower_block_sumILi64ElPK19rocblas_complex_numIfEPKPS1_S1_EviT1_lS7_lT2_lT0_lPT3_i
		.amdhsa_group_segment_fixed_size 0
		.amdhsa_private_segment_fixed_size 0
		.amdhsa_kernarg_size 344
		.amdhsa_user_sgpr_count 14
		.amdhsa_user_sgpr_dispatch_ptr 0
		.amdhsa_user_sgpr_queue_ptr 0
		.amdhsa_user_sgpr_kernarg_segment_ptr 1
		.amdhsa_user_sgpr_dispatch_id 0
		.amdhsa_user_sgpr_private_segment_size 0
		.amdhsa_wavefront_size32 1
		.amdhsa_uses_dynamic_stack 0
		.amdhsa_enable_private_segment 0
		.amdhsa_system_sgpr_workgroup_id_x 1
		.amdhsa_system_sgpr_workgroup_id_y 0
		.amdhsa_system_sgpr_workgroup_id_z 1
		.amdhsa_system_sgpr_workgroup_info 0
		.amdhsa_system_vgpr_workitem_id 0
		.amdhsa_next_free_vgpr 8
		.amdhsa_next_free_sgpr 24
		.amdhsa_reserve_vcc 1
		.amdhsa_float_round_mode_32 0
		.amdhsa_float_round_mode_16_64 0
		.amdhsa_float_denorm_mode_32 3
		.amdhsa_float_denorm_mode_16_64 3
		.amdhsa_dx10_clamp 1
		.amdhsa_ieee_mode 1
		.amdhsa_fp16_overflow 0
		.amdhsa_workgroup_processor_mode 1
		.amdhsa_memory_ordered 1
		.amdhsa_forward_progress 0
		.amdhsa_shared_vgpr_count 0
		.amdhsa_exception_fp_ieee_invalid_op 0
		.amdhsa_exception_fp_denorm_src 0
		.amdhsa_exception_fp_ieee_div_zero 0
		.amdhsa_exception_fp_ieee_overflow 0
		.amdhsa_exception_fp_ieee_underflow 0
		.amdhsa_exception_fp_ieee_inexact 0
		.amdhsa_exception_int_div_zero 0
	.end_amdhsa_kernel
	.section	.text._ZL36rocblas_hemvn_kernel_lower_block_sumILi64ElPK19rocblas_complex_numIfEPKPS1_S1_EviT1_lS7_lT2_lT0_lPT3_i,"axG",@progbits,_ZL36rocblas_hemvn_kernel_lower_block_sumILi64ElPK19rocblas_complex_numIfEPKPS1_S1_EviT1_lS7_lT2_lT0_lPT3_i,comdat
.Lfunc_end41:
	.size	_ZL36rocblas_hemvn_kernel_lower_block_sumILi64ElPK19rocblas_complex_numIfEPKPS1_S1_EviT1_lS7_lT2_lT0_lPT3_i, .Lfunc_end41-_ZL36rocblas_hemvn_kernel_lower_block_sumILi64ElPK19rocblas_complex_numIfEPKPS1_S1_EviT1_lS7_lT2_lT0_lPT3_i
                                        ; -- End function
	.section	.AMDGPU.csdata,"",@progbits
; Kernel info:
; codeLenInByte = 936
; NumSgprs: 26
; NumVgprs: 8
; ScratchSize: 0
; MemoryBound: 0
; FloatMode: 240
; IeeeMode: 1
; LDSByteSize: 0 bytes/workgroup (compile time only)
; SGPRBlocks: 3
; VGPRBlocks: 0
; NumSGPRsForWavesPerEU: 26
; NumVGPRsForWavesPerEU: 8
; Occupancy: 16
; WaveLimiterHint : 1
; COMPUTE_PGM_RSRC2:SCRATCH_EN: 0
; COMPUTE_PGM_RSRC2:USER_SGPR: 14
; COMPUTE_PGM_RSRC2:TRAP_HANDLER: 0
; COMPUTE_PGM_RSRC2:TGID_X_EN: 1
; COMPUTE_PGM_RSRC2:TGID_Y_EN: 0
; COMPUTE_PGM_RSRC2:TGID_Z_EN: 1
; COMPUTE_PGM_RSRC2:TIDIG_COMP_CNT: 0
	.section	.text._ZL26rocblas_hemvn_kernel_lowerILb1ELi64ELi4ELi33ELi32ELi16EiPK19rocblas_complex_numIfEPKS3_PS1_EviT6_lT7_lT5_lS8_lS9_lS7_lT8_i,"axG",@progbits,_ZL26rocblas_hemvn_kernel_lowerILb1ELi64ELi4ELi33ELi32ELi16EiPK19rocblas_complex_numIfEPKS3_PS1_EviT6_lT7_lT5_lS8_lS9_lS7_lT8_i,comdat
	.globl	_ZL26rocblas_hemvn_kernel_lowerILb1ELi64ELi4ELi33ELi32ELi16EiPK19rocblas_complex_numIfEPKS3_PS1_EviT6_lT7_lT5_lS8_lS9_lS7_lT8_i ; -- Begin function _ZL26rocblas_hemvn_kernel_lowerILb1ELi64ELi4ELi33ELi32ELi16EiPK19rocblas_complex_numIfEPKS3_PS1_EviT6_lT7_lT5_lS8_lS9_lS7_lT8_i
	.p2align	8
	.type	_ZL26rocblas_hemvn_kernel_lowerILb1ELi64ELi4ELi33ELi32ELi16EiPK19rocblas_complex_numIfEPKS3_PS1_EviT6_lT7_lT5_lS8_lS9_lS7_lT8_i,@function
_ZL26rocblas_hemvn_kernel_lowerILb1ELi64ELi4ELi33ELi32ELi16EiPK19rocblas_complex_numIfEPKS3_PS1_EviT6_lT7_lT5_lS8_lS9_lS7_lT8_i: ; @_ZL26rocblas_hemvn_kernel_lowerILb1ELi64ELi4ELi33ELi32ELi16EiPK19rocblas_complex_numIfEPKS3_PS1_EviT6_lT7_lT5_lS8_lS9_lS7_lT8_i
; %bb.0:
	s_load_b64 s[4:5], s[0:1], 0x84
	s_add_u32 s2, s0, 0x78
	s_addc_u32 s3, s1, 0
	s_waitcnt lgkmcnt(0)
	s_lshr_b32 s6, s4, 16
	s_and_b32 s4, s4, 0xffff
	s_and_b32 s5, s5, 0xffff
	s_mul_i32 s4, s6, s4
	s_delay_alu instid0(SALU_CYCLE_1) | instskip(NEXT) | instid1(SALU_CYCLE_1)
	s_mul_i32 s4, s4, s5
	s_cmpk_lg_i32 s4, 0x100
	s_cbranch_scc1 .LBB42_141
; %bb.1:
	s_load_b256 s[4:11], s[0:1], 0x8
	s_mov_b32 s12, s15
	s_waitcnt lgkmcnt(0)
	s_mul_i32 s7, s15, s7
	s_mul_hi_u32 s13, s15, s6
	s_mul_i32 s6, s15, s6
	s_add_i32 s7, s13, s7
	s_delay_alu instid0(SALU_CYCLE_1) | instskip(NEXT) | instid1(SALU_CYCLE_1)
	s_lshl_b64 s[6:7], s[6:7], 3
	s_add_u32 s4, s4, s6
	s_addc_u32 s5, s5, s7
	s_load_b64 s[18:19], s[4:5], 0x0
	s_clause 0x1
	s_load_b64 s[16:17], s[0:1], 0x68
	s_load_b128 s[4:7], s[0:1], 0x58
	s_waitcnt lgkmcnt(0)
	s_or_b32 s13, s18, s19
	s_delay_alu instid0(SALU_CYCLE_1) | instskip(NEXT) | instid1(SALU_CYCLE_1)
	s_bitset0_b32 s13, 31
	s_cmp_lg_u32 s13, 0
	s_mov_b32 s13, 0
	s_cselect_b32 s15, -1, 0
	s_delay_alu instid0(SALU_CYCLE_1)
	s_and_b32 vcc_lo, exec_lo, s15
	s_cbranch_vccnz .LBB42_4
; %bb.2:
	s_mul_i32 s7, s12, s7
	s_mul_hi_u32 s18, s12, s6
	s_mul_i32 s6, s12, s6
	s_add_i32 s7, s18, s7
	s_delay_alu instid0(SALU_CYCLE_1) | instskip(NEXT) | instid1(SALU_CYCLE_1)
	s_lshl_b64 s[6:7], s[6:7], 3
	s_add_u32 s4, s4, s6
	s_addc_u32 s5, s5, s7
	s_mov_b32 s7, 0
	s_load_b64 s[4:5], s[4:5], 0x0
	s_mov_b32 s6, 0
	s_waitcnt lgkmcnt(0)
	v_cmp_eq_f32_e64 s4, s4, 1.0
	v_cmp_eq_f32_e64 s5, s5, 0
	s_delay_alu instid0(VALU_DEP_1) | instskip(NEXT) | instid1(SALU_CYCLE_1)
	s_and_b32 s4, s4, s5
	s_and_not1_b32 vcc_lo, exec_lo, s4
                                        ; implicit-def: $sgpr4_sgpr5
	s_cbranch_vccz .LBB42_5
; %bb.3:
	s_mov_b32 s6, -1
	s_mov_b64 s[4:5], 0
	s_branch .LBB42_5
.LBB42_4:
	s_mov_b32 s7, -1
	s_mov_b32 s6, s13
                                        ; implicit-def: $sgpr4_sgpr5
.LBB42_5:
	s_and_b32 vcc_lo, exec_lo, s7
	s_cbranch_vccz .LBB42_7
; %bb.6:
	s_lshl_b64 s[4:5], s[12:13], 3
	s_delay_alu instid0(SALU_CYCLE_1)
	s_add_u32 s4, s8, s4
	s_addc_u32 s5, s9, s5
	s_lshl_b64 s[6:7], s[10:11], 3
	s_load_b64 s[4:5], s[4:5], 0x0
	s_waitcnt lgkmcnt(0)
	s_add_u32 s4, s4, s6
	s_addc_u32 s5, s5, s7
	s_mov_b32 s6, -1
.LBB42_7:
	s_delay_alu instid0(SALU_CYCLE_1)
	s_and_not1_b32 vcc_lo, exec_lo, s6
	s_cbranch_vccnz .LBB42_141
; %bb.8:
	v_cndmask_b32_e64 v1, 0, 1, s15
	s_and_not1_b32 vcc_lo, exec_lo, s15
	s_mov_b64 s[6:7], 0
	s_cbranch_vccnz .LBB42_10
; %bb.9:
	s_load_b128 s[8:11], s[0:1], 0x38
	s_lshl_b64 s[6:7], s[12:13], 3
	s_waitcnt lgkmcnt(0)
	s_add_u32 s6, s8, s6
	s_addc_u32 s7, s9, s7
	s_lshl_b64 s[8:9], s[10:11], 3
	s_load_b64 s[6:7], s[6:7], 0x0
	s_waitcnt lgkmcnt(0)
	s_add_u32 s6, s6, s8
	s_addc_u32 s7, s7, s9
.LBB42_10:
	s_delay_alu instid0(VALU_DEP_1)
	v_cmp_ne_u32_e32 vcc_lo, 1, v1
	s_cbranch_vccnz .LBB42_141
; %bb.11:
	s_clause 0x1
	s_load_b32 s13, s[0:1], 0x48
	s_load_b32 s15, s[0:1], 0x0
	v_and_b32_e32 v25, 0x3ff, v0
	s_lshl_b32 s18, s14, 6
	s_load_b32 s26, s[2:3], 0x0
	v_bfe_u32 v71, v0, 10, 10
	s_delay_alu instid0(VALU_DEP_2) | instskip(SKIP_1) | instid1(VALU_DEP_1)
	v_add_nc_u32_e32 v16, s18, v25
	s_waitcnt lgkmcnt(0)
	v_mul_lo_u32 v1, v16, s13
	s_ashr_i32 s27, s15, 31
	s_delay_alu instid0(SALU_CYCLE_1) | instskip(SKIP_4) | instid1(VALU_DEP_2)
	s_lshr_b32 s2, s27, 26
	s_add_i32 s8, s26, -1
	s_add_i32 s3, s15, s2
	v_cmp_ne_u32_e64 s2, 0, v71
	s_and_not1_b32 s3, s3, 63
	v_ashrrev_i32_e32 v2, 31, v1
	s_sub_i32 s9, s15, s3
	v_cmp_eq_u32_e64 s3, 0, v71
	s_cmp_eq_u32 s14, s8
	s_cselect_b32 s8, s9, 0
	v_lshlrev_b64 v[0:1], 3, v[1:2]
	s_delay_alu instid0(VALU_DEP_1) | instskip(NEXT) | instid1(VALU_DEP_2)
	v_add_co_u32 v19, vcc_lo, s6, v0
	v_add_co_ci_u32_e32 v20, vcc_lo, s7, v1, vcc_lo
	s_mov_b32 s6, -1
	s_and_saveexec_b32 s7, s3
	s_cbranch_execz .LBB42_16
; %bb.12:
	v_cmp_le_i32_e32 vcc_lo, s8, v25
	s_cmp_lg_u32 s8, 0
	v_lshl_add_u32 v0, v25, 3, 0x2380
	s_cselect_b32 s9, -1, 0
	s_delay_alu instid0(SALU_CYCLE_1) | instskip(NEXT) | instid1(SALU_CYCLE_1)
	s_and_b32 s9, s9, vcc_lo
	s_and_saveexec_b32 s10, s9
	s_delay_alu instid0(SALU_CYCLE_1)
	s_xor_b32 s9, exec_lo, s10
	s_cbranch_execz .LBB42_14
; %bb.13:
	v_mov_b32_e32 v1, 0
	s_delay_alu instid0(VALU_DEP_1)
	v_mov_b32_e32 v2, v1
	ds_store_b64 v0, v[1:2]
                                        ; implicit-def: $vgpr0
.LBB42_14:
	s_and_not1_saveexec_b32 s9, s9
	s_cbranch_execz .LBB42_16
; %bb.15:
	flat_load_b64 v[1:2], v[19:20]
	s_waitcnt vmcnt(0) lgkmcnt(0)
	ds_store_b64 v0, v[1:2]
.LBB42_16:
	s_or_b32 exec_lo, exec_lo, s7
	s_load_b32 s10, s[0:1], 0x28
	v_lshl_add_u32 v26, v71, 6, v25
	v_and_b32_e32 v0, 31, v25
	s_ashr_i32 s19, s18, 31
	s_delay_alu instid0(SALU_CYCLE_1) | instskip(NEXT) | instid1(VALU_DEP_2)
	s_lshl_b64 s[0:1], s[18:19], 3
	v_lshrrev_b32_e32 v5, 5, v26
	s_add_u32 s4, s4, s0
	s_addc_u32 s5, s5, s1
	s_waitcnt lgkmcnt(0)
	s_delay_alu instid0(VALU_DEP_1) | instskip(SKIP_1) | instid1(SALU_CYCLE_1)
	v_mad_u64_u32 v[1:2], null, v5, s10, v[0:1]
	s_mul_i32 s0, s18, s10
	s_ashr_i32 s1, s0, 31
	s_delay_alu instid0(SALU_CYCLE_1) | instskip(NEXT) | instid1(SALU_CYCLE_1)
	s_lshl_b64 s[20:21], s[0:1], 3
	s_add_u32 s0, s20, s4
	s_delay_alu instid0(VALU_DEP_1) | instskip(SKIP_3) | instid1(VALU_DEP_1)
	v_ashrrev_i32_e32 v2, 31, v1
	s_addc_u32 s1, s21, s5
	s_cmp_lg_u32 s8, 0
	s_cselect_b32 s19, -1, 0
	v_lshlrev_b64 v[21:22], 3, v[1:2]
	s_cmp_eq_u32 s8, 0
	s_cselect_b32 s7, -1, 0
	s_delay_alu instid0(VALU_DEP_1) | instskip(NEXT) | instid1(VALU_DEP_2)
	v_add_co_u32 v1, vcc_lo, s0, v21
	v_add_co_ci_u32_e32 v2, vcc_lo, s1, v22, vcc_lo
	s_and_b32 vcc_lo, exec_lo, s19
	s_cbranch_vccnz .LBB42_18
; %bb.17:
	flat_load_b64 v[3:4], v[1:2]
	s_lshl_b32 s0, s10, 3
	v_mul_u32_u24_e32 v6, 33, v5
	s_ashr_i32 s1, s0, 31
	s_ashr_i32 s11, s10, 31
	s_lshl_b64 s[0:1], s[0:1], 3
	s_mov_b32 s6, 0
	v_add_lshl_u32 v8, v6, v0, 3
	v_add_co_u32 v6, vcc_lo, v1, s0
	v_add_co_ci_u32_e32 v7, vcc_lo, s1, v2, vcc_lo
	s_lshl_b64 s[0:1], s[10:11], 6
	s_waitcnt vmcnt(0) lgkmcnt(0)
	ds_store_b64 v8, v[3:4]
	flat_load_b64 v[3:4], v[6:7]
	v_add_co_u32 v6, vcc_lo, v6, s0
	v_add_co_ci_u32_e32 v7, vcc_lo, s1, v7, vcc_lo
	s_waitcnt vmcnt(0) lgkmcnt(0)
	ds_store_b64 v8, v[3:4] offset:2112
	flat_load_b64 v[3:4], v[6:7]
	v_add_co_u32 v6, vcc_lo, v6, s0
	v_add_co_ci_u32_e32 v7, vcc_lo, s1, v7, vcc_lo
	s_waitcnt vmcnt(0) lgkmcnt(0)
	ds_store_b64 v8, v[3:4] offset:4224
	flat_load_b64 v[3:4], v[6:7]
	s_waitcnt vmcnt(0) lgkmcnt(0)
	ds_store_b64 v8, v[3:4] offset:6336
.LBB42_18:
	s_and_not1_b32 vcc_lo, exec_lo, s6
	s_cbranch_vccnz .LBB42_36
; %bb.19:
	v_lshlrev_b32_e32 v6, 3, v0
	s_ashr_i32 s9, s8, 31
	v_mul_u32_u24_e32 v7, 33, v5
	s_lshl_b64 s[4:5], s[8:9], 3
	v_cmp_le_i32_e64 s0, s8, v5
	v_sub_co_u32 v3, vcc_lo, v1, v6
	v_subrev_co_ci_u32_e32 v4, vcc_lo, 0, v2, vcc_lo
	v_add_lshl_u32 v7, v7, v0, 3
	s_delay_alu instid0(VALU_DEP_3) | instskip(NEXT) | instid1(VALU_DEP_3)
	v_add_co_u32 v3, vcc_lo, v3, s4
	v_add_co_ci_u32_e32 v4, vcc_lo, s5, v4, vcc_lo
	s_delay_alu instid0(VALU_DEP_2) | instskip(NEXT) | instid1(VALU_DEP_2)
	v_add_co_u32 v3, vcc_lo, v3, -8
	v_add_co_ci_u32_e32 v4, vcc_lo, -1, v4, vcc_lo
	v_cmp_gt_i32_e32 vcc_lo, s8, v0
	s_delay_alu instid0(VALU_DEP_2) | instskip(SKIP_1) | instid1(SALU_CYCLE_1)
	v_dual_cndmask_b32 v3, v3, v1 :: v_dual_cndmask_b32 v4, v4, v2
	s_and_saveexec_b32 s1, s0
	s_xor_b32 s0, exec_lo, s1
	s_cbranch_execz .LBB42_21
; %bb.20:
	v_mov_b32_e32 v8, 0
	s_delay_alu instid0(VALU_DEP_1)
	v_mov_b32_e32 v9, v8
	ds_store_b64 v7, v[8:9]
.LBB42_21:
	s_and_not1_saveexec_b32 s0, s0
	s_cbranch_execz .LBB42_23
; %bb.22:
	flat_load_b64 v[8:9], v[3:4]
	s_waitcnt vmcnt(0) lgkmcnt(0)
	ds_store_b64 v7, v[8:9]
.LBB42_23:
	s_or_b32 exec_lo, exec_lo, s0
	v_add_nc_u32_e32 v8, 8, v5
	s_delay_alu instid0(VALU_DEP_1) | instskip(NEXT) | instid1(VALU_DEP_1)
	v_cmp_le_i32_e64 s0, s8, v8
	s_and_saveexec_b32 s1, s0
	s_delay_alu instid0(SALU_CYCLE_1)
	s_xor_b32 s0, exec_lo, s1
	s_cbranch_execz .LBB42_25
; %bb.24:
	v_mul_u32_u24_e32 v9, 33, v8
	v_mov_b32_e32 v8, 0
	s_delay_alu instid0(VALU_DEP_2) | instskip(NEXT) | instid1(VALU_DEP_2)
	v_add_lshl_u32 v10, v9, v0, 3
	v_mov_b32_e32 v9, v8
	ds_store_b64 v10, v[8:9]
.LBB42_25:
	s_and_not1_saveexec_b32 s1, s0
	s_cbranch_execz .LBB42_27
; %bb.26:
	s_lshl_b32 s22, s10, 3
	s_delay_alu instid0(SALU_CYCLE_1) | instskip(NEXT) | instid1(SALU_CYCLE_1)
	s_ashr_i32 s23, s22, 31
	s_lshl_b64 s[22:23], s[22:23], 3
	s_delay_alu instid0(SALU_CYCLE_1) | instskip(NEXT) | instid1(VALU_DEP_1)
	v_add_co_u32 v8, s0, v3, s22
	v_add_co_ci_u32_e64 v9, s0, s23, v4, s0
	flat_load_b64 v[8:9], v[8:9]
	s_waitcnt vmcnt(0) lgkmcnt(0)
	ds_store_b64 v7, v[8:9] offset:2112
.LBB42_27:
	s_or_b32 exec_lo, exec_lo, s1
	v_add_nc_u32_e32 v8, 16, v5
	s_delay_alu instid0(VALU_DEP_1) | instskip(NEXT) | instid1(VALU_DEP_1)
	v_cmp_le_i32_e64 s0, s8, v8
	s_and_saveexec_b32 s1, s0
	s_delay_alu instid0(SALU_CYCLE_1)
	s_xor_b32 s0, exec_lo, s1
	s_cbranch_execz .LBB42_29
; %bb.28:
	v_mul_u32_u24_e32 v9, 33, v8
	v_mov_b32_e32 v8, 0
	s_delay_alu instid0(VALU_DEP_2) | instskip(NEXT) | instid1(VALU_DEP_2)
	v_add_lshl_u32 v10, v9, v0, 3
	v_mov_b32_e32 v9, v8
	ds_store_b64 v10, v[8:9]
.LBB42_29:
	s_and_not1_saveexec_b32 s1, s0
	s_cbranch_execz .LBB42_31
; %bb.30:
	s_lshl_b32 s22, s10, 4
	s_delay_alu instid0(SALU_CYCLE_1) | instskip(NEXT) | instid1(SALU_CYCLE_1)
	s_ashr_i32 s23, s22, 31
	s_lshl_b64 s[22:23], s[22:23], 3
	s_delay_alu instid0(SALU_CYCLE_1) | instskip(NEXT) | instid1(VALU_DEP_1)
	v_add_co_u32 v8, s0, v3, s22
	v_add_co_ci_u32_e64 v9, s0, s23, v4, s0
	flat_load_b64 v[8:9], v[8:9]
	s_waitcnt vmcnt(0) lgkmcnt(0)
	ds_store_b64 v7, v[8:9] offset:4224
.LBB42_31:
	s_or_b32 exec_lo, exec_lo, s1
	v_add_nc_u32_e32 v8, 24, v5
	s_delay_alu instid0(VALU_DEP_1) | instskip(NEXT) | instid1(VALU_DEP_1)
	v_cmp_le_i32_e64 s0, s8, v8
	s_and_saveexec_b32 s1, s0
	s_delay_alu instid0(SALU_CYCLE_1)
	s_xor_b32 s0, exec_lo, s1
	s_cbranch_execz .LBB42_33
; %bb.32:
	v_mov_b32_e32 v8, 0
	s_delay_alu instid0(VALU_DEP_1)
	v_mov_b32_e32 v9, v8
	ds_store_b64 v7, v[8:9] offset:6336
                                        ; implicit-def: $vgpr7
.LBB42_33:
	s_and_not1_saveexec_b32 s1, s0
	s_cbranch_execz .LBB42_35
; %bb.34:
	s_mul_i32 s22, s10, 24
	s_delay_alu instid0(SALU_CYCLE_1) | instskip(NEXT) | instid1(SALU_CYCLE_1)
	s_ashr_i32 s23, s22, 31
	s_lshl_b64 s[22:23], s[22:23], 3
	s_delay_alu instid0(SALU_CYCLE_1) | instskip(NEXT) | instid1(VALU_DEP_1)
	v_add_co_u32 v8, s0, v3, s22
	v_add_co_ci_u32_e64 v9, s0, s23, v4, s0
	flat_load_b64 v[8:9], v[8:9]
	s_waitcnt vmcnt(0) lgkmcnt(0)
	ds_store_b64 v7, v[8:9] offset:6336
.LBB42_35:
	s_or_b32 exec_lo, exec_lo, s1
	v_add_co_u32 v3, s0, v3, v6
	s_delay_alu instid0(VALU_DEP_1) | instskip(NEXT) | instid1(VALU_DEP_2)
	v_add_co_ci_u32_e64 v4, s0, 0, v4, s0
	v_sub_co_u32 v3, s0, v3, s4
	s_delay_alu instid0(VALU_DEP_1) | instskip(NEXT) | instid1(VALU_DEP_2)
	v_subrev_co_ci_u32_e64 v4, s0, s5, v4, s0
	v_add_co_u32 v3, s0, v3, 8
	s_delay_alu instid0(VALU_DEP_1) | instskip(NEXT) | instid1(VALU_DEP_1)
	v_add_co_ci_u32_e64 v4, s0, 0, v4, s0
	v_dual_cndmask_b32 v1, v3, v1 :: v_dual_cndmask_b32 v2, v4, v2
.LBB42_36:
	v_lshlrev_b32_e32 v6, 2, v5
	s_waitcnt lgkmcnt(0)
	s_barrier
	buffer_gl0_inv
	v_cmp_ge_u32_e64 s1, v6, v0
	s_delay_alu instid0(VALU_DEP_1) | instskip(NEXT) | instid1(SALU_CYCLE_1)
	s_and_saveexec_b32 s0, s1
	s_xor_b32 s0, exec_lo, s0
	s_cbranch_execz .LBB42_40
; %bb.37:
	s_mov_b32 s4, exec_lo
	v_cmpx_eq_u32_e64 v6, v0
	s_cbranch_execz .LBB42_39
; %bb.38:
	v_mul_u32_u24_e32 v3, 34, v0
	s_delay_alu instid0(VALU_DEP_1)
	v_dual_mov_b32 v4, 0 :: v_dual_lshlrev_b32 v3, 3, v3
	ds_store_b32 v3, v4 offset:4
.LBB42_39:
	s_or_b32 exec_lo, exec_lo, s4
.LBB42_40:
	s_or_saveexec_b32 s0, s0
	v_mul_u32_u24_e32 v27, 33, v0
	v_mul_u32_u24_e32 v3, 0x84, v5
	s_delay_alu instid0(VALU_DEP_2)
	v_add_lshl_u32 v4, v6, v27, 3
	s_xor_b32 exec_lo, exec_lo, s0
	s_cbranch_execz .LBB42_42
; %bb.41:
	s_delay_alu instid0(VALU_DEP_2)
	v_add_lshl_u32 v7, v3, v0, 3
	ds_load_b64 v[7:8], v7
	s_waitcnt lgkmcnt(0)
	v_xor_b32_e32 v8, 0x80000000, v8
	ds_store_b64 v4, v[7:8]
.LBB42_42:
	s_or_b32 exec_lo, exec_lo, s0
	v_or_b32_e32 v7, 1, v6
	s_delay_alu instid0(VALU_DEP_1) | instskip(NEXT) | instid1(VALU_DEP_1)
	v_cmp_ge_u32_e64 s4, v7, v0
	s_and_saveexec_b32 s0, s4
	s_delay_alu instid0(SALU_CYCLE_1)
	s_xor_b32 s0, exec_lo, s0
	s_cbranch_execz .LBB42_46
; %bb.43:
	s_mov_b32 s5, exec_lo
	v_cmpx_eq_u32_e64 v7, v0
	s_cbranch_execz .LBB42_45
; %bb.44:
	v_mul_u32_u24_e32 v8, 34, v0
	s_delay_alu instid0(VALU_DEP_1)
	v_dual_mov_b32 v9, 0 :: v_dual_lshlrev_b32 v8, 3, v8
	ds_store_b32 v8, v9 offset:4
.LBB42_45:
	s_or_b32 exec_lo, exec_lo, s5
.LBB42_46:
	s_or_saveexec_b32 s0, s0
	v_mul_u32_u24_e32 v9, 33, v7
	s_xor_b32 exec_lo, exec_lo, s0
	s_cbranch_execz .LBB42_48
; %bb.47:
	s_delay_alu instid0(VALU_DEP_1)
	v_add_lshl_u32 v8, v9, v0, 3
	ds_load_b64 v[10:11], v8
	s_waitcnt lgkmcnt(0)
	v_xor_b32_e32 v11, 0x80000000, v11
	ds_store_b64 v4, v[10:11] offset:8
.LBB42_48:
	s_or_b32 exec_lo, exec_lo, s0
	v_or_b32_e32 v8, 2, v6
	s_delay_alu instid0(VALU_DEP_1) | instskip(NEXT) | instid1(VALU_DEP_1)
	v_cmp_ge_u32_e64 s5, v8, v0
	s_and_saveexec_b32 s0, s5
	s_delay_alu instid0(SALU_CYCLE_1)
	s_xor_b32 s0, exec_lo, s0
	s_cbranch_execz .LBB42_52
; %bb.49:
	s_mov_b32 s6, exec_lo
	v_cmpx_eq_u32_e64 v8, v0
	s_cbranch_execz .LBB42_51
; %bb.50:
	v_mul_u32_u24_e32 v10, 34, v0
	s_delay_alu instid0(VALU_DEP_1)
	v_dual_mov_b32 v11, 0 :: v_dual_lshlrev_b32 v10, 3, v10
	ds_store_b32 v10, v11 offset:4
.LBB42_51:
	s_or_b32 exec_lo, exec_lo, s6
.LBB42_52:
	s_and_not1_saveexec_b32 s0, s0
	s_cbranch_execz .LBB42_54
; %bb.53:
	v_mul_u32_u24_e32 v10, 33, v8
	s_delay_alu instid0(VALU_DEP_1)
	v_add_lshl_u32 v10, v10, v0, 3
	ds_load_b64 v[10:11], v10
	s_waitcnt lgkmcnt(0)
	v_xor_b32_e32 v11, 0x80000000, v11
	ds_store_b64 v4, v[10:11] offset:16
.LBB42_54:
	s_or_b32 exec_lo, exec_lo, s0
	v_or_b32_e32 v10, 3, v6
	s_delay_alu instid0(VALU_DEP_1) | instskip(NEXT) | instid1(VALU_DEP_1)
	v_cmp_ge_u32_e64 s6, v10, v0
	s_and_saveexec_b32 s0, s6
	s_delay_alu instid0(SALU_CYCLE_1)
	s_xor_b32 s0, exec_lo, s0
	s_cbranch_execz .LBB42_58
; %bb.55:
	s_mov_b32 s9, exec_lo
	v_cmpx_eq_u32_e64 v10, v0
	s_cbranch_execz .LBB42_57
; %bb.56:
	v_mul_u32_u24_e32 v11, 34, v0
	s_delay_alu instid0(VALU_DEP_1)
	v_dual_mov_b32 v12, 0 :: v_dual_lshlrev_b32 v11, 3, v11
	ds_store_b32 v11, v12 offset:4
.LBB42_57:
	s_or_b32 exec_lo, exec_lo, s9
.LBB42_58:
	s_and_not1_saveexec_b32 s0, s0
	s_cbranch_execz .LBB42_60
; %bb.59:
	v_mul_u32_u24_e32 v11, 33, v10
	s_delay_alu instid0(VALU_DEP_1)
	v_add_lshl_u32 v11, v11, v0, 3
	ds_load_b64 v[11:12], v11
	s_waitcnt lgkmcnt(0)
	v_xor_b32_e32 v12, 0x80000000, v12
	ds_store_b64 v4, v[11:12] offset:24
.LBB42_60:
	s_or_b32 exec_lo, exec_lo, s0
	v_add_lshl_u32 v11, v3, v0, 3
	v_lshlrev_b32_e32 v3, 3, v6
	v_add_lshl_u32 v9, v9, v0, 3
	s_waitcnt lgkmcnt(0)
	s_barrier
	buffer_gl0_inv
	ds_load_b64 v[17:18], v11
	ds_load_b128 v[12:15], v3 offset:9088
	ds_load_2addr_b64 v[28:31], v9 offset1:33
	ds_load_b128 v[32:35], v3 offset:9104
	ds_load_b64 v[23:24], v9 offset:528
	v_cmp_gt_u32_e64 s0, 32, v26
	s_waitcnt lgkmcnt(0)
	s_barrier
	buffer_gl0_inv
	v_dual_mul_f32 v36, v13, v18 :: v_dual_mul_f32 v37, v15, v29
	v_dual_mul_f32 v18, v12, v18 :: v_dual_mul_f32 v29, v14, v29
	v_mul_f32_e32 v38, v33, v31
	s_delay_alu instid0(VALU_DEP_3) | instskip(NEXT) | instid1(VALU_DEP_3)
	v_fma_f32 v12, v12, v17, -v36
	v_dual_mul_f32 v31, v32, v31 :: v_dual_fmac_f32 v18, v13, v17
	v_fma_f32 v14, v14, v28, -v37
	s_delay_alu instid0(VALU_DEP_4) | instskip(NEXT) | instid1(VALU_DEP_4)
	v_fma_f32 v17, v32, v30, -v38
	v_add_f32_e32 v12, 0, v12
	v_mul_f32_e32 v13, v35, v24
	v_fmac_f32_e32 v31, v33, v30
	s_delay_alu instid0(VALU_DEP_3) | instskip(SKIP_1) | instid1(VALU_DEP_4)
	v_dual_add_f32 v12, v12, v14 :: v_dual_fmac_f32 v29, v15, v28
	v_dual_add_f32 v15, 0, v18 :: v_dual_mul_f32 v18, v34, v24
	v_fma_f32 v13, v34, v23, -v13
	s_delay_alu instid0(VALU_DEP_3) | instskip(NEXT) | instid1(VALU_DEP_3)
	v_dual_add_f32 v12, v12, v17 :: v_dual_mov_b32 v17, 0
	v_add_f32_e32 v14, v15, v29
	s_delay_alu instid0(VALU_DEP_4) | instskip(SKIP_1) | instid1(VALU_DEP_3)
	v_fmac_f32_e32 v18, v35, v23
	v_add_lshl_u32 v28, v5, v27, 3
	v_add_f32_e32 v14, v14, v31
	s_delay_alu instid0(VALU_DEP_1)
	v_dual_add_f32 v12, v12, v13 :: v_dual_add_f32 v13, v14, v18
	v_mov_b32_e32 v18, 0
	ds_store_b64 v28, v[12:13]
	s_waitcnt lgkmcnt(0)
	s_barrier
	buffer_gl0_inv
	s_and_saveexec_b32 s9, s0
	s_cbranch_execz .LBB42_62
; %bb.61:
	v_lshlrev_b32_e32 v17, 3, v27
	ds_load_2addr_b64 v[12:15], v17 offset1:7
	ds_load_2addr_b64 v[29:32], v17 offset0:1 offset1:2
	ds_load_2addr_b64 v[33:36], v17 offset0:3 offset1:4
	;; [unrolled: 1-line block ×3, first 2 shown]
	s_waitcnt lgkmcnt(2)
	v_dual_add_f32 v12, v29, v12 :: v_dual_add_f32 v13, v30, v13
	s_delay_alu instid0(VALU_DEP_1) | instskip(SKIP_1) | instid1(VALU_DEP_1)
	v_dual_add_f32 v12, v12, v31 :: v_dual_add_f32 v13, v13, v32
	s_waitcnt lgkmcnt(1)
	v_dual_add_f32 v12, v12, v33 :: v_dual_add_f32 v13, v13, v34
	s_delay_alu instid0(VALU_DEP_1) | instskip(SKIP_1) | instid1(VALU_DEP_1)
	v_dual_add_f32 v12, v12, v35 :: v_dual_add_f32 v13, v13, v36
	s_waitcnt lgkmcnt(0)
	v_dual_add_f32 v12, v12, v37 :: v_dual_add_f32 v13, v13, v38
	s_delay_alu instid0(VALU_DEP_1) | instskip(NEXT) | instid1(VALU_DEP_1)
	v_dual_add_f32 v12, v12, v39 :: v_dual_add_f32 v13, v13, v40
	v_dual_add_f32 v17, v12, v14 :: v_dual_add_f32 v18, v13, v15
.LBB42_62:
	s_or_b32 exec_lo, exec_lo, s9
	s_lshl_b32 s22, s10, 5
	v_cndmask_b32_e64 v12, 0, 1, s7
	s_ashr_i32 s23, s22, 31
	s_delay_alu instid0(SALU_CYCLE_1)
	s_lshl_b64 s[22:23], s[22:23], 3
	s_barrier
	v_add_co_u32 v1, vcc_lo, v1, s22
	v_add_co_ci_u32_e32 v2, vcc_lo, s23, v2, vcc_lo
	buffer_gl0_inv
	v_add_co_u32 v13, vcc_lo, 0x100, v1
	v_add_co_ci_u32_e32 v14, vcc_lo, 0, v2, vcc_lo
	s_and_not1_b32 vcc_lo, exec_lo, s7
	s_cbranch_vccnz .LBB42_64
; %bb.63:
	flat_load_b64 v[23:24], v[1:2] offset:256
	s_lshl_b32 s24, s10, 3
	v_mul_u32_u24_e32 v15, 33, v5
	s_ashr_i32 s25, s24, 31
	s_ashr_i32 s11, s10, 31
	s_lshl_b64 s[24:25], s[24:25], 3
	s_delay_alu instid0(SALU_CYCLE_1)
	v_add_co_u32 v1, vcc_lo, v1, s24
	v_add_lshl_u32 v15, v15, v0, 3
	v_add_co_ci_u32_e32 v2, vcc_lo, s25, v2, vcc_lo
	s_lshl_b64 s[24:25], s[10:11], 6
	s_waitcnt vmcnt(0) lgkmcnt(0)
	ds_store_b64 v15, v[23:24]
	flat_load_b64 v[23:24], v[1:2] offset:256
	v_add_co_u32 v1, vcc_lo, v1, s24
	v_add_co_ci_u32_e32 v2, vcc_lo, s25, v2, vcc_lo
	s_waitcnt vmcnt(0) lgkmcnt(0)
	ds_store_b64 v15, v[23:24] offset:2112
	flat_load_b64 v[23:24], v[1:2] offset:256
	v_add_co_u32 v1, vcc_lo, v1, s24
	v_add_co_ci_u32_e32 v2, vcc_lo, s25, v2, vcc_lo
	s_waitcnt vmcnt(0) lgkmcnt(0)
	ds_store_b64 v15, v[23:24] offset:4224
	flat_load_b64 v[1:2], v[1:2] offset:256
	s_waitcnt vmcnt(0) lgkmcnt(0)
	ds_store_b64 v15, v[1:2] offset:6336
	s_cbranch_execz .LBB42_65
	s_branch .LBB42_82
.LBB42_64:
.LBB42_65:
	v_or_b32_e32 v1, 32, v0
	s_ashr_i32 s9, s8, 31
	v_mul_u32_u24_e32 v23, 33, v5
	s_lshl_b64 s[24:25], s[8:9], 3
	s_sub_i32 s9, s8, 32
	v_lshlrev_b32_e32 v2, 3, v1
	v_cmp_le_i32_e64 s7, s9, v5
	s_delay_alu instid0(VALU_DEP_2) | instskip(SKIP_1) | instid1(VALU_DEP_2)
	v_sub_co_u32 v2, vcc_lo, v13, v2
	v_subrev_co_ci_u32_e32 v15, vcc_lo, 0, v14, vcc_lo
	v_add_co_u32 v2, vcc_lo, v2, s24
	s_delay_alu instid0(VALU_DEP_2) | instskip(NEXT) | instid1(VALU_DEP_2)
	v_add_co_ci_u32_e32 v15, vcc_lo, s25, v15, vcc_lo
	v_add_co_u32 v24, vcc_lo, v2, -8
	s_delay_alu instid0(VALU_DEP_2) | instskip(SKIP_2) | instid1(VALU_DEP_3)
	v_add_co_ci_u32_e32 v2, vcc_lo, -1, v15, vcc_lo
	v_cmp_gt_i32_e32 vcc_lo, s8, v1
	v_add_lshl_u32 v15, v23, v0, 3
	v_dual_cndmask_b32 v2, v2, v14 :: v_dual_cndmask_b32 v1, v24, v13
	s_and_saveexec_b32 s11, s7
	s_delay_alu instid0(SALU_CYCLE_1)
	s_xor_b32 s7, exec_lo, s11
	s_cbranch_execz .LBB42_67
; %bb.66:
	v_mov_b32_e32 v23, 0
	s_delay_alu instid0(VALU_DEP_1)
	v_mov_b32_e32 v24, v23
	ds_store_b64 v15, v[23:24]
.LBB42_67:
	s_and_not1_saveexec_b32 s7, s7
	s_cbranch_execz .LBB42_69
; %bb.68:
	flat_load_b64 v[23:24], v[1:2]
	s_waitcnt vmcnt(0) lgkmcnt(0)
	ds_store_b64 v15, v[23:24]
.LBB42_69:
	s_or_b32 exec_lo, exec_lo, s7
	v_add_nc_u32_e32 v23, 8, v5
	s_delay_alu instid0(VALU_DEP_1) | instskip(NEXT) | instid1(VALU_DEP_1)
	v_cmp_le_i32_e64 s7, s9, v23
	s_and_saveexec_b32 s11, s7
	s_delay_alu instid0(SALU_CYCLE_1)
	s_xor_b32 s7, exec_lo, s11
	s_cbranch_execz .LBB42_71
; %bb.70:
	v_mul_u32_u24_e32 v24, 33, v23
	v_mov_b32_e32 v23, 0
	s_delay_alu instid0(VALU_DEP_2) | instskip(NEXT) | instid1(VALU_DEP_2)
	v_add_lshl_u32 v29, v24, v0, 3
	v_mov_b32_e32 v24, v23
	ds_store_b64 v29, v[23:24]
.LBB42_71:
	s_and_not1_saveexec_b32 s11, s7
	s_cbranch_execz .LBB42_73
; %bb.72:
	s_lshl_b32 s28, s10, 3
	s_delay_alu instid0(SALU_CYCLE_1) | instskip(NEXT) | instid1(SALU_CYCLE_1)
	s_ashr_i32 s29, s28, 31
	s_lshl_b64 s[28:29], s[28:29], 3
	s_delay_alu instid0(SALU_CYCLE_1) | instskip(NEXT) | instid1(VALU_DEP_1)
	v_add_co_u32 v23, s7, v1, s28
	v_add_co_ci_u32_e64 v24, s7, s29, v2, s7
	flat_load_b64 v[23:24], v[23:24]
	s_waitcnt vmcnt(0) lgkmcnt(0)
	ds_store_b64 v15, v[23:24] offset:2112
.LBB42_73:
	s_or_b32 exec_lo, exec_lo, s11
	v_add_nc_u32_e32 v23, 16, v5
	s_delay_alu instid0(VALU_DEP_1) | instskip(NEXT) | instid1(VALU_DEP_1)
	v_cmp_le_i32_e64 s7, s9, v23
	s_and_saveexec_b32 s11, s7
	s_delay_alu instid0(SALU_CYCLE_1)
	s_xor_b32 s7, exec_lo, s11
	s_cbranch_execz .LBB42_75
; %bb.74:
	v_mul_u32_u24_e32 v24, 33, v23
	v_mov_b32_e32 v23, 0
	s_delay_alu instid0(VALU_DEP_2) | instskip(NEXT) | instid1(VALU_DEP_2)
	v_add_lshl_u32 v29, v24, v0, 3
	v_mov_b32_e32 v24, v23
	ds_store_b64 v29, v[23:24]
.LBB42_75:
	s_and_not1_saveexec_b32 s11, s7
	s_cbranch_execz .LBB42_77
; %bb.76:
	s_lshl_b32 s28, s10, 4
	s_delay_alu instid0(SALU_CYCLE_1) | instskip(NEXT) | instid1(SALU_CYCLE_1)
	s_ashr_i32 s29, s28, 31
	s_lshl_b64 s[28:29], s[28:29], 3
	s_delay_alu instid0(SALU_CYCLE_1) | instskip(NEXT) | instid1(VALU_DEP_1)
	v_add_co_u32 v23, s7, v1, s28
	v_add_co_ci_u32_e64 v24, s7, s29, v2, s7
	flat_load_b64 v[23:24], v[23:24]
	s_waitcnt vmcnt(0) lgkmcnt(0)
	ds_store_b64 v15, v[23:24] offset:4224
.LBB42_77:
	s_or_b32 exec_lo, exec_lo, s11
	v_add_nc_u32_e32 v23, 24, v5
	s_delay_alu instid0(VALU_DEP_1) | instskip(NEXT) | instid1(VALU_DEP_1)
	v_cmp_le_i32_e64 s7, s9, v23
	s_and_saveexec_b32 s9, s7
	s_delay_alu instid0(SALU_CYCLE_1)
	s_xor_b32 s7, exec_lo, s9
	s_cbranch_execz .LBB42_79
; %bb.78:
	v_mov_b32_e32 v23, 0
	s_delay_alu instid0(VALU_DEP_1)
	v_mov_b32_e32 v24, v23
	ds_store_b64 v15, v[23:24] offset:6336
                                        ; implicit-def: $vgpr15
.LBB42_79:
	s_and_not1_saveexec_b32 s9, s7
	s_cbranch_execz .LBB42_81
; %bb.80:
	s_mul_i32 s28, s10, 24
	s_delay_alu instid0(SALU_CYCLE_1) | instskip(NEXT) | instid1(SALU_CYCLE_1)
	s_ashr_i32 s29, s28, 31
	s_lshl_b64 s[28:29], s[28:29], 3
	s_delay_alu instid0(SALU_CYCLE_1) | instskip(NEXT) | instid1(VALU_DEP_1)
	v_add_co_u32 v23, s7, v1, s28
	v_add_co_ci_u32_e64 v24, s7, s29, v2, s7
	flat_load_b64 v[23:24], v[23:24]
	s_waitcnt vmcnt(0) lgkmcnt(0)
	ds_store_b64 v15, v[23:24] offset:6336
.LBB42_81:
	s_or_b32 exec_lo, exec_lo, s9
	v_lshlrev_b32_e32 v15, 3, v0
	s_delay_alu instid0(VALU_DEP_1) | instskip(NEXT) | instid1(VALU_DEP_1)
	v_add_co_u32 v1, s7, v1, v15
	v_add_co_ci_u32_e64 v2, s7, 0, v2, s7
	s_delay_alu instid0(VALU_DEP_2) | instskip(NEXT) | instid1(VALU_DEP_1)
	v_sub_co_u32 v1, s7, v1, s24
	v_subrev_co_ci_u32_e64 v2, s7, s25, v2, s7
	s_delay_alu instid0(VALU_DEP_2) | instskip(NEXT) | instid1(VALU_DEP_1)
	v_add_co_u32 v1, s7, 0x108, v1
	v_add_co_ci_u32_e64 v2, s7, 0, v2, s7
	s_delay_alu instid0(VALU_DEP_1)
	v_dual_cndmask_b32 v13, v1, v13 :: v_dual_cndmask_b32 v14, v2, v14
.LBB42_82:
	v_add_nc_u32_e32 v3, 0x2380, v3
	s_waitcnt lgkmcnt(0)
	s_barrier
	buffer_gl0_inv
	s_and_saveexec_b32 s7, s1
	s_delay_alu instid0(SALU_CYCLE_1)
	s_xor_b32 s1, exec_lo, s7
	s_cbranch_execnz .LBB42_95
; %bb.83:
	s_and_not1_saveexec_b32 s1, s1
	s_cbranch_execnz .LBB42_98
.LBB42_84:
	s_or_b32 exec_lo, exec_lo, s1
	s_and_saveexec_b32 s1, s4
	s_delay_alu instid0(SALU_CYCLE_1)
	s_xor_b32 s1, exec_lo, s1
	s_cbranch_execnz .LBB42_99
.LBB42_85:
	s_and_not1_saveexec_b32 s1, s1
	s_cbranch_execnz .LBB42_102
.LBB42_86:
	s_or_b32 exec_lo, exec_lo, s1
	s_and_saveexec_b32 s1, s5
	s_delay_alu instid0(SALU_CYCLE_1)
	s_xor_b32 s1, exec_lo, s1
	s_cbranch_execnz .LBB42_103
.LBB42_87:
	s_and_not1_saveexec_b32 s1, s1
	s_cbranch_execnz .LBB42_106
.LBB42_88:
	s_or_b32 exec_lo, exec_lo, s1
	s_and_saveexec_b32 s1, s6
	s_delay_alu instid0(SALU_CYCLE_1)
	s_xor_b32 s1, exec_lo, s1
	s_cbranch_execnz .LBB42_107
.LBB42_89:
	s_and_not1_saveexec_b32 s1, s1
	s_cbranch_execz .LBB42_91
.LBB42_90:
	ds_load_b64 v[1:2], v9 offset:528
	s_waitcnt lgkmcnt(0)
	v_xor_b32_e32 v2, 0x80000000, v2
	ds_store_b64 v4, v[1:2] offset:24
.LBB42_91:
	s_or_b32 exec_lo, exec_lo, s1
	s_waitcnt lgkmcnt(0)
	s_barrier
	buffer_gl0_inv
	ds_load_b64 v[1:2], v11
	ds_load_b128 v[29:32], v3 offset:256
	ds_load_2addr_b64 v[33:36], v9 offset1:33
	ds_load_b128 v[37:40], v3 offset:272
	ds_load_b64 v[6:7], v9 offset:528
	v_cmp_eq_u32_e64 s1, 1, v5
	s_waitcnt lgkmcnt(0)
	s_barrier
	buffer_gl0_inv
	v_mul_f32_e32 v8, v30, v2
	v_dual_mul_f32 v2, v29, v2 :: v_dual_mul_f32 v11, v38, v36
	v_mul_f32_e32 v9, v32, v34
	v_mul_f32_e32 v15, v37, v36
	s_delay_alu instid0(VALU_DEP_4) | instskip(NEXT) | instid1(VALU_DEP_4)
	v_fma_f32 v8, v29, v1, -v8
	v_fmac_f32_e32 v2, v30, v1
	v_dual_mul_f32 v10, v31, v34 :: v_dual_mul_f32 v1, v40, v7
	v_fma_f32 v9, v31, v33, -v9
	s_delay_alu instid0(VALU_DEP_4) | instskip(NEXT) | instid1(VALU_DEP_3)
	v_dual_add_f32 v8, 0, v8 :: v_dual_fmac_f32 v15, v38, v35
	v_dual_fmac_f32 v10, v32, v33 :: v_dual_mul_f32 v7, v39, v7
	v_fma_f32 v11, v37, v35, -v11
	s_delay_alu instid0(VALU_DEP_3) | instskip(SKIP_1) | instid1(VALU_DEP_4)
	v_add_f32_e32 v8, v8, v9
	v_fma_f32 v1, v39, v6, -v1
	v_fmac_f32_e32 v7, v40, v6
	s_delay_alu instid0(VALU_DEP_3) | instskip(NEXT) | instid1(VALU_DEP_1)
	v_add_f32_e32 v6, v8, v11
	v_dual_add_f32 v2, 0, v2 :: v_dual_add_f32 v1, v6, v1
	s_delay_alu instid0(VALU_DEP_1) | instskip(NEXT) | instid1(VALU_DEP_1)
	v_add_f32_e32 v2, v2, v10
	v_add_f32_e32 v2, v2, v15
	s_delay_alu instid0(VALU_DEP_1)
	v_add_f32_e32 v2, v2, v7
	ds_store_b64 v28, v[1:2]
	s_waitcnt lgkmcnt(0)
	s_barrier
	buffer_gl0_inv
	s_and_saveexec_b32 s4, s1
	s_cbranch_execz .LBB42_93
; %bb.92:
	v_lshlrev_b32_e32 v1, 3, v27
	ds_load_2addr_b64 v[6:9], v1 offset1:7
	ds_load_2addr_b64 v[29:32], v1 offset0:1 offset1:2
	ds_load_2addr_b64 v[33:36], v1 offset0:3 offset1:4
	;; [unrolled: 1-line block ×3, first 2 shown]
	s_waitcnt lgkmcnt(2)
	v_dual_add_f32 v1, v29, v6 :: v_dual_add_f32 v2, v30, v7
	s_delay_alu instid0(VALU_DEP_1) | instskip(SKIP_1) | instid1(VALU_DEP_1)
	v_dual_add_f32 v2, v2, v32 :: v_dual_add_f32 v1, v1, v31
	s_waitcnt lgkmcnt(1)
	v_dual_add_f32 v2, v2, v34 :: v_dual_add_f32 v1, v1, v33
	s_delay_alu instid0(VALU_DEP_1) | instskip(SKIP_1) | instid1(VALU_DEP_1)
	v_dual_add_f32 v2, v2, v36 :: v_dual_add_f32 v1, v1, v35
	s_waitcnt lgkmcnt(0)
	v_dual_add_f32 v2, v2, v38 :: v_dual_add_f32 v1, v1, v37
	s_delay_alu instid0(VALU_DEP_1) | instskip(NEXT) | instid1(VALU_DEP_1)
	v_dual_add_f32 v2, v2, v40 :: v_dual_add_f32 v1, v1, v39
	v_dual_add_f32 v18, v2, v9 :: v_dual_add_f32 v17, v1, v8
.LBB42_93:
	s_or_b32 exec_lo, exec_lo, s4
	v_cmp_ne_u32_e32 vcc_lo, 1, v12
	v_sub_co_u32 v23, s4, v13, s22
	s_delay_alu instid0(VALU_DEP_1)
	v_subrev_co_ci_u32_e64 v24, s4, s23, v14, s4
	s_barrier
	buffer_gl0_inv
	s_cbranch_vccnz .LBB42_110
; %bb.94:
	flat_load_b64 v[1:2], v[23:24]
	s_lshl_b32 s4, s10, 3
	v_mad_u32_u24 v6, v5, 33, v0
	s_ashr_i32 s5, s4, 31
	s_ashr_i32 s11, s10, 31
	s_lshl_b64 s[4:5], s[4:5], 3
	v_add_nc_u32_e32 v9, 24, v5
	v_add_co_u32 v7, vcc_lo, v23, s4
	v_lshlrev_b32_e32 v10, 3, v6
	v_add_co_ci_u32_e32 v8, vcc_lo, s5, v24, vcc_lo
	s_lshl_b64 s[4:5], s[10:11], 6
	v_add_nc_u32_e32 v11, 0x318, v6
	s_waitcnt vmcnt(0) lgkmcnt(0)
	ds_store_b64 v10, v[1:2]
	flat_load_b64 v[1:2], v[7:8]
	v_add_co_u32 v7, vcc_lo, v7, s4
	v_add_co_ci_u32_e32 v8, vcc_lo, s5, v8, vcc_lo
	s_waitcnt vmcnt(0) lgkmcnt(0)
	ds_store_b64 v10, v[1:2] offset:2112
	flat_load_b64 v[1:2], v[7:8]
	v_add_co_u32 v7, vcc_lo, v7, s4
	v_add_co_ci_u32_e32 v8, vcc_lo, s5, v8, vcc_lo
	s_waitcnt vmcnt(0) lgkmcnt(0)
	ds_store_b64 v10, v[1:2] offset:4224
	flat_load_b64 v[12:13], v[7:8]
	v_add_nc_u32_e32 v7, 8, v5
	v_add_nc_u32_e32 v1, 0x108, v6
	;; [unrolled: 1-line block ×4, first 2 shown]
	s_waitcnt vmcnt(0) lgkmcnt(0)
	ds_store_b64 v10, v[12:13] offset:6336
	s_cbranch_execz .LBB42_111
	s_branch .LBB42_128
.LBB42_95:
	s_mov_b32 s7, exec_lo
	v_cmpx_eq_u32_e64 v6, v0
	s_cbranch_execz .LBB42_97
; %bb.96:
	v_mul_u32_u24_e32 v1, 34, v0
	s_delay_alu instid0(VALU_DEP_1)
	v_dual_mov_b32 v2, 0 :: v_dual_lshlrev_b32 v1, 3, v1
	ds_store_b32 v1, v2 offset:4
.LBB42_97:
	s_or_b32 exec_lo, exec_lo, s7
	s_and_not1_saveexec_b32 s1, s1
	s_cbranch_execz .LBB42_84
.LBB42_98:
	ds_load_b64 v[1:2], v11
	s_waitcnt lgkmcnt(0)
	v_xor_b32_e32 v2, 0x80000000, v2
	ds_store_b64 v4, v[1:2]
	s_or_b32 exec_lo, exec_lo, s1
	s_and_saveexec_b32 s1, s4
	s_delay_alu instid0(SALU_CYCLE_1)
	s_xor_b32 s1, exec_lo, s1
	s_cbranch_execz .LBB42_85
.LBB42_99:
	s_mov_b32 s4, exec_lo
	v_cmpx_eq_u32_e64 v7, v0
	s_cbranch_execz .LBB42_101
; %bb.100:
	v_mul_u32_u24_e32 v1, 34, v0
	s_delay_alu instid0(VALU_DEP_1)
	v_dual_mov_b32 v2, 0 :: v_dual_lshlrev_b32 v1, 3, v1
	ds_store_b32 v1, v2 offset:4
.LBB42_101:
	s_or_b32 exec_lo, exec_lo, s4
	s_and_not1_saveexec_b32 s1, s1
	s_cbranch_execz .LBB42_86
.LBB42_102:
	ds_load_b64 v[1:2], v9
	s_waitcnt lgkmcnt(0)
	v_xor_b32_e32 v2, 0x80000000, v2
	ds_store_b64 v4, v[1:2] offset:8
	s_or_b32 exec_lo, exec_lo, s1
	s_and_saveexec_b32 s1, s5
	s_delay_alu instid0(SALU_CYCLE_1)
	s_xor_b32 s1, exec_lo, s1
	s_cbranch_execz .LBB42_87
.LBB42_103:
	s_mov_b32 s4, exec_lo
	v_cmpx_eq_u32_e64 v8, v0
	s_cbranch_execz .LBB42_105
; %bb.104:
	v_mul_u32_u24_e32 v1, 34, v0
	s_delay_alu instid0(VALU_DEP_1)
	v_dual_mov_b32 v2, 0 :: v_dual_lshlrev_b32 v1, 3, v1
	ds_store_b32 v1, v2 offset:4
.LBB42_105:
	s_or_b32 exec_lo, exec_lo, s4
	s_and_not1_saveexec_b32 s1, s1
	s_cbranch_execz .LBB42_88
.LBB42_106:
	ds_load_b64 v[1:2], v9 offset:264
	s_waitcnt lgkmcnt(0)
	v_xor_b32_e32 v2, 0x80000000, v2
	ds_store_b64 v4, v[1:2] offset:16
	s_or_b32 exec_lo, exec_lo, s1
	s_and_saveexec_b32 s1, s6
	s_delay_alu instid0(SALU_CYCLE_1)
	s_xor_b32 s1, exec_lo, s1
	s_cbranch_execz .LBB42_89
.LBB42_107:
	s_mov_b32 s4, exec_lo
	v_cmpx_eq_u32_e64 v10, v0
	s_cbranch_execz .LBB42_109
; %bb.108:
	v_mul_u32_u24_e32 v1, 34, v0
	s_delay_alu instid0(VALU_DEP_1)
	v_dual_mov_b32 v2, 0 :: v_dual_lshlrev_b32 v1, 3, v1
	ds_store_b32 v1, v2 offset:4
.LBB42_109:
	s_or_b32 exec_lo, exec_lo, s4
	s_and_not1_saveexec_b32 s1, s1
	s_cbranch_execnz .LBB42_90
	s_branch .LBB42_91
.LBB42_110:
                                        ; implicit-def: $vgpr6
                                        ; implicit-def: $vgpr7
                                        ; implicit-def: $vgpr1
                                        ; implicit-def: $vgpr8
                                        ; implicit-def: $vgpr2
                                        ; implicit-def: $vgpr9
                                        ; implicit-def: $vgpr11
.LBB42_111:
	v_or_b32_e32 v1, 32, v0
	s_ashr_i32 s9, s8, 31
	v_cmp_le_i32_e64 s4, s8, v5
	s_lshl_b64 s[6:7], s[8:9], 3
	s_delay_alu instid0(VALU_DEP_2) | instskip(NEXT) | instid1(VALU_DEP_1)
	v_lshlrev_b32_e32 v2, 3, v1
	v_sub_co_u32 v2, vcc_lo, v23, v2
	v_subrev_co_ci_u32_e32 v6, vcc_lo, 0, v24, vcc_lo
	s_delay_alu instid0(VALU_DEP_2) | instskip(NEXT) | instid1(VALU_DEP_2)
	v_add_co_u32 v2, vcc_lo, v2, s6
	v_add_co_ci_u32_e32 v6, vcc_lo, s7, v6, vcc_lo
	s_delay_alu instid0(VALU_DEP_2) | instskip(NEXT) | instid1(VALU_DEP_2)
	v_add_co_u32 v7, vcc_lo, v2, -8
	v_add_co_ci_u32_e32 v2, vcc_lo, -1, v6, vcc_lo
	v_cmp_gt_i32_e32 vcc_lo, s8, v1
	v_mad_u32_u24 v6, v5, 33, v0
	s_delay_alu instid0(VALU_DEP_3) | instskip(NEXT) | instid1(VALU_DEP_2)
	v_dual_cndmask_b32 v1, v7, v23 :: v_dual_cndmask_b32 v2, v2, v24
	v_lshlrev_b32_e32 v10, 3, v6
	s_and_saveexec_b32 s5, s4
	s_delay_alu instid0(SALU_CYCLE_1)
	s_xor_b32 s4, exec_lo, s5
	s_cbranch_execz .LBB42_113
; %bb.112:
	v_mov_b32_e32 v7, 0
	s_delay_alu instid0(VALU_DEP_1)
	v_mov_b32_e32 v8, v7
	ds_store_b64 v10, v[7:8]
.LBB42_113:
	s_and_not1_saveexec_b32 s4, s4
	s_cbranch_execz .LBB42_115
; %bb.114:
	flat_load_b64 v[7:8], v[1:2]
	s_waitcnt vmcnt(0) lgkmcnt(0)
	ds_store_b64 v10, v[7:8]
.LBB42_115:
	s_or_b32 exec_lo, exec_lo, s4
	v_add_nc_u32_e32 v7, 8, v5
	s_delay_alu instid0(VALU_DEP_1) | instskip(NEXT) | instid1(VALU_DEP_1)
	v_cmp_le_i32_e64 s4, s8, v7
	s_and_saveexec_b32 s5, s4
	s_delay_alu instid0(SALU_CYCLE_1)
	s_xor_b32 s4, exec_lo, s5
	s_cbranch_execz .LBB42_117
; %bb.116:
	v_mul_u32_u24_e32 v9, 33, v7
	v_mov_b32_e32 v8, 0
	s_delay_alu instid0(VALU_DEP_2) | instskip(NEXT) | instid1(VALU_DEP_2)
	v_add_lshl_u32 v11, v9, v0, 3
	v_mov_b32_e32 v9, v8
	ds_store_b64 v11, v[8:9]
.LBB42_117:
	s_and_not1_saveexec_b32 s5, s4
	s_cbranch_execz .LBB42_119
; %bb.118:
	s_lshl_b32 s22, s10, 3
	s_delay_alu instid0(SALU_CYCLE_1) | instskip(NEXT) | instid1(SALU_CYCLE_1)
	s_ashr_i32 s23, s22, 31
	s_lshl_b64 s[22:23], s[22:23], 3
	s_delay_alu instid0(SALU_CYCLE_1) | instskip(NEXT) | instid1(VALU_DEP_1)
	v_add_co_u32 v8, s4, v1, s22
	v_add_co_ci_u32_e64 v9, s4, s23, v2, s4
	flat_load_b64 v[8:9], v[8:9]
	s_waitcnt vmcnt(0) lgkmcnt(0)
	ds_store_b64 v10, v[8:9] offset:2112
.LBB42_119:
	s_or_b32 exec_lo, exec_lo, s5
	v_add_nc_u32_e32 v8, 16, v5
	s_delay_alu instid0(VALU_DEP_1) | instskip(NEXT) | instid1(VALU_DEP_1)
	v_cmp_le_i32_e64 s4, s8, v8
	s_and_saveexec_b32 s5, s4
	s_delay_alu instid0(SALU_CYCLE_1)
	s_xor_b32 s4, exec_lo, s5
	s_cbranch_execz .LBB42_121
; %bb.120:
	v_mul_u32_u24_e32 v9, 33, v8
	v_mov_b32_e32 v11, 0
	s_delay_alu instid0(VALU_DEP_2) | instskip(NEXT) | instid1(VALU_DEP_2)
	v_add_lshl_u32 v9, v9, v0, 3
	v_mov_b32_e32 v12, v11
	ds_store_b64 v9, v[11:12]
.LBB42_121:
	s_and_not1_saveexec_b32 s5, s4
	s_cbranch_execz .LBB42_123
; %bb.122:
	s_lshl_b32 s22, s10, 4
	s_delay_alu instid0(SALU_CYCLE_1) | instskip(NEXT) | instid1(SALU_CYCLE_1)
	s_ashr_i32 s23, s22, 31
	s_lshl_b64 s[22:23], s[22:23], 3
	s_delay_alu instid0(SALU_CYCLE_1) | instskip(NEXT) | instid1(VALU_DEP_1)
	v_add_co_u32 v11, s4, v1, s22
	v_add_co_ci_u32_e64 v12, s4, s23, v2, s4
	flat_load_b64 v[11:12], v[11:12]
	s_waitcnt vmcnt(0) lgkmcnt(0)
	ds_store_b64 v10, v[11:12] offset:4224
.LBB42_123:
	s_or_b32 exec_lo, exec_lo, s5
	v_add_nc_u32_e32 v9, 24, v5
                                        ; implicit-def: $vgpr11
	s_delay_alu instid0(VALU_DEP_1) | instskip(NEXT) | instid1(VALU_DEP_1)
	v_cmp_le_i32_e64 s4, s8, v9
	s_and_saveexec_b32 s5, s4
	s_delay_alu instid0(SALU_CYCLE_1)
	s_xor_b32 s4, exec_lo, s5
	s_cbranch_execz .LBB42_125
; %bb.124:
	v_mad_u32_u24 v11, v9, 33, v0
	v_mov_b32_e32 v12, 0
	s_delay_alu instid0(VALU_DEP_1)
	v_dual_mov_b32 v13, v12 :: v_dual_lshlrev_b32 v10, 3, v11
	ds_store_b64 v10, v[12:13]
                                        ; implicit-def: $vgpr10
.LBB42_125:
	s_and_not1_saveexec_b32 s5, s4
	s_cbranch_execz .LBB42_127
; %bb.126:
	s_mul_i32 s22, s10, 24
	s_delay_alu instid0(SALU_CYCLE_1) | instskip(NEXT) | instid1(SALU_CYCLE_1)
	s_ashr_i32 s23, s22, 31
	s_lshl_b64 s[22:23], s[22:23], 3
	s_delay_alu instid0(SALU_CYCLE_1) | instskip(NEXT) | instid1(VALU_DEP_1)
	v_add_co_u32 v11, s4, v1, s22
	v_add_co_ci_u32_e64 v12, s4, s23, v2, s4
	flat_load_b64 v[12:13], v[11:12]
	v_add_nc_u32_e32 v11, 0x318, v6
	s_waitcnt vmcnt(0) lgkmcnt(0)
	ds_store_b64 v10, v[12:13] offset:6336
.LBB42_127:
	s_or_b32 exec_lo, exec_lo, s5
	v_lshlrev_b32_e32 v0, 3, v0
	s_delay_alu instid0(VALU_DEP_1) | instskip(NEXT) | instid1(VALU_DEP_1)
	v_add_co_u32 v0, s4, v1, v0
	v_add_co_ci_u32_e64 v1, s4, 0, v2, s4
	s_delay_alu instid0(VALU_DEP_2) | instskip(NEXT) | instid1(VALU_DEP_1)
	v_sub_co_u32 v0, s4, v0, s6
	v_subrev_co_ci_u32_e64 v1, s4, s7, v1, s4
	s_delay_alu instid0(VALU_DEP_2) | instskip(NEXT) | instid1(VALU_DEP_1)
	v_add_co_u32 v0, s4, 0x108, v0
	v_add_co_ci_u32_e64 v2, s4, 0, v1, s4
	v_add_nc_u32_e32 v1, 0x108, v6
	s_delay_alu instid0(VALU_DEP_2)
	v_dual_cndmask_b32 v23, v0, v23 :: v_dual_cndmask_b32 v24, v2, v24
	v_add_nc_u32_e32 v2, 0x210, v6
.LBB42_128:
	v_lshlrev_b32_e32 v0, 3, v6
	v_lshlrev_b32_e32 v5, 3, v5
	;; [unrolled: 1-line block ×8, first 2 shown]
	s_waitcnt lgkmcnt(0)
	s_barrier
	buffer_gl0_inv
	ds_load_b64 v[29:30], v0
	ds_load_b64 v[31:32], v5 offset:9088
	ds_load_b64 v[33:34], v1
	ds_load_b64 v[35:36], v6 offset:9088
	;; [unrolled: 2-line block ×4, first 2 shown]
	ds_load_b128 v[8:11], v3 offset:256
	ds_load_b128 v[0:3], v3 offset:272
	ds_load_2addr_b64 v[12:15], v4 offset1:1
	ds_load_2addr_b64 v[4:7], v4 offset0:2 offset1:3
	s_waitcnt lgkmcnt(0)
	s_barrier
	buffer_gl0_inv
	v_mul_f32_e32 v45, v32, v30
	v_mul_f32_e32 v30, v31, v30
	v_mul_f32_e32 v46, v36, v34
	v_mul_f32_e32 v34, v35, v34
	v_mul_f32_e32 v47, v40, v38
	v_fma_f32 v31, v31, v29, -v45
	v_dual_fmac_f32 v30, v32, v29 :: v_dual_mul_f32 v29, v39, v38
	v_fma_f32 v32, v35, v33, -v46
	v_dual_fmac_f32 v34, v36, v33 :: v_dual_mul_f32 v33, v43, v42
	s_delay_alu instid0(VALU_DEP_3) | instskip(SKIP_3) | instid1(VALU_DEP_4)
	v_dual_add_f32 v31, 0, v31 :: v_dual_add_f32 v30, 0, v30
	v_mul_f32_e32 v48, v44, v42
	v_fma_f32 v35, v39, v37, -v47
	v_fmac_f32_e32 v29, v40, v37
	v_dual_add_f32 v31, v31, v32 :: v_dual_add_f32 v30, v30, v34
	v_fmac_f32_e32 v33, v44, v41
	v_fma_f32 v32, v43, v41, -v48
	s_delay_alu instid0(VALU_DEP_3) | instskip(NEXT) | instid1(VALU_DEP_1)
	v_dual_add_f32 v31, v31, v35 :: v_dual_add_f32 v30, v30, v29
	v_dual_add_f32 v29, v31, v32 :: v_dual_add_f32 v30, v30, v33
	ds_store_b64 v28, v[29:30]
	s_waitcnt lgkmcnt(0)
	s_barrier
	buffer_gl0_inv
	s_and_saveexec_b32 s4, s1
	s_cbranch_execz .LBB42_130
; %bb.129:
	v_lshlrev_b32_e32 v41, 3, v27
	ds_load_2addr_b64 v[29:32], v41 offset1:1
	ds_load_2addr_b64 v[33:36], v41 offset0:2 offset1:3
	s_waitcnt lgkmcnt(1)
	v_dual_add_f32 v18, v18, v30 :: v_dual_add_f32 v17, v17, v29
	ds_load_2addr_b64 v[37:40], v41 offset0:4 offset1:5
	v_dual_add_f32 v18, v18, v32 :: v_dual_add_f32 v17, v17, v31
	ds_load_2addr_b64 v[29:32], v41 offset0:6 offset1:7
	s_waitcnt lgkmcnt(2)
	v_dual_add_f32 v18, v18, v34 :: v_dual_add_f32 v17, v17, v33
	s_delay_alu instid0(VALU_DEP_1) | instskip(SKIP_1) | instid1(VALU_DEP_1)
	v_dual_add_f32 v18, v18, v36 :: v_dual_add_f32 v17, v17, v35
	s_waitcnt lgkmcnt(1)
	v_dual_add_f32 v18, v18, v38 :: v_dual_add_f32 v17, v17, v37
	s_delay_alu instid0(VALU_DEP_1) | instskip(SKIP_1) | instid1(VALU_DEP_1)
	v_dual_add_f32 v18, v18, v40 :: v_dual_add_f32 v17, v17, v39
	s_waitcnt lgkmcnt(0)
	v_dual_add_f32 v18, v18, v30 :: v_dual_add_f32 v17, v17, v29
	s_delay_alu instid0(VALU_DEP_1)
	v_dual_add_f32 v18, v18, v32 :: v_dual_add_f32 v17, v17, v31
.LBB42_130:
	s_or_b32 exec_lo, exec_lo, s4
	v_dual_mul_f32 v29, v13, v9 :: v_dual_mul_f32 v30, v15, v11
	v_mul_f32_e32 v13, v13, v8
	s_barrier
	buffer_gl0_inv
	v_dual_fmac_f32 v30, v14, v10 :: v_dual_fmac_f32 v29, v12, v8
	v_mul_f32_e32 v15, v15, v10
	v_fma_f32 v8, v12, v9, -v13
	v_mul_f32_e32 v31, v5, v1
	s_delay_alu instid0(VALU_DEP_4) | instskip(NEXT) | instid1(VALU_DEP_4)
	v_dual_mul_f32 v9, v7, v3 :: v_dual_add_f32 v10, 0, v29
	v_fma_f32 v11, v14, v11, -v15
	s_delay_alu instid0(VALU_DEP_4) | instskip(SKIP_1) | instid1(VALU_DEP_4)
	v_add_f32_e32 v8, 0, v8
	v_mul_f32_e32 v5, v5, v0
	v_dual_fmac_f32 v31, v4, v0 :: v_dual_add_f32 v0, v10, v30
	v_mul_f32_e32 v7, v7, v2
	v_fmac_f32_e32 v9, v6, v2
	s_delay_alu instid0(VALU_DEP_4) | instskip(SKIP_3) | instid1(VALU_DEP_3)
	v_fma_f32 v1, v4, v1, -v5
	v_add_f32_e32 v4, v8, v11
	v_add_f32_e32 v0, v0, v31
	v_fma_f32 v2, v6, v3, -v7
	v_add_f32_e32 v1, v4, v1
	s_delay_alu instid0(VALU_DEP_1)
	v_dual_add_f32 v0, v0, v9 :: v_dual_add_f32 v1, v1, v2
	ds_store_b64 v28, v[0:1]
	s_waitcnt lgkmcnt(0)
	s_barrier
	buffer_gl0_inv
	s_and_saveexec_b32 s1, s0
	s_cbranch_execz .LBB42_132
; %bb.131:
	v_lshlrev_b32_e32 v12, 3, v27
	ds_load_2addr_b64 v[0:3], v12 offset1:1
	ds_load_2addr_b64 v[4:7], v12 offset0:2 offset1:3
	s_waitcnt lgkmcnt(1)
	v_add_f32_e32 v1, v18, v1
	ds_load_2addr_b64 v[8:11], v12 offset0:4 offset1:5
	v_add_f32_e32 v14, v1, v3
	s_waitcnt lgkmcnt(1)
	s_delay_alu instid0(VALU_DEP_1) | instskip(NEXT) | instid1(VALU_DEP_1)
	v_dual_add_f32 v0, v17, v0 :: v_dual_add_f32 v5, v14, v5
	v_add_f32_e32 v13, v0, v2
	ds_load_2addr_b64 v[0:3], v12 offset0:6 offset1:7
	v_add_f32_e32 v5, v5, v7
	s_waitcnt lgkmcnt(1)
	s_delay_alu instid0(VALU_DEP_1) | instskip(NEXT) | instid1(VALU_DEP_1)
	v_add_f32_e32 v5, v5, v9
	v_add_f32_e32 v5, v5, v11
	s_waitcnt lgkmcnt(0)
	s_delay_alu instid0(VALU_DEP_1) | instskip(NEXT) | instid1(VALU_DEP_1)
	v_add_f32_e32 v1, v5, v1
	v_add_f32_e32 v18, v1, v3
	;; [unrolled: 1-line block ×3, first 2 shown]
	s_delay_alu instid0(VALU_DEP_1) | instskip(NEXT) | instid1(VALU_DEP_1)
	v_add_f32_e32 v4, v4, v6
	v_add_f32_e32 v4, v4, v8
	s_delay_alu instid0(VALU_DEP_1) | instskip(NEXT) | instid1(VALU_DEP_1)
	v_add_f32_e32 v4, v4, v10
	v_add_f32_e32 v0, v4, v0
	s_delay_alu instid0(VALU_DEP_1)
	v_add_f32_e32 v17, v0, v2
.LBB42_132:
	s_or_b32 exec_lo, exec_lo, s1
	s_mul_hi_u32 s0, s15, s12
	s_mul_i32 s27, s27, s12
	s_mul_i32 s1, s15, s12
	s_add_i32 s0, s0, s27
	s_mul_hi_u32 s5, s1, s26
	s_mul_i32 s4, s0, s26
	s_mul_i32 s0, s1, s26
	s_add_i32 s1, s5, s4
	s_mul_i32 s4, s14, s15
	s_lshl_b64 s[0:1], s[0:1], 3
	v_cmp_le_i32_e32 vcc_lo, s8, v25
	s_add_u32 s6, s16, s0
	s_addc_u32 s7, s17, s1
	s_ashr_i32 s5, s4, 31
	v_lshlrev_b32_e32 v72, 3, v25
	s_lshl_b64 s[0:1], s[4:5], 3
	s_delay_alu instid0(SALU_CYCLE_1)
	s_add_u32 s12, s6, s0
	s_addc_u32 s15, s7, s1
	s_and_b32 vcc_lo, s19, vcc_lo
	s_cmp_lt_i32 s14, 1
	s_barrier
	buffer_gl0_inv
	s_cbranch_scc1 .LBB42_139
; %bb.133:
	v_mul_lo_u32 v0, v71, s10
	s_ashr_i32 s9, s8, 31
	v_dual_mov_b32 v1, 0 :: v_dual_and_b32 v6, 15, v25
	s_lshl_b64 s[6:7], s[8:9], 3
	v_lshrrev_b32_e32 v7, 4, v26
	s_mul_i32 s4, s18, s13
	v_add_nc_u32_e32 v76, 0x2380, v72
	s_delay_alu instid0(VALU_DEP_4) | instskip(SKIP_1) | instid1(VALU_DEP_1)
	v_lshl_add_u32 v2, v0, 2, v25
	v_sub_co_u32 v0, s0, v23, s20
	v_subrev_co_ci_u32_e64 v4, s0, s21, v24, s0
	s_delay_alu instid0(VALU_DEP_3) | instskip(NEXT) | instid1(VALU_DEP_3)
	v_ashrrev_i32_e32 v3, 31, v2
	v_sub_co_u32 v0, s0, v0, v21
	s_delay_alu instid0(VALU_DEP_1) | instskip(NEXT) | instid1(VALU_DEP_3)
	v_sub_co_ci_u32_e64 v4, s0, v4, v22, s0
	v_lshlrev_b64 v[2:3], 3, v[2:3]
	s_ashr_i32 s5, s4, 31
	v_lshl_add_u32 v80, v71, 5, 0x2180
	s_lshl_b64 s[4:5], s[4:5], 3
	v_mad_u32_u24 v81, 0x860, v71, v72
	s_ashr_i32 s11, s10, 31
	v_add_co_u32 v0, s0, v0, v2
	s_delay_alu instid0(VALU_DEP_1) | instskip(SKIP_1) | instid1(VALU_DEP_2)
	v_add_co_ci_u32_e64 v2, s0, v4, v3, s0
	s_lshl_b32 s13, s13, 6
	v_add_co_u32 v0, s0, 0xffffff00, v0
	s_delay_alu instid0(VALU_DEP_1) | instskip(SKIP_1) | instid1(VALU_DEP_2)
	v_add_co_ci_u32_e64 v2, s0, -1, v2, s0
	s_mul_hi_i32 s8, s10, 0x68
	v_sub_co_u32 v3, s0, v0, v72
	s_delay_alu instid0(VALU_DEP_1) | instskip(SKIP_1) | instid1(VALU_DEP_2)
	v_subrev_co_ci_u32_e64 v4, s0, 0, v2, s0
	s_mul_i32 s9, s10, 0x68
	v_add_co_u32 v3, s0, v3, s6
	s_delay_alu instid0(VALU_DEP_1) | instskip(SKIP_1) | instid1(VALU_DEP_2)
	v_add_co_ci_u32_e64 v4, s0, s7, v4, s0
	s_mov_b32 s6, 0
	v_add_co_u32 v3, s0, v3, -8
	s_delay_alu instid0(VALU_DEP_1) | instskip(SKIP_3) | instid1(VALU_DEP_4)
	v_add_co_ci_u32_e64 v4, s0, -1, v4, s0
	v_add_nc_u32_e32 v73, 0x2180, v72
	v_and_b32_e32 v8, 48, v25
	v_sub_co_u32 v74, s0, v19, s4
	v_dual_cndmask_b32 v5, v2, v4 :: v_dual_cndmask_b32 v4, v0, v3
	v_or_b32_e32 v0, 0x78, v72
	s_delay_alu instid0(VALU_DEP_4) | instskip(SKIP_2) | instid1(VALU_DEP_4)
	v_lshlrev_b32_e32 v9, 3, v8
	v_lshlrev_b32_e32 v2, 5, v7
	v_subrev_co_ci_u32_e64 v75, s0, s5, v20, s0
	v_mad_u32_u24 v78, 0x218, v6, v0
	v_lshlrev_b32_e32 v0, 3, v7
	v_cmp_gt_u32_e64 s0, 64, v26
	v_mad_u32_u24 v77, 0x218, v6, v9
	v_mad_u32_u24 v79, 0x218, v6, v2
	s_lshl_b64 s[4:5], s[10:11], 3
	v_mad_u32_u24 v82, 0x218, v6, v0
	v_or_b32_e32 v0, v8, v6
	s_branch .LBB42_135
.LBB42_134:                             ;   in Loop: Header=BB42_135 Depth=1
	s_or_b32 exec_lo, exec_lo, s7
	v_mul_f32_e32 v83, v3, v11
	v_dual_mul_f32 v11, v2, v11 :: v_dual_mul_f32 v84, v7, v26
	v_mul_f32_e32 v26, v6, v26
	v_add_nc_u32_e32 v0, 64, v0
	s_delay_alu instid0(VALU_DEP_4)
	v_fma_f32 v2, v2, v10, -v83
	v_mul_f32_e32 v83, v5, v24
	v_fma_f32 v6, v6, v25, -v84
	v_fmac_f32_e32 v26, v7, v25
	s_add_i32 s14, s14, -1
	v_dual_add_f32 v2, v17, v2 :: v_dual_mul_f32 v17, v22, v40
	v_mul_f32_e32 v85, v9, v28
	v_dual_mul_f32 v28, v8, v28 :: v_dual_fmac_f32 v11, v3, v10
	v_mul_f32_e32 v24, v4, v24
	s_delay_alu instid0(VALU_DEP_4) | instskip(NEXT) | instid1(VALU_DEP_4)
	v_add_f32_e32 v2, v2, v6
	v_fma_f32 v3, v8, v27, -v85
	s_delay_alu instid0(VALU_DEP_4) | instskip(SKIP_2) | instid1(VALU_DEP_4)
	v_fmac_f32_e32 v28, v9, v27
	v_dual_add_f32 v7, v18, v11 :: v_dual_mul_f32 v40, v21, v40
	v_fma_f32 v4, v4, v23, -v83
	v_dual_add_f32 v2, v2, v3 :: v_dual_mul_f32 v3, v19, v44
	s_delay_alu instid0(VALU_DEP_3) | instskip(SKIP_2) | instid1(VALU_DEP_4)
	v_dual_add_f32 v7, v7, v26 :: v_dual_fmac_f32 v24, v5, v23
	v_mul_f32_e32 v6, v20, v44
	v_fma_f32 v8, v21, v39, -v17
	v_dual_add_f32 v2, v2, v4 :: v_dual_fmac_f32 v3, v20, v43
	s_delay_alu instid0(VALU_DEP_4) | instskip(SKIP_3) | instid1(VALU_DEP_4)
	v_add_f32_e32 v5, v7, v28
	v_mul_f32_e32 v4, v15, v42
	v_dual_fmac_f32 v40, v22, v39 :: v_dual_mul_f32 v7, v13, v38
	v_fma_f32 v6, v19, v43, -v6
	v_add_f32_e32 v5, v5, v24
	s_delay_alu instid0(VALU_DEP_4)
	v_fma_f32 v4, v14, v41, -v4
	s_add_i32 s6, s6, s13
	v_fma_f32 v7, v12, v37, -v7
	s_cmp_eq_u32 s14, 0
	v_add_f32_e32 v5, v5, v40
	v_add_f32_e32 v2, v2, v8
	s_waitcnt_vscnt null, 0x0
	s_barrier
	buffer_gl0_inv
	v_add_f32_e32 v3, v5, v3
	v_mul_f32_e32 v5, v12, v38
	v_add_f32_e32 v2, v2, v6
	v_mul_f32_e32 v6, v14, v42
	s_delay_alu instid0(VALU_DEP_3) | instskip(NEXT) | instid1(VALU_DEP_3)
	v_dual_mul_f32 v8, v47, v66 :: v_dual_fmac_f32 v5, v13, v37
	v_add_f32_e32 v2, v2, v4
	v_mul_f32_e32 v4, v36, v56
	s_delay_alu instid0(VALU_DEP_2) | instskip(SKIP_1) | instid1(VALU_DEP_3)
	v_add_f32_e32 v2, v2, v7
	v_mul_f32_e32 v7, v34, v62
	v_fma_f32 v4, v35, v55, -v4
	s_delay_alu instid0(VALU_DEP_1) | instskip(NEXT) | instid1(VALU_DEP_3)
	v_add_f32_e32 v2, v2, v4
	v_fma_f32 v4, v33, v61, -v7
	v_dual_mul_f32 v7, v32, v60 :: v_dual_fmac_f32 v6, v15, v41
	s_delay_alu instid0(VALU_DEP_2) | instskip(NEXT) | instid1(VALU_DEP_2)
	v_add_f32_e32 v2, v2, v4
	v_fma_f32 v4, v31, v59, -v7
	s_delay_alu instid0(VALU_DEP_3) | instskip(SKIP_1) | instid1(VALU_DEP_2)
	v_add_f32_e32 v3, v3, v6
	v_dual_mul_f32 v6, v35, v56 :: v_dual_mul_f32 v7, v30, v58
	v_add_f32_e32 v3, v3, v5
	s_delay_alu instid0(VALU_DEP_2) | instskip(NEXT) | instid1(VALU_DEP_1)
	v_dual_mul_f32 v5, v33, v62 :: v_dual_fmac_f32 v6, v36, v55
	v_fmac_f32_e32 v5, v34, v61
	s_delay_alu instid0(VALU_DEP_2) | instskip(SKIP_1) | instid1(VALU_DEP_2)
	v_add_f32_e32 v3, v3, v6
	v_mul_f32_e32 v6, v31, v60
	v_dual_add_f32 v3, v3, v5 :: v_dual_add_f32 v2, v2, v4
	v_fma_f32 v4, v29, v57, -v7
	v_mul_f32_e32 v5, v54, v64
	s_delay_alu instid0(VALU_DEP_4) | instskip(NEXT) | instid1(VALU_DEP_1)
	v_dual_mul_f32 v7, v29, v58 :: v_dual_fmac_f32 v6, v32, v59
	v_fmac_f32_e32 v7, v30, v57
	s_delay_alu instid0(VALU_DEP_2) | instskip(SKIP_3) | instid1(VALU_DEP_4)
	v_dual_add_f32 v3, v3, v6 :: v_dual_mul_f32 v6, v53, v64
	v_add_f32_e32 v2, v2, v4
	v_fma_f32 v4, v53, v63, -v5
	v_mul_f32_e32 v5, v52, v70
	v_add_f32_e32 v3, v3, v7
	v_fmac_f32_e32 v6, v54, v63
	v_mul_f32_e32 v7, v50, v68
	v_add_f32_e32 v2, v2, v4
	v_fma_f32 v4, v51, v69, -v5
	v_mul_f32_e32 v5, v51, v70
	v_add_f32_e32 v3, v3, v6
	v_fma_f32 v6, v49, v67, -v7
	s_delay_alu instid0(VALU_DEP_3) | instskip(SKIP_1) | instid1(VALU_DEP_2)
	v_dual_add_f32 v2, v2, v4 :: v_dual_fmac_f32 v5, v52, v69
	v_dual_mul_f32 v4, v49, v68 :: v_dual_mul_f32 v7, v48, v66
	v_dual_add_f32 v2, v2, v6 :: v_dual_add_f32 v3, v3, v5
	s_delay_alu instid0(VALU_DEP_2) | instskip(NEXT) | instid1(VALU_DEP_3)
	v_fmac_f32_e32 v4, v50, v67
	v_fma_f32 v5, v47, v65, -v7
	s_delay_alu instid0(VALU_DEP_2) | instskip(SKIP_1) | instid1(VALU_DEP_3)
	v_dual_fmac_f32 v8, v48, v65 :: v_dual_add_f32 v3, v3, v4
	v_add_co_u32 v4, s1, v45, s9
	v_add_f32_e32 v17, v2, v5
	v_add_co_ci_u32_e64 v5, s1, s8, v46, s1
	s_delay_alu instid0(VALU_DEP_4)
	v_add_f32_e32 v18, v3, v8
	s_cbranch_scc1 .LBB42_139
.LBB42_135:                             ; =>This Inner Loop Header: Depth=1
	s_and_saveexec_b32 s10, s3
	s_cbranch_execz .LBB42_137
; %bb.136:                              ;   in Loop: Header=BB42_135 Depth=1
	s_ashr_i32 s7, s6, 31
	s_delay_alu instid0(SALU_CYCLE_1) | instskip(NEXT) | instid1(SALU_CYCLE_1)
	s_lshl_b64 s[16:17], s[6:7], 3
	v_add_co_u32 v2, s1, v74, s16
	s_delay_alu instid0(VALU_DEP_1)
	v_add_co_ci_u32_e64 v3, s1, s17, v75, s1
	flat_load_b64 v[2:3], v[2:3]
	s_waitcnt vmcnt(0) lgkmcnt(0)
	ds_store_b64 v73, v[2:3]
.LBB42_137:                             ;   in Loop: Header=BB42_135 Depth=1
	s_or_b32 exec_lo, exec_lo, s10
	s_waitcnt lgkmcnt(0)
	s_barrier
	buffer_gl0_inv
	flat_load_b64 v[2:3], v[4:5]
	v_add_co_u32 v4, s1, v4, s4
	s_delay_alu instid0(VALU_DEP_1) | instskip(SKIP_2) | instid1(VALU_DEP_1)
	v_add_co_ci_u32_e64 v5, s1, s5, v5, s1
	flat_load_b64 v[6:7], v[4:5]
	v_add_co_u32 v4, s1, v4, s4
	v_add_co_ci_u32_e64 v5, s1, s5, v5, s1
	s_delay_alu instid0(VALU_DEP_2) | instskip(NEXT) | instid1(VALU_DEP_1)
	v_add_co_u32 v12, s1, v4, s4
	v_add_co_ci_u32_e64 v13, s1, s5, v5, s1
	s_clause 0x1
	flat_load_b64 v[8:9], v[4:5]
	flat_load_b64 v[4:5], v[12:13]
	ds_load_b64 v[14:15], v76
	ds_load_b64 v[10:11], v80
	v_add_co_u32 v12, s1, v12, s9
	s_delay_alu instid0(VALU_DEP_1) | instskip(NEXT) | instid1(VALU_DEP_2)
	v_add_co_ci_u32_e64 v13, s1, s8, v13, s1
	v_add_co_u32 v29, s1, v12, s4
	s_delay_alu instid0(VALU_DEP_1) | instskip(NEXT) | instid1(VALU_DEP_2)
	v_add_co_ci_u32_e64 v30, s1, s5, v13, s1
	v_add_co_u32 v31, s1, v29, s4
	s_delay_alu instid0(VALU_DEP_1) | instskip(SKIP_3) | instid1(VALU_DEP_2)
	v_add_co_ci_u32_e64 v32, s1, s5, v30, s1
	s_waitcnt vmcnt(3) lgkmcnt(1)
	v_mul_f32_e32 v19, v3, v15
	v_mul_f32_e32 v20, v3, v14
	v_fmac_f32_e32 v19, v2, v14
	s_delay_alu instid0(VALU_DEP_2)
	v_fma_f32 v20, v2, v15, -v20
	s_waitcnt vmcnt(2)
	v_mul_f32_e32 v21, v7, v15
	v_mul_f32_e32 v22, v7, v14
	ds_store_b64 v81, v[19:20]
	ds_load_b64 v[25:26], v80 offset:8
	v_fmac_f32_e32 v21, v6, v14
	s_waitcnt vmcnt(1)
	v_mul_f32_e32 v19, v9, v15
	v_mul_f32_e32 v20, v9, v14
	s_waitcnt vmcnt(0)
	v_mul_f32_e32 v33, v5, v15
	v_mul_f32_e32 v23, v5, v14
	v_fma_f32 v22, v6, v15, -v22
	v_fmac_f32_e32 v19, v8, v14
	v_fma_f32 v20, v8, v15, -v20
	v_fmac_f32_e32 v33, v4, v14
	v_fma_f32 v34, v4, v15, -v23
	ds_store_b64 v81, v[21:22] offset:536
	ds_load_b64 v[27:28], v80 offset:16
	ds_store_b64 v81, v[19:20] offset:1072
	ds_load_b64 v[23:24], v80 offset:24
	ds_store_b64 v81, v[33:34] offset:1608
	v_add_co_u32 v33, s1, v31, s4
	s_waitcnt lgkmcnt(0)
	s_barrier
	buffer_gl0_inv
	ds_load_2addr_b64 v[83:86], v79 offset1:1
	ds_load_2addr_b64 v[87:90], v79 offset0:2 offset1:3
	s_waitcnt lgkmcnt(0)
	s_barrier
	buffer_gl0_inv
	flat_load_b64 v[21:22], v[12:13]
	v_add_co_ci_u32_e64 v34, s1, s5, v32, s1
	s_clause 0x1
	flat_load_b64 v[19:20], v[29:30]
	flat_load_b64 v[14:15], v[31:32]
	;; [unrolled: 1-line block ×3, first 2 shown]
	ds_load_b64 v[29:30], v76
	ds_load_b64 v[39:40], v80 offset:128
	v_add_co_u32 v31, s1, v33, s9
	s_delay_alu instid0(VALU_DEP_1) | instskip(NEXT) | instid1(VALU_DEP_2)
	v_add_co_ci_u32_e64 v32, s1, s8, v34, s1
	v_add_co_u32 v33, s1, v31, s4
	s_delay_alu instid0(VALU_DEP_1) | instskip(SKIP_1) | instid1(VALU_DEP_3)
	v_add_co_ci_u32_e64 v34, s1, s5, v32, s1
	v_add_f32_e32 v112, 0, v84
	v_add_co_u32 v45, s1, v33, s4
	s_delay_alu instid0(VALU_DEP_1)
	v_add_co_ci_u32_e64 v46, s1, s5, v34, s1
	v_add_f32_e32 v111, 0, v83
	s_waitcnt vmcnt(3) lgkmcnt(1)
	v_mul_f32_e32 v35, v22, v30
	s_waitcnt vmcnt(2)
	v_dual_mul_f32 v36, v22, v29 :: v_dual_mul_f32 v37, v20, v30
	s_waitcnt vmcnt(1)
	v_dual_mul_f32 v38, v20, v29 :: v_dual_mul_f32 v47, v15, v30
	v_mul_f32_e32 v41, v15, v29
	s_waitcnt vmcnt(0)
	v_mul_f32_e32 v49, v13, v30
	v_mul_f32_e32 v42, v13, v29
	v_fmac_f32_e32 v35, v21, v29
	v_fma_f32 v36, v21, v30, -v36
	v_fmac_f32_e32 v37, v19, v29
	v_fma_f32 v38, v19, v30, -v38
	;; [unrolled: 2-line block ×4, first 2 shown]
	ds_store_b64 v81, v[35:36]
	ds_load_b64 v[43:44], v80 offset:136
	ds_store_b64 v81, v[37:38] offset:536
	ds_load_b64 v[41:42], v80 offset:144
	ds_store_b64 v81, v[47:48] offset:1072
	v_add_co_u32 v47, s1, v45, s4
	ds_load_b64 v[37:38], v80 offset:152
	ds_store_b64 v81, v[49:50] offset:1608
	s_waitcnt lgkmcnt(0)
	s_barrier
	buffer_gl0_inv
	ds_load_2addr_b64 v[91:94], v79 offset1:1
	ds_load_2addr_b64 v[95:98], v79 offset0:2 offset1:3
	s_waitcnt lgkmcnt(0)
	s_barrier
	buffer_gl0_inv
	flat_load_b64 v[35:36], v[31:32]
	v_add_co_ci_u32_e64 v48, s1, s5, v46, s1
	flat_load_b64 v[33:34], v[33:34]
	flat_load_b64 v[31:32], v[45:46]
	;; [unrolled: 1-line block ×3, first 2 shown]
	ds_load_b64 v[45:46], v76
	ds_load_b64 v[55:56], v80 offset:256
	v_add_co_u32 v47, s1, v47, s9
	s_delay_alu instid0(VALU_DEP_1) | instskip(NEXT) | instid1(VALU_DEP_2)
	v_add_co_ci_u32_e64 v48, s1, s8, v48, s1
	v_add_co_u32 v49, s1, v47, s4
	s_delay_alu instid0(VALU_DEP_1) | instskip(SKIP_1) | instid1(VALU_DEP_3)
	v_add_co_ci_u32_e64 v50, s1, s5, v48, s1
	v_add_f32_e32 v91, 0, v91
	v_add_co_u32 v63, s1, v49, s4
	s_delay_alu instid0(VALU_DEP_1) | instskip(NEXT) | instid1(VALU_DEP_3)
	v_add_co_ci_u32_e64 v64, s1, s5, v50, s1
	v_dual_add_f32 v92, 0, v92 :: v_dual_add_f32 v91, v91, v93
	s_waitcnt vmcnt(3) lgkmcnt(1)
	v_mul_f32_e32 v51, v36, v46
	s_waitcnt vmcnt(2)
	v_dual_mul_f32 v52, v36, v45 :: v_dual_mul_f32 v53, v34, v46
	s_waitcnt vmcnt(1)
	v_dual_mul_f32 v54, v34, v45 :: v_dual_mul_f32 v57, v32, v46
	;; [unrolled: 2-line block ×3, first 2 shown]
	v_mul_f32_e32 v59, v30, v45
	v_fmac_f32_e32 v51, v35, v45
	v_fma_f32 v52, v35, v46, -v52
	v_fmac_f32_e32 v53, v33, v45
	v_fma_f32 v54, v33, v46, -v54
	;; [unrolled: 2-line block ×4, first 2 shown]
	ds_store_b64 v81, v[51:52]
	ds_load_b64 v[61:62], v80 offset:264
	ds_store_b64 v81, v[53:54] offset:536
	v_add_co_u32 v45, s1, v63, s4
	ds_load_b64 v[59:60], v80 offset:272
	ds_store_b64 v81, v[57:58] offset:1072
	ds_load_b64 v[57:58], v80 offset:280
	ds_store_b64 v81, v[65:66] offset:1608
	s_waitcnt lgkmcnt(0)
	s_barrier
	buffer_gl0_inv
	ds_load_2addr_b64 v[99:102], v79 offset1:1
	ds_load_2addr_b64 v[103:106], v79 offset0:2 offset1:3
	s_waitcnt lgkmcnt(0)
	s_barrier
	buffer_gl0_inv
	flat_load_b64 v[53:54], v[47:48]
	v_add_co_ci_u32_e64 v46, s1, s5, v64, s1
	flat_load_b64 v[51:52], v[49:50]
	flat_load_b64 v[49:50], v[63:64]
	;; [unrolled: 1-line block ×3, first 2 shown]
	ds_load_b64 v[65:66], v76
	ds_load_b64 v[63:64], v80 offset:384
	s_waitcnt vmcnt(3) lgkmcnt(1)
	v_mul_f32_e32 v67, v54, v66
	s_waitcnt vmcnt(2)
	v_dual_mul_f32 v68, v54, v65 :: v_dual_mul_f32 v83, v52, v66
	v_mul_f32_e32 v69, v52, v65
	s_waitcnt vmcnt(1)
	v_mul_f32_e32 v107, v50, v66
	s_waitcnt vmcnt(0)
	v_dual_mul_f32 v70, v50, v65 :: v_dual_mul_f32 v109, v48, v66
	v_mul_f32_e32 v110, v48, v65
	v_fma_f32 v68, v53, v66, -v68
	v_fmac_f32_e32 v67, v53, v65
	v_fmac_f32_e32 v83, v51, v65
	v_fma_f32 v84, v51, v66, -v69
	v_fmac_f32_e32 v107, v49, v65
	v_fma_f32 v108, v49, v66, -v70
	;; [unrolled: 2-line block ×3, first 2 shown]
	ds_store_b64 v81, v[67:68]
	ds_load_b64 v[69:70], v80 offset:392
	ds_store_b64 v81, v[83:84] offset:536
	ds_load_b64 v[67:68], v80 offset:400
	ds_store_b64 v81, v[107:108] offset:1072
	;; [unrolled: 2-line block ×3, first 2 shown]
	s_waitcnt lgkmcnt(0)
	s_barrier
	buffer_gl0_inv
	ds_load_2addr_b64 v[107:110], v79 offset1:1
	v_dual_add_f32 v83, v111, v85 :: v_dual_add_f32 v84, v112, v86
	s_delay_alu instid0(VALU_DEP_1)
	v_dual_add_f32 v87, v83, v87 :: v_dual_add_f32 v88, v84, v88
	ds_load_2addr_b64 v[83:86], v79 offset0:2 offset1:3
	s_waitcnt lgkmcnt(0)
	s_barrier
	v_dual_add_f32 v87, v87, v89 :: v_dual_add_f32 v88, v88, v90
	v_dual_add_f32 v89, v92, v94 :: v_dual_add_f32 v90, v91, v95
	;; [unrolled: 1-line block ×3, first 2 shown]
	buffer_gl0_inv
	v_add_f32_e32 v95, v89, v96
	v_add_f32_e32 v89, v90, v97
	v_dual_add_f32 v93, 0, v107 :: v_dual_add_f32 v94, 0, v108
	v_dual_add_f32 v91, v91, v101 :: v_dual_add_f32 v92, v92, v102
	s_delay_alu instid0(VALU_DEP_2) | instskip(NEXT) | instid1(VALU_DEP_2)
	v_dual_add_f32 v90, v95, v98 :: v_dual_add_f32 v93, v93, v109
	v_dual_add_f32 v94, v94, v110 :: v_dual_add_f32 v91, v91, v103
	s_delay_alu instid0(VALU_DEP_2) | instskip(NEXT) | instid1(VALU_DEP_2)
	;; [unrolled: 3-line block ×3, first 2 shown]
	v_dual_add_f32 v84, v92, v106 :: v_dual_add_f32 v85, v93, v85
	v_add_f32_e32 v86, v94, v86
	ds_store_2addr_b64 v82, v[87:88], v[89:90] offset1:16
	ds_store_2addr_b64 v82, v[83:84], v[85:86] offset0:32 offset1:48
	s_waitcnt lgkmcnt(0)
	s_barrier
	buffer_gl0_inv
	s_and_saveexec_b32 s7, s0
	s_cbranch_execz .LBB42_134
; %bb.138:                              ;   in Loop: Header=BB42_135 Depth=1
	ds_load_b64 v[94:95], v77
	ds_load_2addr_b64 v[83:86], v77 offset0:1 offset1:2
	ds_load_2addr_b64 v[87:90], v77 offset0:3 offset1:4
	s_waitcnt lgkmcnt(1)
	v_dual_add_f32 v83, v83, v94 :: v_dual_add_f32 v84, v84, v95
	ds_load_2addr_b64 v[91:94], v77 offset0:5 offset1:6
	v_add_f32_e32 v83, v83, v85
	v_add_f32_e32 v95, v84, v86
	s_waitcnt lgkmcnt(1)
	s_delay_alu instid0(VALU_DEP_2) | instskip(SKIP_3) | instid1(VALU_DEP_2)
	v_add_f32_e32 v87, v83, v87
	ds_load_2addr_b64 v[83:86], v77 offset0:7 offset1:8
	v_add_f32_e32 v88, v95, v88
	v_add_f32_e32 v87, v87, v89
	;; [unrolled: 1-line block ×3, first 2 shown]
	s_waitcnt lgkmcnt(1)
	s_delay_alu instid0(VALU_DEP_2) | instskip(SKIP_3) | instid1(VALU_DEP_2)
	v_add_f32_e32 v91, v87, v91
	ds_load_2addr_b64 v[87:90], v77 offset0:9 offset1:10
	v_add_f32_e32 v92, v95, v92
	v_add_f32_e32 v91, v91, v93
	;; [unrolled: 1-line block ×3, first 2 shown]
	s_waitcnt lgkmcnt(1)
	s_delay_alu instid0(VALU_DEP_2) | instskip(SKIP_4) | instid1(VALU_DEP_1)
	v_add_f32_e32 v83, v91, v83
	ds_load_2addr_b64 v[91:94], v77 offset0:11 offset1:12
	v_add_f32_e32 v84, v95, v84
	v_add_f32_e32 v95, v83, v85
	s_waitcnt lgkmcnt(1)
	v_add_f32_e32 v87, v95, v87
	s_delay_alu instid0(VALU_DEP_1) | instskip(SKIP_1) | instid1(VALU_DEP_1)
	v_add_f32_e32 v89, v87, v89
	s_waitcnt lgkmcnt(0)
	v_add_f32_e32 v89, v89, v91
	s_delay_alu instid0(VALU_DEP_1) | instskip(SKIP_2) | instid1(VALU_DEP_1)
	v_dual_add_f32 v89, v89, v93 :: v_dual_add_f32 v96, v84, v86
	ds_load_2addr_b64 v[83:86], v77 offset0:13 offset1:14
	v_add_f32_e32 v88, v96, v88
	v_add_f32_e32 v90, v88, v90
	ds_load_b64 v[87:88], v78
	v_add_f32_e32 v90, v90, v92
	s_waitcnt lgkmcnt(1)
	s_delay_alu instid0(VALU_DEP_1) | instskip(NEXT) | instid1(VALU_DEP_1)
	v_dual_add_f32 v90, v90, v94 :: v_dual_add_f32 v83, v89, v83
	v_dual_add_f32 v84, v90, v84 :: v_dual_add_f32 v85, v83, v85
	s_delay_alu instid0(VALU_DEP_1) | instskip(SKIP_2) | instid1(VALU_DEP_2)
	v_add_f32_e32 v86, v84, v86
	v_lshlrev_b64 v[83:84], 3, v[0:1]
	s_waitcnt lgkmcnt(0)
	v_dual_add_f32 v85, v85, v87 :: v_dual_add_f32 v86, v86, v88
	s_delay_alu instid0(VALU_DEP_2) | instskip(NEXT) | instid1(VALU_DEP_1)
	v_add_co_u32 v83, s1, s12, v83
	v_add_co_ci_u32_e64 v84, s1, s15, v84, s1
	global_store_b64 v[83:84], v[85:86], off
	s_branch .LBB42_134
.LBB42_139:
	v_mad_u32_u24 v0, 0x218, v71, v72
	s_or_b32 s0, s2, vcc_lo
	s_delay_alu instid0(SALU_CYCLE_1)
	s_xor_b32 s0, s0, -1
	ds_store_b64 v0, v[17:18]
	s_waitcnt lgkmcnt(0)
	s_barrier
	buffer_gl0_inv
	s_and_saveexec_b32 s1, s0
	s_cbranch_execz .LBB42_141
; %bb.140:
	ds_load_2addr_b64 v[0:3], v72 offset1:67
	ds_load_2addr_b64 v[4:7], v72 offset0:134 offset1:201
	v_ashrrev_i32_e32 v17, 31, v16
	s_waitcnt lgkmcnt(1)
	v_dual_add_f32 v0, v2, v0 :: v_dual_add_f32 v1, v3, v1
	s_waitcnt lgkmcnt(0)
	s_delay_alu instid0(VALU_DEP_1) | instskip(SKIP_1) | instid1(VALU_DEP_2)
	v_dual_add_f32 v2, v0, v4 :: v_dual_add_f32 v3, v1, v5
	v_lshlrev_b64 v[0:1], 3, v[16:17]
	v_dual_add_f32 v2, v2, v6 :: v_dual_add_f32 v3, v3, v7
	s_delay_alu instid0(VALU_DEP_2) | instskip(NEXT) | instid1(VALU_DEP_3)
	v_add_co_u32 v0, vcc_lo, s12, v0
	v_add_co_ci_u32_e32 v1, vcc_lo, s15, v1, vcc_lo
	global_store_b64 v[0:1], v[2:3], off
.LBB42_141:
	s_nop 0
	s_sendmsg sendmsg(MSG_DEALLOC_VGPRS)
	s_endpgm
	.section	.rodata,"a",@progbits
	.p2align	6, 0x0
	.amdhsa_kernel _ZL26rocblas_hemvn_kernel_lowerILb1ELi64ELi4ELi33ELi32ELi16EiPK19rocblas_complex_numIfEPKS3_PS1_EviT6_lT7_lT5_lS8_lS9_lS7_lT8_i
		.amdhsa_group_segment_fixed_size 9600
		.amdhsa_private_segment_fixed_size 0
		.amdhsa_kernarg_size 376
		.amdhsa_user_sgpr_count 14
		.amdhsa_user_sgpr_dispatch_ptr 0
		.amdhsa_user_sgpr_queue_ptr 0
		.amdhsa_user_sgpr_kernarg_segment_ptr 1
		.amdhsa_user_sgpr_dispatch_id 0
		.amdhsa_user_sgpr_private_segment_size 0
		.amdhsa_wavefront_size32 1
		.amdhsa_uses_dynamic_stack 0
		.amdhsa_enable_private_segment 0
		.amdhsa_system_sgpr_workgroup_id_x 1
		.amdhsa_system_sgpr_workgroup_id_y 0
		.amdhsa_system_sgpr_workgroup_id_z 1
		.amdhsa_system_sgpr_workgroup_info 0
		.amdhsa_system_vgpr_workitem_id 1
		.amdhsa_next_free_vgpr 113
		.amdhsa_next_free_sgpr 30
		.amdhsa_reserve_vcc 1
		.amdhsa_float_round_mode_32 0
		.amdhsa_float_round_mode_16_64 0
		.amdhsa_float_denorm_mode_32 3
		.amdhsa_float_denorm_mode_16_64 3
		.amdhsa_dx10_clamp 1
		.amdhsa_ieee_mode 1
		.amdhsa_fp16_overflow 0
		.amdhsa_workgroup_processor_mode 1
		.amdhsa_memory_ordered 1
		.amdhsa_forward_progress 0
		.amdhsa_shared_vgpr_count 0
		.amdhsa_exception_fp_ieee_invalid_op 0
		.amdhsa_exception_fp_denorm_src 0
		.amdhsa_exception_fp_ieee_div_zero 0
		.amdhsa_exception_fp_ieee_overflow 0
		.amdhsa_exception_fp_ieee_underflow 0
		.amdhsa_exception_fp_ieee_inexact 0
		.amdhsa_exception_int_div_zero 0
	.end_amdhsa_kernel
	.section	.text._ZL26rocblas_hemvn_kernel_lowerILb1ELi64ELi4ELi33ELi32ELi16EiPK19rocblas_complex_numIfEPKS3_PS1_EviT6_lT7_lT5_lS8_lS9_lS7_lT8_i,"axG",@progbits,_ZL26rocblas_hemvn_kernel_lowerILb1ELi64ELi4ELi33ELi32ELi16EiPK19rocblas_complex_numIfEPKS3_PS1_EviT6_lT7_lT5_lS8_lS9_lS7_lT8_i,comdat
.Lfunc_end42:
	.size	_ZL26rocblas_hemvn_kernel_lowerILb1ELi64ELi4ELi33ELi32ELi16EiPK19rocblas_complex_numIfEPKS3_PS1_EviT6_lT7_lT5_lS8_lS9_lS7_lT8_i, .Lfunc_end42-_ZL26rocblas_hemvn_kernel_lowerILb1ELi64ELi4ELi33ELi32ELi16EiPK19rocblas_complex_numIfEPKS3_PS1_EviT6_lT7_lT5_lS8_lS9_lS7_lT8_i
                                        ; -- End function
	.section	.AMDGPU.csdata,"",@progbits
; Kernel info:
; codeLenInByte = 9056
; NumSgprs: 32
; NumVgprs: 113
; ScratchSize: 0
; MemoryBound: 1
; FloatMode: 240
; IeeeMode: 1
; LDSByteSize: 9600 bytes/workgroup (compile time only)
; SGPRBlocks: 3
; VGPRBlocks: 14
; NumSGPRsForWavesPerEU: 32
; NumVGPRsForWavesPerEU: 113
; Occupancy: 12
; WaveLimiterHint : 1
; COMPUTE_PGM_RSRC2:SCRATCH_EN: 0
; COMPUTE_PGM_RSRC2:USER_SGPR: 14
; COMPUTE_PGM_RSRC2:TRAP_HANDLER: 0
; COMPUTE_PGM_RSRC2:TGID_X_EN: 1
; COMPUTE_PGM_RSRC2:TGID_Y_EN: 0
; COMPUTE_PGM_RSRC2:TGID_Z_EN: 1
; COMPUTE_PGM_RSRC2:TIDIG_COMP_CNT: 1
	.section	.text._ZL36rocblas_hemvn_kernel_lower_block_sumILi64EiPK19rocblas_complex_numIfEPKPS1_S1_EviT1_lS7_lT2_lT0_lPT3_i,"axG",@progbits,_ZL36rocblas_hemvn_kernel_lower_block_sumILi64EiPK19rocblas_complex_numIfEPKPS1_S1_EviT1_lS7_lT2_lT0_lPT3_i,comdat
	.globl	_ZL36rocblas_hemvn_kernel_lower_block_sumILi64EiPK19rocblas_complex_numIfEPKPS1_S1_EviT1_lS7_lT2_lT0_lPT3_i ; -- Begin function _ZL36rocblas_hemvn_kernel_lower_block_sumILi64EiPK19rocblas_complex_numIfEPKPS1_S1_EviT1_lS7_lT2_lT0_lPT3_i
	.p2align	8
	.type	_ZL36rocblas_hemvn_kernel_lower_block_sumILi64EiPK19rocblas_complex_numIfEPKPS1_S1_EviT1_lS7_lT2_lT0_lPT3_i,@function
_ZL36rocblas_hemvn_kernel_lower_block_sumILi64EiPK19rocblas_complex_numIfEPKPS1_S1_EviT1_lS7_lT2_lT0_lPT3_i: ; @_ZL36rocblas_hemvn_kernel_lower_block_sumILi64EiPK19rocblas_complex_numIfEPKPS1_S1_EviT1_lS7_lT2_lT0_lPT3_i
; %bb.0:
	s_load_b256 s[16:23], s[0:1], 0x8
	s_mov_b32 s8, s15
	s_mov_b32 s9, 0
	s_waitcnt lgkmcnt(0)
	s_mul_i32 s3, s15, s19
	s_mul_hi_u32 s4, s15, s18
	s_mul_i32 s2, s15, s18
	s_add_i32 s3, s4, s3
	s_mul_i32 s4, s15, s23
	s_lshl_b64 s[2:3], s[2:3], 3
	s_delay_alu instid0(SALU_CYCLE_1)
	s_add_u32 s2, s16, s2
	s_addc_u32 s3, s17, s3
	s_load_b64 s[6:7], s[2:3], 0x0
	s_mul_hi_u32 s3, s15, s22
	s_mul_i32 s2, s15, s22
	s_add_i32 s3, s3, s4
	s_delay_alu instid0(SALU_CYCLE_1) | instskip(NEXT) | instid1(SALU_CYCLE_1)
	s_lshl_b64 s[2:3], s[2:3], 3
	s_add_u32 s2, s20, s2
	s_addc_u32 s3, s21, s3
	s_load_b64 s[4:5], s[2:3], 0x0
	s_waitcnt lgkmcnt(0)
	s_or_b32 s2, s6, s7
	s_delay_alu instid0(SALU_CYCLE_1) | instskip(NEXT) | instid1(SALU_CYCLE_1)
	s_bitset0_b32 s2, 31
	s_cmp_eq_u32 s2, 0
	s_cselect_b32 s11, -1, 0
	s_cmp_lg_u32 s2, 0
	s_mov_b32 s2, -1
	s_cbranch_scc1 .LBB43_2
; %bb.1:
	v_cmp_neq_f32_e64 s2, s4, 1.0
	v_cmp_neq_f32_e64 s3, s5, 0
	s_delay_alu instid0(VALU_DEP_1)
	s_or_b32 s2, s2, s3
.LBB43_2:
	s_delay_alu instid0(SALU_CYCLE_1)
	s_and_not1_b32 vcc_lo, exec_lo, s2
	s_cbranch_vccnz .LBB43_19
; %bb.3:
	s_clause 0x1
	s_load_b128 s[16:19], s[0:1], 0x28
	s_load_b32 s12, s[0:1], 0x38
	s_lshl_b64 s[2:3], s[8:9], 3
	s_load_b32 s10, s[0:1], 0x0
	v_lshl_or_b32 v0, s14, 6, v0
	s_waitcnt lgkmcnt(0)
	s_add_u32 s2, s16, s2
	s_addc_u32 s3, s17, s3
	s_lshl_b64 s[18:19], s[18:19], 3
	s_load_b64 s[16:17], s[2:3], 0x0
	v_cmp_gt_i32_e64 s2, s10, v0
	s_waitcnt lgkmcnt(0)
	s_add_u32 s3, s16, s18
	s_addc_u32 s9, s17, s19
	s_and_not1_b32 vcc_lo, exec_lo, s11
	s_mov_b32 s11, -1
	s_cbranch_vccnz .LBB43_9
; %bb.4:
	s_and_saveexec_b32 s11, s2
	s_cbranch_execz .LBB43_8
; %bb.5:
	v_mul_lo_u32 v1, v0, s12
	v_cmp_neq_f32_e64 s2, s4, 0
	v_cmp_neq_f32_e64 s13, s5, 0
	v_dual_mov_b32 v3, 0 :: v_dual_mov_b32 v4, 0
	s_delay_alu instid0(VALU_DEP_2) | instskip(NEXT) | instid1(VALU_DEP_4)
	s_or_b32 s2, s2, s13
	v_ashrrev_i32_e32 v2, 31, v1
	s_and_not1_b32 vcc_lo, exec_lo, s2
	s_delay_alu instid0(VALU_DEP_1)
	v_lshlrev_b64 v[1:2], 3, v[1:2]
	s_cbranch_vccnz .LBB43_7
; %bb.6:
	s_delay_alu instid0(VALU_DEP_1) | instskip(NEXT) | instid1(VALU_DEP_2)
	v_add_co_u32 v3, vcc_lo, s3, v1
	v_add_co_ci_u32_e32 v4, vcc_lo, s9, v2, vcc_lo
	global_load_b64 v[5:6], v[3:4], off
	s_waitcnt vmcnt(0)
	v_mul_f32_e32 v4, s4, v6
	s_delay_alu instid0(VALU_DEP_1) | instskip(NEXT) | instid1(VALU_DEP_1)
	v_dual_mul_f32 v3, s5, v6 :: v_dual_fmac_f32 v4, s5, v5
	v_fma_f32 v3, v5, s4, -v3
.LBB43_7:
	s_delay_alu instid0(VALU_DEP_1) | instskip(NEXT) | instid1(VALU_DEP_2)
	v_add_co_u32 v1, vcc_lo, s3, v1
	v_add_co_ci_u32_e32 v2, vcc_lo, s9, v2, vcc_lo
	global_store_b64 v[1:2], v[3:4], off
.LBB43_8:
	s_or_b32 exec_lo, exec_lo, s11
	s_mov_b32 s11, 0
.LBB43_9:
	s_delay_alu instid0(SALU_CYCLE_1)
	s_and_not1_b32 vcc_lo, exec_lo, s11
	s_cbranch_vccnz .LBB43_19
; %bb.10:
	s_mov_b32 s2, exec_lo
	v_cmpx_gt_i32_e64 s10, v0
	s_cbranch_execz .LBB43_19
; %bb.11:
	s_load_b32 s2, s[0:1], 0x58
	v_dual_mov_b32 v3, 0 :: v_dual_mov_b32 v4, 0
	s_waitcnt lgkmcnt(0)
	s_cmp_ge_i32 s14, s2
	s_cbranch_scc1 .LBB43_14
; %bb.12:
	s_load_b64 s[0:1], s[0:1], 0x48
	v_mad_u64_u32 v[1:2], null, s14, s10, v[0:1]
	s_ashr_i32 s11, s10, 31
	s_mul_hi_u32 s13, s10, s8
	s_mul_i32 s15, s11, s8
	s_mul_i32 s8, s10, s8
	s_add_i32 s13, s13, s15
	s_mul_hi_u32 s15, s8, s2
	s_delay_alu instid0(VALU_DEP_1)
	v_ashrrev_i32_e32 v2, 31, v1
	s_mul_i32 s13, s13, s2
	s_mul_i32 s16, s8, s2
	s_add_i32 s17, s15, s13
	v_dual_mov_b32 v3, 0 :: v_dual_mov_b32 v4, 0
	v_lshlrev_b64 v[1:2], 3, v[1:2]
	s_lshl_b64 s[16:17], s[16:17], 3
	s_waitcnt lgkmcnt(0)
	s_add_u32 s0, s0, s16
	s_addc_u32 s1, s1, s17
	s_delay_alu instid0(VALU_DEP_1) | instskip(SKIP_2) | instid1(VALU_DEP_2)
	v_add_co_u32 v1, vcc_lo, s0, v1
	v_add_co_ci_u32_e32 v2, vcc_lo, s1, v2, vcc_lo
	s_lshl_b64 s[0:1], s[10:11], 3
	v_add_co_u32 v1, vcc_lo, v1, 4
	s_delay_alu instid0(VALU_DEP_2)
	v_add_co_ci_u32_e32 v2, vcc_lo, 0, v2, vcc_lo
.LBB43_13:                              ; =>This Inner Loop Header: Depth=1
	global_load_b64 v[5:6], v[1:2], off offset:-4
	v_add_co_u32 v1, vcc_lo, v1, s0
	v_add_co_ci_u32_e32 v2, vcc_lo, s1, v2, vcc_lo
	s_add_i32 s14, s14, 1
	s_delay_alu instid0(SALU_CYCLE_1)
	s_cmp_ge_i32 s14, s2
	s_waitcnt vmcnt(0)
	v_dual_add_f32 v4, v4, v5 :: v_dual_add_f32 v3, v3, v6
	s_cbranch_scc0 .LBB43_13
.LBB43_14:
	v_mul_lo_u32 v2, v0, s12
	s_delay_alu instid0(VALU_DEP_2) | instskip(SKIP_3) | instid1(VALU_DEP_4)
	v_mul_f32_e32 v1, s6, v3
	v_mul_f32_e32 v0, s7, v3
	v_cmp_neq_f32_e64 s0, s4, 0
	v_cmp_neq_f32_e64 s1, s5, 0
	v_fmac_f32_e32 v1, s7, v4
	s_delay_alu instid0(VALU_DEP_4) | instskip(SKIP_1) | instid1(VALU_DEP_4)
	v_fma_f32 v0, v4, s6, -v0
	v_ashrrev_i32_e32 v3, 31, v2
	s_or_b32 s0, s0, s1
	s_delay_alu instid0(SALU_CYCLE_1)
	s_and_not1_b32 vcc_lo, exec_lo, s0
	s_mov_b32 s0, 0
	s_cbranch_vccnz .LBB43_16
; %bb.15:
	s_mov_b32 s0, -1
.LBB43_16:
	s_delay_alu instid0(SALU_CYCLE_1)
	s_and_not1_b32 vcc_lo, exec_lo, s0
	s_cbranch_vccnz .LBB43_18
; %bb.17:
	v_lshlrev_b64 v[4:5], 3, v[2:3]
	s_delay_alu instid0(VALU_DEP_1) | instskip(NEXT) | instid1(VALU_DEP_2)
	v_add_co_u32 v4, vcc_lo, s3, v4
	v_add_co_ci_u32_e32 v5, vcc_lo, s9, v5, vcc_lo
	global_load_b64 v[4:5], v[4:5], off
	s_waitcnt vmcnt(0)
	v_mul_f32_e32 v6, s5, v5
	v_mul_f32_e32 v5, s4, v5
	s_delay_alu instid0(VALU_DEP_1) | instskip(NEXT) | instid1(VALU_DEP_3)
	v_fmac_f32_e32 v5, s5, v4
	v_fma_f32 v6, v4, s4, -v6
	s_delay_alu instid0(VALU_DEP_1)
	v_dual_add_f32 v1, v1, v5 :: v_dual_add_f32 v0, v0, v6
.LBB43_18:
	v_lshlrev_b64 v[2:3], 3, v[2:3]
	s_delay_alu instid0(VALU_DEP_1) | instskip(NEXT) | instid1(VALU_DEP_2)
	v_add_co_u32 v2, vcc_lo, s3, v2
	v_add_co_ci_u32_e32 v3, vcc_lo, s9, v3, vcc_lo
	global_store_b64 v[2:3], v[0:1], off
.LBB43_19:
	s_nop 0
	s_sendmsg sendmsg(MSG_DEALLOC_VGPRS)
	s_endpgm
	.section	.rodata,"a",@progbits
	.p2align	6, 0x0
	.amdhsa_kernel _ZL36rocblas_hemvn_kernel_lower_block_sumILi64EiPK19rocblas_complex_numIfEPKPS1_S1_EviT1_lS7_lT2_lT0_lPT3_i
		.amdhsa_group_segment_fixed_size 0
		.amdhsa_private_segment_fixed_size 0
		.amdhsa_kernarg_size 344
		.amdhsa_user_sgpr_count 14
		.amdhsa_user_sgpr_dispatch_ptr 0
		.amdhsa_user_sgpr_queue_ptr 0
		.amdhsa_user_sgpr_kernarg_segment_ptr 1
		.amdhsa_user_sgpr_dispatch_id 0
		.amdhsa_user_sgpr_private_segment_size 0
		.amdhsa_wavefront_size32 1
		.amdhsa_uses_dynamic_stack 0
		.amdhsa_enable_private_segment 0
		.amdhsa_system_sgpr_workgroup_id_x 1
		.amdhsa_system_sgpr_workgroup_id_y 0
		.amdhsa_system_sgpr_workgroup_id_z 1
		.amdhsa_system_sgpr_workgroup_info 0
		.amdhsa_system_vgpr_workitem_id 0
		.amdhsa_next_free_vgpr 7
		.amdhsa_next_free_sgpr 24
		.amdhsa_reserve_vcc 1
		.amdhsa_float_round_mode_32 0
		.amdhsa_float_round_mode_16_64 0
		.amdhsa_float_denorm_mode_32 3
		.amdhsa_float_denorm_mode_16_64 3
		.amdhsa_dx10_clamp 1
		.amdhsa_ieee_mode 1
		.amdhsa_fp16_overflow 0
		.amdhsa_workgroup_processor_mode 1
		.amdhsa_memory_ordered 1
		.amdhsa_forward_progress 0
		.amdhsa_shared_vgpr_count 0
		.amdhsa_exception_fp_ieee_invalid_op 0
		.amdhsa_exception_fp_denorm_src 0
		.amdhsa_exception_fp_ieee_div_zero 0
		.amdhsa_exception_fp_ieee_overflow 0
		.amdhsa_exception_fp_ieee_underflow 0
		.amdhsa_exception_fp_ieee_inexact 0
		.amdhsa_exception_int_div_zero 0
	.end_amdhsa_kernel
	.section	.text._ZL36rocblas_hemvn_kernel_lower_block_sumILi64EiPK19rocblas_complex_numIfEPKPS1_S1_EviT1_lS7_lT2_lT0_lPT3_i,"axG",@progbits,_ZL36rocblas_hemvn_kernel_lower_block_sumILi64EiPK19rocblas_complex_numIfEPKPS1_S1_EviT1_lS7_lT2_lT0_lPT3_i,comdat
.Lfunc_end43:
	.size	_ZL36rocblas_hemvn_kernel_lower_block_sumILi64EiPK19rocblas_complex_numIfEPKPS1_S1_EviT1_lS7_lT2_lT0_lPT3_i, .Lfunc_end43-_ZL36rocblas_hemvn_kernel_lower_block_sumILi64EiPK19rocblas_complex_numIfEPKPS1_S1_EviT1_lS7_lT2_lT0_lPT3_i
                                        ; -- End function
	.section	.AMDGPU.csdata,"",@progbits
; Kernel info:
; codeLenInByte = 864
; NumSgprs: 26
; NumVgprs: 7
; ScratchSize: 0
; MemoryBound: 0
; FloatMode: 240
; IeeeMode: 1
; LDSByteSize: 0 bytes/workgroup (compile time only)
; SGPRBlocks: 3
; VGPRBlocks: 0
; NumSGPRsForWavesPerEU: 26
; NumVGPRsForWavesPerEU: 7
; Occupancy: 16
; WaveLimiterHint : 1
; COMPUTE_PGM_RSRC2:SCRATCH_EN: 0
; COMPUTE_PGM_RSRC2:USER_SGPR: 14
; COMPUTE_PGM_RSRC2:TRAP_HANDLER: 0
; COMPUTE_PGM_RSRC2:TGID_X_EN: 1
; COMPUTE_PGM_RSRC2:TGID_Y_EN: 0
; COMPUTE_PGM_RSRC2:TGID_Z_EN: 1
; COMPUTE_PGM_RSRC2:TIDIG_COMP_CNT: 0
	.section	.text._ZL26rocblas_hemvn_kernel_lowerILb1ELi64ELi4ELi33ELi32ELi16El19rocblas_complex_numIfEPKPKS1_PS1_EviT6_lT7_lT5_lS8_lS9_lS7_lT8_i,"axG",@progbits,_ZL26rocblas_hemvn_kernel_lowerILb1ELi64ELi4ELi33ELi32ELi16El19rocblas_complex_numIfEPKPKS1_PS1_EviT6_lT7_lT5_lS8_lS9_lS7_lT8_i,comdat
	.globl	_ZL26rocblas_hemvn_kernel_lowerILb1ELi64ELi4ELi33ELi32ELi16El19rocblas_complex_numIfEPKPKS1_PS1_EviT6_lT7_lT5_lS8_lS9_lS7_lT8_i ; -- Begin function _ZL26rocblas_hemvn_kernel_lowerILb1ELi64ELi4ELi33ELi32ELi16El19rocblas_complex_numIfEPKPKS1_PS1_EviT6_lT7_lT5_lS8_lS9_lS7_lT8_i
	.p2align	8
	.type	_ZL26rocblas_hemvn_kernel_lowerILb1ELi64ELi4ELi33ELi32ELi16El19rocblas_complex_numIfEPKPKS1_PS1_EviT6_lT7_lT5_lS8_lS9_lS7_lT8_i,@function
_ZL26rocblas_hemvn_kernel_lowerILb1ELi64ELi4ELi33ELi32ELi16El19rocblas_complex_numIfEPKPKS1_PS1_EviT6_lT7_lT5_lS8_lS9_lS7_lT8_i: ; @_ZL26rocblas_hemvn_kernel_lowerILb1ELi64ELi4ELi33ELi32ELi16El19rocblas_complex_numIfEPKPKS1_PS1_EviT6_lT7_lT5_lS8_lS9_lS7_lT8_i
; %bb.0:
	s_load_b64 s[4:5], s[0:1], 0x84
	s_add_u32 s2, s0, 0x78
	s_addc_u32 s3, s1, 0
	s_waitcnt lgkmcnt(0)
	s_lshr_b32 s6, s4, 16
	s_and_b32 s4, s4, 0xffff
	s_and_b32 s5, s5, 0xffff
	s_mul_i32 s4, s6, s4
	s_delay_alu instid0(SALU_CYCLE_1) | instskip(NEXT) | instid1(SALU_CYCLE_1)
	s_mul_i32 s4, s4, s5
	s_cmpk_lg_i32 s4, 0x100
	s_cbranch_scc1 .LBB44_141
; %bb.1:
	s_clause 0x2
	s_load_b64 s[8:9], s[0:1], 0x4
	s_load_b128 s[4:7], s[0:1], 0x18
	s_load_b64 s[12:13], s[0:1], 0x28
	s_mov_b32 s16, s15
	s_mov_b32 s10, 0
	s_waitcnt lgkmcnt(0)
	s_or_b32 s8, s8, s9
	s_delay_alu instid0(SALU_CYCLE_1) | instskip(NEXT) | instid1(SALU_CYCLE_1)
	s_bitset0_b32 s8, 31
	s_cmp_lg_u32 s8, 0
	s_cselect_b32 s15, -1, 0
	s_delay_alu instid0(SALU_CYCLE_1)
	s_and_b32 vcc_lo, exec_lo, s15
	s_cbranch_vccnz .LBB44_4
; %bb.2:
	s_load_b64 s[8:9], s[0:1], 0x58
	s_mov_b32 s11, 0
	s_waitcnt lgkmcnt(0)
	v_cmp_eq_f32_e64 s8, s8, 1.0
	v_cmp_eq_f32_e64 s9, s9, 0
	s_delay_alu instid0(VALU_DEP_1) | instskip(NEXT) | instid1(SALU_CYCLE_1)
	s_and_b32 s8, s8, s9
	s_and_not1_b32 vcc_lo, exec_lo, s8
                                        ; implicit-def: $sgpr8_sgpr9
	s_cbranch_vccz .LBB44_5
; %bb.3:
	s_mov_b32 s10, -1
	s_mov_b64 s[8:9], 0
	s_branch .LBB44_5
.LBB44_4:
	s_mov_b32 s11, -1
                                        ; implicit-def: $sgpr8_sgpr9
.LBB44_5:
	s_delay_alu instid0(SALU_CYCLE_1)
	s_and_b32 vcc_lo, exec_lo, s11
	s_cbranch_vccz .LBB44_7
; %bb.6:
	s_mov_b32 s17, 0
	s_mov_b32 s10, -1
	s_lshl_b64 s[8:9], s[16:17], 3
	s_delay_alu instid0(SALU_CYCLE_1)
	s_add_u32 s4, s4, s8
	s_addc_u32 s5, s5, s9
	s_lshl_b64 s[6:7], s[6:7], 3
	s_load_b64 s[4:5], s[4:5], 0x0
	s_waitcnt lgkmcnt(0)
	s_add_u32 s8, s4, s6
	s_addc_u32 s9, s5, s7
.LBB44_7:
	s_and_not1_b32 vcc_lo, exec_lo, s10
	s_cbranch_vccnz .LBB44_141
; %bb.8:
	s_clause 0x1
	s_load_b128 s[4:7], s[0:1], 0x38
	s_load_b64 s[10:11], s[0:1], 0x48
	v_cndmask_b32_e64 v1, 0, 1, s15
	s_and_not1_b32 vcc_lo, exec_lo, s15
	s_mov_b64 s[20:21], 0
	s_cbranch_vccnz .LBB44_10
; %bb.9:
	s_mov_b32 s17, 0
	s_delay_alu instid0(SALU_CYCLE_1)
	s_lshl_b64 s[18:19], s[16:17], 3
	s_waitcnt lgkmcnt(0)
	s_add_u32 s4, s4, s18
	s_addc_u32 s5, s5, s19
	s_lshl_b64 s[6:7], s[6:7], 3
	s_load_b64 s[4:5], s[4:5], 0x0
	s_waitcnt lgkmcnt(0)
	s_add_u32 s20, s4, s6
	s_addc_u32 s21, s5, s7
.LBB44_10:
	s_delay_alu instid0(VALU_DEP_1)
	v_cmp_ne_u32_e32 vcc_lo, 1, v1
	s_cbranch_vccnz .LBB44_141
; %bb.11:
	v_and_b32_e32 v26, 0x3ff, v0
	s_lshl_b32 s18, s14, 6
	s_load_b32 s15, s[0:1], 0x0
	s_load_b32 s17, s[2:3], 0x0
	v_bfe_u32 v72, v0, 10, 10
	v_add_nc_u32_e32 v16, s18, v26
	s_delay_alu instid0(VALU_DEP_1) | instskip(SKIP_3) | instid1(VALU_DEP_3)
	v_ashrrev_i32_e32 v17, 31, v16
	s_waitcnt lgkmcnt(0)
	v_mul_lo_u32 v3, v16, s11
	v_mad_u64_u32 v[1:2], null, v16, s10, 0
	v_mul_lo_u32 v4, v17, s10
	s_ashr_i32 s26, s15, 31
	s_delay_alu instid0(VALU_DEP_1)
	v_add3_u32 v2, v2, v3, v4
	s_lshr_b32 s2, s26, 26
	s_add_i32 s4, s17, -1
	s_add_i32 s3, s15, s2
	v_cmp_ne_u32_e64 s2, 0, v72
	v_lshlrev_b64 v[0:1], 3, v[1:2]
	s_and_not1_b32 s3, s3, 63
	s_delay_alu instid0(SALU_CYCLE_1) | instskip(SKIP_2) | instid1(VALU_DEP_2)
	s_sub_i32 s5, s15, s3
	v_cmp_eq_u32_e64 s3, 0, v72
	s_cmp_eq_u32 s14, s4
	v_add_co_u32 v20, vcc_lo, s20, v0
	v_add_co_ci_u32_e32 v21, vcc_lo, s21, v1, vcc_lo
	s_mov_b32 s4, -1
	s_cselect_b32 s20, s5, 0
	s_and_saveexec_b32 s5, s3
	s_cbranch_execz .LBB44_16
; %bb.12:
	v_cmp_le_i32_e32 vcc_lo, s20, v26
	s_cmp_lg_u32 s20, 0
	v_lshl_add_u32 v0, v26, 3, 0x2380
	s_cselect_b32 s6, -1, 0
	s_delay_alu instid0(SALU_CYCLE_1) | instskip(NEXT) | instid1(SALU_CYCLE_1)
	s_and_b32 s6, s6, vcc_lo
	s_and_saveexec_b32 s7, s6
	s_delay_alu instid0(SALU_CYCLE_1)
	s_xor_b32 s6, exec_lo, s7
	s_cbranch_execz .LBB44_14
; %bb.13:
	v_mov_b32_e32 v1, 0
	s_delay_alu instid0(VALU_DEP_1)
	v_mov_b32_e32 v2, v1
	ds_store_b64 v0, v[1:2]
                                        ; implicit-def: $vgpr0
.LBB44_14:
	s_and_not1_saveexec_b32 s6, s6
	s_cbranch_execz .LBB44_16
; %bb.15:
	flat_load_b64 v[1:2], v[20:21]
	s_waitcnt vmcnt(0) lgkmcnt(0)
	ds_store_b64 v0, v[1:2]
.LBB44_16:
	s_or_b32 exec_lo, exec_lo, s5
	v_lshl_add_u32 v27, v72, 6, v26
	v_dual_mov_b32 v1, 0 :: v_dual_and_b32 v0, 31, v26
	s_ashr_i32 s19, s18, 31
	s_mul_i32 s5, s18, s13
	s_delay_alu instid0(VALU_DEP_2)
	v_lshrrev_b32_e32 v5, 5, v27
	s_lshl_b64 s[6:7], s[18:19], 3
	s_mul_hi_u32 s21, s18, s12
	s_add_u32 s8, s8, s6
	s_mul_i32 s22, s19, s12
	v_mad_u64_u32 v[2:3], null, v5, s12, v[0:1]
	s_addc_u32 s9, s9, s7
	s_add_i32 s5, s21, s5
	s_mul_i32 s6, s18, s12
	s_add_i32 s7, s5, s22
	s_delay_alu instid0(SALU_CYCLE_1) | instskip(NEXT) | instid1(VALU_DEP_1)
	s_lshl_b64 s[22:23], s[6:7], 3
	v_mov_b32_e32 v1, v3
	s_add_u32 s5, s22, s8
	s_addc_u32 s6, s23, s9
	s_cmp_lg_u32 s20, 0
	s_cselect_b32 s27, -1, 0
	v_mad_u64_u32 v[3:4], null, v5, s13, v[1:2]
	s_cmp_eq_u32 s20, 0
	s_cselect_b32 s9, -1, 0
	s_delay_alu instid0(VALU_DEP_1) | instskip(NEXT) | instid1(VALU_DEP_1)
	v_lshlrev_b64 v[22:23], 3, v[2:3]
	v_add_co_u32 v1, vcc_lo, s5, v22
	s_delay_alu instid0(VALU_DEP_2)
	v_add_co_ci_u32_e32 v2, vcc_lo, s6, v23, vcc_lo
	s_and_b32 vcc_lo, exec_lo, s27
	s_cbranch_vccnz .LBB44_18
; %bb.17:
	flat_load_b64 v[3:4], v[1:2]
	v_mul_u32_u24_e32 v6, 33, v5
	s_lshl_b64 s[4:5], s[12:13], 6
	s_delay_alu instid0(VALU_DEP_1)
	v_add_lshl_u32 v10, v6, v0, 3
	v_add_co_u32 v6, vcc_lo, v1, s4
	v_add_co_ci_u32_e32 v7, vcc_lo, s5, v2, vcc_lo
	s_waitcnt vmcnt(0) lgkmcnt(0)
	ds_store_b64 v10, v[3:4]
	flat_load_b64 v[3:4], v[6:7]
	v_add_co_u32 v6, vcc_lo, v6, s4
	v_add_co_ci_u32_e32 v7, vcc_lo, s5, v7, vcc_lo
	s_mov_b32 s4, 0
	s_waitcnt vmcnt(0) lgkmcnt(0)
	ds_store_b64 v10, v[3:4] offset:2112
	flat_load_b64 v[3:4], v[6:7]
	v_mad_u64_u32 v[6:7], null, 0xc0, s12, v[1:2]
	s_delay_alu instid0(VALU_DEP_1) | instskip(NEXT) | instid1(VALU_DEP_1)
	v_mad_u64_u32 v[8:9], null, 0xc0, s13, v[7:8]
	v_mov_b32_e32 v7, v8
	s_waitcnt vmcnt(0) lgkmcnt(0)
	ds_store_b64 v10, v[3:4] offset:4224
	flat_load_b64 v[3:4], v[6:7]
	s_waitcnt vmcnt(0) lgkmcnt(0)
	ds_store_b64 v10, v[3:4] offset:6336
.LBB44_18:
	s_and_not1_b32 vcc_lo, exec_lo, s4
	s_cbranch_vccnz .LBB44_36
; %bb.19:
	v_lshlrev_b32_e32 v6, 3, v0
	s_ashr_i32 s21, s20, 31
	v_mul_u32_u24_e32 v7, 33, v5
	s_lshl_b64 s[6:7], s[20:21], 3
	v_cmp_le_i32_e64 s4, s20, v5
	v_sub_co_u32 v3, vcc_lo, v1, v6
	v_subrev_co_ci_u32_e32 v4, vcc_lo, 0, v2, vcc_lo
	v_add_lshl_u32 v7, v7, v0, 3
	s_delay_alu instid0(VALU_DEP_3) | instskip(NEXT) | instid1(VALU_DEP_3)
	v_add_co_u32 v3, vcc_lo, v3, s6
	v_add_co_ci_u32_e32 v4, vcc_lo, s7, v4, vcc_lo
	s_delay_alu instid0(VALU_DEP_2) | instskip(NEXT) | instid1(VALU_DEP_2)
	v_add_co_u32 v3, vcc_lo, v3, -8
	v_add_co_ci_u32_e32 v4, vcc_lo, -1, v4, vcc_lo
	v_cmp_gt_i32_e32 vcc_lo, s20, v0
	s_delay_alu instid0(VALU_DEP_2) | instskip(SKIP_1) | instid1(SALU_CYCLE_1)
	v_dual_cndmask_b32 v3, v3, v1 :: v_dual_cndmask_b32 v4, v4, v2
	s_and_saveexec_b32 s5, s4
	s_xor_b32 s4, exec_lo, s5
	s_cbranch_execz .LBB44_21
; %bb.20:
	v_mov_b32_e32 v8, 0
	s_delay_alu instid0(VALU_DEP_1)
	v_mov_b32_e32 v9, v8
	ds_store_b64 v7, v[8:9]
.LBB44_21:
	s_and_not1_saveexec_b32 s4, s4
	s_cbranch_execz .LBB44_23
; %bb.22:
	flat_load_b64 v[8:9], v[3:4]
	s_waitcnt vmcnt(0) lgkmcnt(0)
	ds_store_b64 v7, v[8:9]
.LBB44_23:
	s_or_b32 exec_lo, exec_lo, s4
	v_add_nc_u32_e32 v8, 8, v5
	s_delay_alu instid0(VALU_DEP_1) | instskip(NEXT) | instid1(VALU_DEP_1)
	v_cmp_le_i32_e64 s4, s20, v8
	s_and_saveexec_b32 s5, s4
	s_delay_alu instid0(SALU_CYCLE_1)
	s_xor_b32 s4, exec_lo, s5
	s_cbranch_execz .LBB44_25
; %bb.24:
	v_mul_u32_u24_e32 v9, 33, v8
	v_mov_b32_e32 v8, 0
	s_delay_alu instid0(VALU_DEP_2) | instskip(NEXT) | instid1(VALU_DEP_2)
	v_add_lshl_u32 v10, v9, v0, 3
	v_mov_b32_e32 v9, v8
	ds_store_b64 v10, v[8:9]
.LBB44_25:
	s_and_not1_saveexec_b32 s5, s4
	s_cbranch_execz .LBB44_27
; %bb.26:
	s_lshl_b64 s[24:25], s[12:13], 6
	s_delay_alu instid0(SALU_CYCLE_1) | instskip(NEXT) | instid1(VALU_DEP_1)
	v_add_co_u32 v8, s4, v3, s24
	v_add_co_ci_u32_e64 v9, s4, s25, v4, s4
	flat_load_b64 v[8:9], v[8:9]
	s_waitcnt vmcnt(0) lgkmcnt(0)
	ds_store_b64 v7, v[8:9] offset:2112
.LBB44_27:
	s_or_b32 exec_lo, exec_lo, s5
	v_add_nc_u32_e32 v8, 16, v5
	s_delay_alu instid0(VALU_DEP_1) | instskip(NEXT) | instid1(VALU_DEP_1)
	v_cmp_le_i32_e64 s4, s20, v8
	s_and_saveexec_b32 s5, s4
	s_delay_alu instid0(SALU_CYCLE_1)
	s_xor_b32 s4, exec_lo, s5
	s_cbranch_execz .LBB44_29
; %bb.28:
	v_mov_b32_e32 v8, 0
	s_delay_alu instid0(VALU_DEP_1)
	v_mov_b32_e32 v9, v8
	ds_store_b64 v7, v[8:9] offset:4224
.LBB44_29:
	s_and_not1_saveexec_b32 s5, s4
	s_cbranch_execz .LBB44_31
; %bb.30:
	s_lshl_b64 s[24:25], s[12:13], 7
	s_delay_alu instid0(SALU_CYCLE_1) | instskip(NEXT) | instid1(VALU_DEP_1)
	v_add_co_u32 v8, s4, v3, s24
	v_add_co_ci_u32_e64 v9, s4, s25, v4, s4
	flat_load_b64 v[8:9], v[8:9]
	s_waitcnt vmcnt(0) lgkmcnt(0)
	ds_store_b64 v7, v[8:9] offset:4224
.LBB44_31:
	s_or_b32 exec_lo, exec_lo, s5
	v_add_nc_u32_e32 v8, 24, v5
	s_delay_alu instid0(VALU_DEP_1) | instskip(NEXT) | instid1(VALU_DEP_1)
	v_cmp_le_i32_e64 s4, s20, v8
	s_and_saveexec_b32 s5, s4
	s_delay_alu instid0(SALU_CYCLE_1)
	s_xor_b32 s4, exec_lo, s5
	s_cbranch_execz .LBB44_33
; %bb.32:
	v_mov_b32_e32 v8, 0
	s_delay_alu instid0(VALU_DEP_1)
	v_mov_b32_e32 v9, v8
	ds_store_b64 v7, v[8:9] offset:6336
                                        ; implicit-def: $vgpr7
.LBB44_33:
	s_and_not1_saveexec_b32 s4, s4
	s_cbranch_execz .LBB44_35
; %bb.34:
	v_mad_u64_u32 v[8:9], null, 0xc0, s12, v[3:4]
	s_delay_alu instid0(VALU_DEP_1) | instskip(NEXT) | instid1(VALU_DEP_1)
	v_mad_u64_u32 v[10:11], null, 0xc0, s13, v[9:10]
	v_mov_b32_e32 v9, v10
	flat_load_b64 v[8:9], v[8:9]
	s_waitcnt vmcnt(0) lgkmcnt(0)
	ds_store_b64 v7, v[8:9] offset:6336
.LBB44_35:
	s_or_b32 exec_lo, exec_lo, s4
	v_add_co_u32 v3, s4, v3, v6
	s_delay_alu instid0(VALU_DEP_1) | instskip(NEXT) | instid1(VALU_DEP_2)
	v_add_co_ci_u32_e64 v4, s4, 0, v4, s4
	v_sub_co_u32 v3, s4, v3, s6
	s_delay_alu instid0(VALU_DEP_1) | instskip(NEXT) | instid1(VALU_DEP_2)
	v_subrev_co_ci_u32_e64 v4, s4, s7, v4, s4
	v_add_co_u32 v3, s4, v3, 8
	s_delay_alu instid0(VALU_DEP_1) | instskip(NEXT) | instid1(VALU_DEP_1)
	v_add_co_ci_u32_e64 v4, s4, 0, v4, s4
	v_dual_cndmask_b32 v1, v3, v1 :: v_dual_cndmask_b32 v2, v4, v2
.LBB44_36:
	v_lshlrev_b32_e32 v6, 2, v5
	s_waitcnt lgkmcnt(0)
	s_barrier
	buffer_gl0_inv
	v_cmp_ge_u32_e64 s5, v6, v0
	s_delay_alu instid0(VALU_DEP_1) | instskip(NEXT) | instid1(SALU_CYCLE_1)
	s_and_saveexec_b32 s4, s5
	s_xor_b32 s4, exec_lo, s4
	s_cbranch_execz .LBB44_40
; %bb.37:
	s_mov_b32 s6, exec_lo
	v_cmpx_eq_u32_e64 v6, v0
	s_cbranch_execz .LBB44_39
; %bb.38:
	v_mul_u32_u24_e32 v3, 34, v0
	s_delay_alu instid0(VALU_DEP_1)
	v_dual_mov_b32 v4, 0 :: v_dual_lshlrev_b32 v3, 3, v3
	ds_store_b32 v3, v4 offset:4
.LBB44_39:
	s_or_b32 exec_lo, exec_lo, s6
.LBB44_40:
	s_or_saveexec_b32 s4, s4
	v_mul_u32_u24_e32 v28, 33, v0
	v_mul_u32_u24_e32 v3, 0x84, v5
	s_delay_alu instid0(VALU_DEP_2)
	v_add_lshl_u32 v4, v6, v28, 3
	s_xor_b32 exec_lo, exec_lo, s4
	s_cbranch_execz .LBB44_42
; %bb.41:
	s_delay_alu instid0(VALU_DEP_2)
	v_add_lshl_u32 v7, v3, v0, 3
	ds_load_b64 v[7:8], v7
	s_waitcnt lgkmcnt(0)
	v_xor_b32_e32 v8, 0x80000000, v8
	ds_store_b64 v4, v[7:8]
.LBB44_42:
	s_or_b32 exec_lo, exec_lo, s4
	v_or_b32_e32 v7, 1, v6
	s_delay_alu instid0(VALU_DEP_1) | instskip(NEXT) | instid1(VALU_DEP_1)
	v_cmp_ge_u32_e64 s6, v7, v0
	s_and_saveexec_b32 s4, s6
	s_delay_alu instid0(SALU_CYCLE_1)
	s_xor_b32 s4, exec_lo, s4
	s_cbranch_execz .LBB44_46
; %bb.43:
	s_mov_b32 s7, exec_lo
	v_cmpx_eq_u32_e64 v7, v0
	s_cbranch_execz .LBB44_45
; %bb.44:
	v_mul_u32_u24_e32 v8, 34, v0
	s_delay_alu instid0(VALU_DEP_1)
	v_dual_mov_b32 v9, 0 :: v_dual_lshlrev_b32 v8, 3, v8
	ds_store_b32 v8, v9 offset:4
.LBB44_45:
	s_or_b32 exec_lo, exec_lo, s7
.LBB44_46:
	s_or_saveexec_b32 s4, s4
	v_mul_u32_u24_e32 v9, 33, v7
	s_xor_b32 exec_lo, exec_lo, s4
	s_cbranch_execz .LBB44_48
; %bb.47:
	s_delay_alu instid0(VALU_DEP_1)
	v_add_lshl_u32 v8, v9, v0, 3
	ds_load_b64 v[10:11], v8
	s_waitcnt lgkmcnt(0)
	v_xor_b32_e32 v11, 0x80000000, v11
	ds_store_b64 v4, v[10:11] offset:8
.LBB44_48:
	s_or_b32 exec_lo, exec_lo, s4
	v_or_b32_e32 v8, 2, v6
	s_delay_alu instid0(VALU_DEP_1) | instskip(NEXT) | instid1(VALU_DEP_1)
	v_cmp_ge_u32_e64 s7, v8, v0
	s_and_saveexec_b32 s4, s7
	s_delay_alu instid0(SALU_CYCLE_1)
	s_xor_b32 s4, exec_lo, s4
	s_cbranch_execz .LBB44_52
; %bb.49:
	s_mov_b32 s8, exec_lo
	v_cmpx_eq_u32_e64 v8, v0
	s_cbranch_execz .LBB44_51
; %bb.50:
	v_mul_u32_u24_e32 v10, 34, v0
	s_delay_alu instid0(VALU_DEP_1)
	v_dual_mov_b32 v11, 0 :: v_dual_lshlrev_b32 v10, 3, v10
	ds_store_b32 v10, v11 offset:4
.LBB44_51:
	s_or_b32 exec_lo, exec_lo, s8
.LBB44_52:
	s_and_not1_saveexec_b32 s4, s4
	s_cbranch_execz .LBB44_54
; %bb.53:
	v_mul_u32_u24_e32 v10, 33, v8
	s_delay_alu instid0(VALU_DEP_1)
	v_add_lshl_u32 v10, v10, v0, 3
	ds_load_b64 v[10:11], v10
	s_waitcnt lgkmcnt(0)
	v_xor_b32_e32 v11, 0x80000000, v11
	ds_store_b64 v4, v[10:11] offset:16
.LBB44_54:
	s_or_b32 exec_lo, exec_lo, s4
	v_or_b32_e32 v10, 3, v6
	s_delay_alu instid0(VALU_DEP_1) | instskip(NEXT) | instid1(VALU_DEP_1)
	v_cmp_ge_u32_e64 s8, v10, v0
	s_and_saveexec_b32 s4, s8
	s_delay_alu instid0(SALU_CYCLE_1)
	s_xor_b32 s4, exec_lo, s4
	s_cbranch_execz .LBB44_58
; %bb.55:
	s_mov_b32 s21, exec_lo
	v_cmpx_eq_u32_e64 v10, v0
	s_cbranch_execz .LBB44_57
; %bb.56:
	v_mul_u32_u24_e32 v11, 34, v0
	s_delay_alu instid0(VALU_DEP_1)
	v_dual_mov_b32 v12, 0 :: v_dual_lshlrev_b32 v11, 3, v11
	ds_store_b32 v11, v12 offset:4
.LBB44_57:
	s_or_b32 exec_lo, exec_lo, s21
.LBB44_58:
	s_and_not1_saveexec_b32 s4, s4
	s_cbranch_execz .LBB44_60
; %bb.59:
	v_mul_u32_u24_e32 v11, 33, v10
	s_delay_alu instid0(VALU_DEP_1)
	v_add_lshl_u32 v11, v11, v0, 3
	ds_load_b64 v[11:12], v11
	s_waitcnt lgkmcnt(0)
	v_xor_b32_e32 v12, 0x80000000, v12
	ds_store_b64 v4, v[11:12] offset:24
.LBB44_60:
	s_or_b32 exec_lo, exec_lo, s4
	v_add_lshl_u32 v11, v3, v0, 3
	v_lshlrev_b32_e32 v3, 3, v6
	v_add_lshl_u32 v9, v9, v0, 3
	s_waitcnt lgkmcnt(0)
	s_barrier
	buffer_gl0_inv
	ds_load_b64 v[18:19], v11
	ds_load_b128 v[12:15], v3 offset:9088
	ds_load_2addr_b64 v[29:32], v9 offset1:33
	ds_load_b128 v[33:36], v3 offset:9104
	ds_load_b64 v[24:25], v9 offset:528
	v_cmp_gt_u32_e64 s4, 32, v27
	s_waitcnt lgkmcnt(0)
	s_barrier
	buffer_gl0_inv
	v_dual_mul_f32 v37, v13, v19 :: v_dual_mul_f32 v38, v15, v30
	v_dual_mul_f32 v19, v12, v19 :: v_dual_mul_f32 v30, v14, v30
	v_mul_f32_e32 v39, v34, v32
	s_delay_alu instid0(VALU_DEP_3) | instskip(NEXT) | instid1(VALU_DEP_4)
	v_fma_f32 v12, v12, v18, -v37
	v_fma_f32 v14, v14, v29, -v38
	s_delay_alu instid0(VALU_DEP_4)
	v_fmac_f32_e32 v19, v13, v18
	v_mul_f32_e32 v32, v33, v32
	v_fmac_f32_e32 v30, v15, v29
	v_add_f32_e32 v12, 0, v12
	v_fma_f32 v18, v33, v31, -v39
	v_add_f32_e32 v15, 0, v19
	v_dual_mul_f32 v13, v36, v25 :: v_dual_fmac_f32 v32, v34, v31
	s_delay_alu instid0(VALU_DEP_4) | instskip(SKIP_1) | instid1(VALU_DEP_3)
	v_dual_add_f32 v12, v12, v14 :: v_dual_mul_f32 v19, v35, v25
	v_add_lshl_u32 v29, v5, v28, 3
	v_fma_f32 v13, v35, v24, -v13
	s_delay_alu instid0(VALU_DEP_3) | instskip(NEXT) | instid1(VALU_DEP_4)
	v_add_f32_e32 v12, v12, v18
	v_dual_add_f32 v14, v15, v30 :: v_dual_fmac_f32 v19, v36, v24
	s_delay_alu instid0(VALU_DEP_2) | instskip(NEXT) | instid1(VALU_DEP_2)
	v_add_f32_e32 v12, v12, v13
	v_add_f32_e32 v14, v14, v32
	s_delay_alu instid0(VALU_DEP_1)
	v_dual_mov_b32 v18, 0 :: v_dual_add_f32 v13, v14, v19
	v_mov_b32_e32 v19, 0
	ds_store_b64 v29, v[12:13]
	s_waitcnt lgkmcnt(0)
	s_barrier
	buffer_gl0_inv
	s_and_saveexec_b32 s21, s4
	s_cbranch_execz .LBB44_62
; %bb.61:
	v_lshlrev_b32_e32 v18, 3, v28
	ds_load_2addr_b64 v[12:15], v18 offset1:7
	ds_load_2addr_b64 v[30:33], v18 offset0:1 offset1:2
	ds_load_2addr_b64 v[34:37], v18 offset0:3 offset1:4
	;; [unrolled: 1-line block ×3, first 2 shown]
	s_waitcnt lgkmcnt(2)
	v_dual_add_f32 v13, v31, v13 :: v_dual_add_f32 v12, v30, v12
	s_delay_alu instid0(VALU_DEP_1) | instskip(SKIP_1) | instid1(VALU_DEP_1)
	v_dual_add_f32 v13, v13, v33 :: v_dual_add_f32 v12, v12, v32
	s_waitcnt lgkmcnt(1)
	v_dual_add_f32 v13, v13, v35 :: v_dual_add_f32 v12, v12, v34
	s_delay_alu instid0(VALU_DEP_1) | instskip(SKIP_1) | instid1(VALU_DEP_1)
	v_dual_add_f32 v13, v13, v37 :: v_dual_add_f32 v12, v12, v36
	s_waitcnt lgkmcnt(0)
	v_dual_add_f32 v13, v13, v39 :: v_dual_add_f32 v12, v12, v38
	s_delay_alu instid0(VALU_DEP_1) | instskip(NEXT) | instid1(VALU_DEP_1)
	v_dual_add_f32 v13, v13, v41 :: v_dual_add_f32 v12, v12, v40
	v_dual_add_f32 v19, v13, v15 :: v_dual_add_f32 v18, v12, v14
.LBB44_62:
	s_or_b32 exec_lo, exec_lo, s21
	s_lshl_b64 s[24:25], s[12:13], 8
	v_cndmask_b32_e64 v12, 0, 1, s9
	v_add_co_u32 v1, vcc_lo, v1, s24
	v_add_co_ci_u32_e32 v2, vcc_lo, s25, v2, vcc_lo
	s_delay_alu instid0(VALU_DEP_2) | instskip(NEXT) | instid1(VALU_DEP_2)
	v_add_co_u32 v13, vcc_lo, 0x100, v1
	v_add_co_ci_u32_e32 v14, vcc_lo, 0, v2, vcc_lo
	s_and_not1_b32 vcc_lo, exec_lo, s9
	s_barrier
	buffer_gl0_inv
	s_cbranch_vccnz .LBB44_64
; %bb.63:
	flat_load_b64 v[24:25], v[1:2] offset:256
	v_mul_u32_u24_e32 v15, 33, v5
	s_lshl_b64 s[24:25], s[12:13], 6
	s_delay_alu instid0(SALU_CYCLE_1) | instskip(NEXT) | instid1(VALU_DEP_2)
	v_add_co_u32 v30, vcc_lo, v1, s24
	v_add_lshl_u32 v15, v15, v0, 3
	v_add_co_ci_u32_e32 v31, vcc_lo, s25, v2, vcc_lo
	s_waitcnt vmcnt(0) lgkmcnt(0)
	ds_store_b64 v15, v[24:25]
	flat_load_b64 v[24:25], v[30:31] offset:256
	v_add_co_u32 v30, vcc_lo, v30, s24
	v_add_co_ci_u32_e32 v31, vcc_lo, s25, v31, vcc_lo
	s_waitcnt vmcnt(0) lgkmcnt(0)
	ds_store_b64 v15, v[24:25] offset:2112
	flat_load_b64 v[24:25], v[30:31] offset:256
	v_mad_u64_u32 v[30:31], null, 0xc0, s12, v[1:2]
	s_delay_alu instid0(VALU_DEP_1) | instskip(NEXT) | instid1(VALU_DEP_1)
	v_mov_b32_e32 v1, v31
	v_mad_u64_u32 v[31:32], null, 0xc0, s13, v[1:2]
	s_waitcnt vmcnt(0) lgkmcnt(0)
	ds_store_b64 v15, v[24:25] offset:4224
	flat_load_b64 v[1:2], v[30:31] offset:256
	s_waitcnt vmcnt(0) lgkmcnt(0)
	ds_store_b64 v15, v[1:2] offset:6336
	s_cbranch_execz .LBB44_65
	s_branch .LBB44_82
.LBB44_64:
.LBB44_65:
	v_or_b32_e32 v1, 32, v0
	s_ashr_i32 s21, s20, 31
	v_mul_u32_u24_e32 v24, 33, v5
	s_lshl_b64 s[24:25], s[20:21], 3
	s_sub_i32 s21, s20, 32
	v_lshlrev_b32_e32 v2, 3, v1
	v_cmp_le_i32_e64 s9, s21, v5
	s_delay_alu instid0(VALU_DEP_2) | instskip(SKIP_1) | instid1(VALU_DEP_2)
	v_sub_co_u32 v2, vcc_lo, v13, v2
	v_subrev_co_ci_u32_e32 v15, vcc_lo, 0, v14, vcc_lo
	v_add_co_u32 v2, vcc_lo, v2, s24
	s_delay_alu instid0(VALU_DEP_2) | instskip(NEXT) | instid1(VALU_DEP_2)
	v_add_co_ci_u32_e32 v15, vcc_lo, s25, v15, vcc_lo
	v_add_co_u32 v25, vcc_lo, v2, -8
	s_delay_alu instid0(VALU_DEP_2) | instskip(SKIP_2) | instid1(VALU_DEP_3)
	v_add_co_ci_u32_e32 v2, vcc_lo, -1, v15, vcc_lo
	v_cmp_gt_i32_e32 vcc_lo, s20, v1
	v_add_lshl_u32 v15, v24, v0, 3
	v_dual_cndmask_b32 v2, v2, v14 :: v_dual_cndmask_b32 v1, v25, v13
	s_and_saveexec_b32 s28, s9
	s_delay_alu instid0(SALU_CYCLE_1)
	s_xor_b32 s9, exec_lo, s28
	s_cbranch_execz .LBB44_67
; %bb.66:
	v_mov_b32_e32 v24, 0
	s_delay_alu instid0(VALU_DEP_1)
	v_mov_b32_e32 v25, v24
	ds_store_b64 v15, v[24:25]
.LBB44_67:
	s_and_not1_saveexec_b32 s9, s9
	s_cbranch_execz .LBB44_69
; %bb.68:
	flat_load_b64 v[24:25], v[1:2]
	s_waitcnt vmcnt(0) lgkmcnt(0)
	ds_store_b64 v15, v[24:25]
.LBB44_69:
	s_or_b32 exec_lo, exec_lo, s9
	v_add_nc_u32_e32 v24, 8, v5
	s_delay_alu instid0(VALU_DEP_1) | instskip(NEXT) | instid1(VALU_DEP_1)
	v_cmp_le_i32_e64 s9, s21, v24
	s_and_saveexec_b32 s28, s9
	s_delay_alu instid0(SALU_CYCLE_1)
	s_xor_b32 s9, exec_lo, s28
	s_cbranch_execz .LBB44_71
; %bb.70:
	v_mul_u32_u24_e32 v25, 33, v24
	v_mov_b32_e32 v24, 0
	s_delay_alu instid0(VALU_DEP_2) | instskip(NEXT) | instid1(VALU_DEP_2)
	v_add_lshl_u32 v30, v25, v0, 3
	v_mov_b32_e32 v25, v24
	ds_store_b64 v30, v[24:25]
.LBB44_71:
	s_and_not1_saveexec_b32 s28, s9
	s_cbranch_execz .LBB44_73
; %bb.72:
	s_lshl_b64 s[30:31], s[12:13], 6
	s_delay_alu instid0(SALU_CYCLE_1) | instskip(NEXT) | instid1(VALU_DEP_1)
	v_add_co_u32 v24, s9, v1, s30
	v_add_co_ci_u32_e64 v25, s9, s31, v2, s9
	flat_load_b64 v[24:25], v[24:25]
	s_waitcnt vmcnt(0) lgkmcnt(0)
	ds_store_b64 v15, v[24:25] offset:2112
.LBB44_73:
	s_or_b32 exec_lo, exec_lo, s28
	v_add_nc_u32_e32 v24, 16, v5
	s_delay_alu instid0(VALU_DEP_1) | instskip(NEXT) | instid1(VALU_DEP_1)
	v_cmp_le_i32_e64 s9, s21, v24
	s_and_saveexec_b32 s28, s9
	s_delay_alu instid0(SALU_CYCLE_1)
	s_xor_b32 s9, exec_lo, s28
	s_cbranch_execz .LBB44_75
; %bb.74:
	v_mov_b32_e32 v24, 0
	s_delay_alu instid0(VALU_DEP_1)
	v_mov_b32_e32 v25, v24
	ds_store_b64 v15, v[24:25] offset:4224
.LBB44_75:
	s_and_not1_saveexec_b32 s28, s9
	s_cbranch_execz .LBB44_77
; %bb.76:
	s_lshl_b64 s[30:31], s[12:13], 7
	s_delay_alu instid0(SALU_CYCLE_1) | instskip(NEXT) | instid1(VALU_DEP_1)
	v_add_co_u32 v24, s9, v1, s30
	v_add_co_ci_u32_e64 v25, s9, s31, v2, s9
	flat_load_b64 v[24:25], v[24:25]
	s_waitcnt vmcnt(0) lgkmcnt(0)
	ds_store_b64 v15, v[24:25] offset:4224
.LBB44_77:
	s_or_b32 exec_lo, exec_lo, s28
	v_add_nc_u32_e32 v24, 24, v5
	s_delay_alu instid0(VALU_DEP_1) | instskip(NEXT) | instid1(VALU_DEP_1)
	v_cmp_le_i32_e64 s9, s21, v24
	s_and_saveexec_b32 s21, s9
	s_delay_alu instid0(SALU_CYCLE_1)
	s_xor_b32 s9, exec_lo, s21
	s_cbranch_execz .LBB44_79
; %bb.78:
	v_mov_b32_e32 v24, 0
	s_delay_alu instid0(VALU_DEP_1)
	v_mov_b32_e32 v25, v24
	ds_store_b64 v15, v[24:25] offset:6336
                                        ; implicit-def: $vgpr15
.LBB44_79:
	s_and_not1_saveexec_b32 s9, s9
	s_cbranch_execz .LBB44_81
; %bb.80:
	v_mad_u64_u32 v[24:25], null, 0xc0, s12, v[1:2]
	s_delay_alu instid0(VALU_DEP_1) | instskip(NEXT) | instid1(VALU_DEP_1)
	v_mad_u64_u32 v[30:31], null, 0xc0, s13, v[25:26]
	v_mov_b32_e32 v25, v30
	flat_load_b64 v[24:25], v[24:25]
	s_waitcnt vmcnt(0) lgkmcnt(0)
	ds_store_b64 v15, v[24:25] offset:6336
.LBB44_81:
	s_or_b32 exec_lo, exec_lo, s9
	v_lshlrev_b32_e32 v15, 3, v0
	s_delay_alu instid0(VALU_DEP_1) | instskip(NEXT) | instid1(VALU_DEP_1)
	v_add_co_u32 v1, s9, v1, v15
	v_add_co_ci_u32_e64 v2, s9, 0, v2, s9
	s_delay_alu instid0(VALU_DEP_2) | instskip(NEXT) | instid1(VALU_DEP_1)
	v_sub_co_u32 v1, s9, v1, s24
	v_subrev_co_ci_u32_e64 v2, s9, s25, v2, s9
	s_delay_alu instid0(VALU_DEP_2) | instskip(NEXT) | instid1(VALU_DEP_1)
	v_add_co_u32 v1, s9, 0x108, v1
	v_add_co_ci_u32_e64 v2, s9, 0, v2, s9
	s_delay_alu instid0(VALU_DEP_1)
	v_dual_cndmask_b32 v13, v1, v13 :: v_dual_cndmask_b32 v14, v2, v14
.LBB44_82:
	v_add_nc_u32_e32 v3, 0x2380, v3
	s_lshl_b64 s[24:25], s[12:13], 5
	s_waitcnt lgkmcnt(0)
	s_barrier
	buffer_gl0_inv
	s_and_saveexec_b32 s9, s5
	s_delay_alu instid0(SALU_CYCLE_1)
	s_xor_b32 s5, exec_lo, s9
	s_cbranch_execnz .LBB44_95
; %bb.83:
	s_and_not1_saveexec_b32 s5, s5
	s_cbranch_execnz .LBB44_98
.LBB44_84:
	s_or_b32 exec_lo, exec_lo, s5
	s_and_saveexec_b32 s5, s6
	s_delay_alu instid0(SALU_CYCLE_1)
	s_xor_b32 s5, exec_lo, s5
	s_cbranch_execnz .LBB44_99
.LBB44_85:
	s_and_not1_saveexec_b32 s5, s5
	s_cbranch_execnz .LBB44_102
.LBB44_86:
	s_or_b32 exec_lo, exec_lo, s5
	s_and_saveexec_b32 s5, s7
	s_delay_alu instid0(SALU_CYCLE_1)
	s_xor_b32 s5, exec_lo, s5
	s_cbranch_execnz .LBB44_103
.LBB44_87:
	s_and_not1_saveexec_b32 s5, s5
	s_cbranch_execnz .LBB44_106
.LBB44_88:
	s_or_b32 exec_lo, exec_lo, s5
	s_and_saveexec_b32 s5, s8
	s_delay_alu instid0(SALU_CYCLE_1)
	s_xor_b32 s5, exec_lo, s5
	s_cbranch_execnz .LBB44_107
.LBB44_89:
	s_and_not1_saveexec_b32 s5, s5
	s_cbranch_execz .LBB44_91
.LBB44_90:
	ds_load_b64 v[1:2], v9 offset:528
	s_waitcnt lgkmcnt(0)
	v_xor_b32_e32 v2, 0x80000000, v2
	ds_store_b64 v4, v[1:2] offset:24
.LBB44_91:
	s_or_b32 exec_lo, exec_lo, s5
	s_waitcnt lgkmcnt(0)
	s_barrier
	buffer_gl0_inv
	ds_load_b64 v[1:2], v11
	ds_load_b128 v[30:33], v3 offset:256
	ds_load_2addr_b64 v[34:37], v9 offset1:33
	ds_load_b128 v[38:41], v3 offset:272
	ds_load_b64 v[6:7], v9 offset:528
	v_cmp_eq_u32_e64 s5, 1, v5
	s_waitcnt lgkmcnt(0)
	s_barrier
	buffer_gl0_inv
	v_dual_mul_f32 v8, v31, v2 :: v_dual_mul_f32 v9, v33, v35
	v_dual_mul_f32 v2, v30, v2 :: v_dual_mul_f32 v11, v39, v37
	;; [unrolled: 1-line block ×3, first 2 shown]
	s_delay_alu instid0(VALU_DEP_3) | instskip(NEXT) | instid1(VALU_DEP_3)
	v_fma_f32 v8, v30, v1, -v8
	v_dual_fmac_f32 v2, v31, v1 :: v_dual_mul_f32 v1, v41, v7
	v_fma_f32 v9, v32, v34, -v9
	s_delay_alu instid0(VALU_DEP_4) | instskip(NEXT) | instid1(VALU_DEP_4)
	v_dual_fmac_f32 v10, v33, v34 :: v_dual_mul_f32 v7, v40, v7
	v_add_f32_e32 v8, 0, v8
	s_delay_alu instid0(VALU_DEP_4) | instskip(SKIP_1) | instid1(VALU_DEP_3)
	v_dual_add_f32 v2, 0, v2 :: v_dual_fmac_f32 v15, v39, v36
	v_fma_f32 v11, v38, v36, -v11
	v_dual_fmac_f32 v7, v41, v6 :: v_dual_add_f32 v8, v8, v9
	s_delay_alu instid0(VALU_DEP_3) | instskip(SKIP_1) | instid1(VALU_DEP_3)
	v_add_f32_e32 v2, v2, v10
	v_fma_f32 v1, v40, v6, -v1
	v_add_f32_e32 v6, v8, v11
	s_delay_alu instid0(VALU_DEP_3) | instskip(NEXT) | instid1(VALU_DEP_2)
	v_add_f32_e32 v2, v2, v15
	v_add_f32_e32 v1, v6, v1
	s_delay_alu instid0(VALU_DEP_2)
	v_add_f32_e32 v2, v2, v7
	ds_store_b64 v29, v[1:2]
	s_waitcnt lgkmcnt(0)
	s_barrier
	buffer_gl0_inv
	s_and_saveexec_b32 s6, s5
	s_cbranch_execz .LBB44_93
; %bb.92:
	v_lshlrev_b32_e32 v1, 3, v28
	ds_load_2addr_b64 v[6:9], v1 offset1:7
	ds_load_2addr_b64 v[30:33], v1 offset0:1 offset1:2
	ds_load_2addr_b64 v[34:37], v1 offset0:3 offset1:4
	;; [unrolled: 1-line block ×3, first 2 shown]
	s_waitcnt lgkmcnt(2)
	v_dual_add_f32 v2, v31, v7 :: v_dual_add_f32 v1, v30, v6
	s_delay_alu instid0(VALU_DEP_1) | instskip(SKIP_1) | instid1(VALU_DEP_1)
	v_dual_add_f32 v2, v2, v33 :: v_dual_add_f32 v1, v1, v32
	s_waitcnt lgkmcnt(1)
	v_dual_add_f32 v2, v2, v35 :: v_dual_add_f32 v1, v1, v34
	s_delay_alu instid0(VALU_DEP_1) | instskip(SKIP_1) | instid1(VALU_DEP_1)
	v_dual_add_f32 v2, v2, v37 :: v_dual_add_f32 v1, v1, v36
	s_waitcnt lgkmcnt(0)
	v_dual_add_f32 v2, v2, v39 :: v_dual_add_f32 v1, v1, v38
	s_delay_alu instid0(VALU_DEP_1) | instskip(NEXT) | instid1(VALU_DEP_1)
	v_dual_add_f32 v2, v2, v41 :: v_dual_add_f32 v1, v1, v40
	v_dual_add_f32 v19, v2, v9 :: v_dual_add_f32 v18, v1, v8
.LBB44_93:
	s_or_b32 exec_lo, exec_lo, s6
	s_lshl_b64 s[6:7], s[24:25], 3
	v_cmp_ne_u32_e32 vcc_lo, 1, v12
	v_sub_co_u32 v24, s6, v13, s6
	s_delay_alu instid0(VALU_DEP_1)
	v_subrev_co_ci_u32_e64 v25, s6, s7, v14, s6
	s_barrier
	buffer_gl0_inv
	s_cbranch_vccnz .LBB44_110
; %bb.94:
	flat_load_b64 v[1:2], v[24:25]
	v_mad_u32_u24 v6, v5, 33, v0
	s_lshl_b64 s[6:7], s[12:13], 6
	s_delay_alu instid0(SALU_CYCLE_1) | instskip(NEXT) | instid1(VALU_DEP_2)
	v_add_co_u32 v7, vcc_lo, v24, s6
	v_lshlrev_b32_e32 v13, 3, v6
	v_add_co_ci_u32_e32 v8, vcc_lo, s7, v25, vcc_lo
	s_waitcnt vmcnt(0) lgkmcnt(0)
	ds_store_b64 v13, v[1:2]
	flat_load_b64 v[1:2], v[7:8]
	v_add_co_u32 v7, vcc_lo, v7, s6
	v_add_co_ci_u32_e32 v8, vcc_lo, s7, v8, vcc_lo
	s_waitcnt vmcnt(0) lgkmcnt(0)
	ds_store_b64 v13, v[1:2] offset:2112
	flat_load_b64 v[1:2], v[7:8]
	v_mad_u64_u32 v[7:8], null, 0xc0, s12, v[24:25]
	s_delay_alu instid0(VALU_DEP_1) | instskip(SKIP_1) | instid1(VALU_DEP_2)
	v_mad_u64_u32 v[9:10], null, 0xc0, s13, v[8:9]
	v_add_nc_u32_e32 v10, 0x318, v6
	v_dual_mov_b32 v8, v9 :: v_dual_add_nc_u32 v9, 24, v5
	s_waitcnt vmcnt(0) lgkmcnt(0)
	ds_store_b64 v13, v[1:2] offset:4224
	flat_load_b64 v[11:12], v[7:8]
	v_add_nc_u32_e32 v7, 8, v5
	v_add_nc_u32_e32 v1, 0x108, v6
	;; [unrolled: 1-line block ×4, first 2 shown]
	s_waitcnt vmcnt(0) lgkmcnt(0)
	ds_store_b64 v13, v[11:12] offset:6336
	s_cbranch_execz .LBB44_111
	s_branch .LBB44_128
.LBB44_95:
	s_mov_b32 s9, exec_lo
	v_cmpx_eq_u32_e64 v6, v0
	s_cbranch_execz .LBB44_97
; %bb.96:
	v_mul_u32_u24_e32 v1, 34, v0
	s_delay_alu instid0(VALU_DEP_1)
	v_dual_mov_b32 v2, 0 :: v_dual_lshlrev_b32 v1, 3, v1
	ds_store_b32 v1, v2 offset:4
.LBB44_97:
	s_or_b32 exec_lo, exec_lo, s9
	s_and_not1_saveexec_b32 s5, s5
	s_cbranch_execz .LBB44_84
.LBB44_98:
	ds_load_b64 v[1:2], v11
	s_waitcnt lgkmcnt(0)
	v_xor_b32_e32 v2, 0x80000000, v2
	ds_store_b64 v4, v[1:2]
	s_or_b32 exec_lo, exec_lo, s5
	s_and_saveexec_b32 s5, s6
	s_delay_alu instid0(SALU_CYCLE_1)
	s_xor_b32 s5, exec_lo, s5
	s_cbranch_execz .LBB44_85
.LBB44_99:
	s_mov_b32 s6, exec_lo
	v_cmpx_eq_u32_e64 v7, v0
	s_cbranch_execz .LBB44_101
; %bb.100:
	v_mul_u32_u24_e32 v1, 34, v0
	s_delay_alu instid0(VALU_DEP_1)
	v_dual_mov_b32 v2, 0 :: v_dual_lshlrev_b32 v1, 3, v1
	ds_store_b32 v1, v2 offset:4
.LBB44_101:
	s_or_b32 exec_lo, exec_lo, s6
	s_and_not1_saveexec_b32 s5, s5
	s_cbranch_execz .LBB44_86
.LBB44_102:
	ds_load_b64 v[1:2], v9
	s_waitcnt lgkmcnt(0)
	v_xor_b32_e32 v2, 0x80000000, v2
	ds_store_b64 v4, v[1:2] offset:8
	s_or_b32 exec_lo, exec_lo, s5
	s_and_saveexec_b32 s5, s7
	s_delay_alu instid0(SALU_CYCLE_1)
	s_xor_b32 s5, exec_lo, s5
	s_cbranch_execz .LBB44_87
.LBB44_103:
	s_mov_b32 s6, exec_lo
	v_cmpx_eq_u32_e64 v8, v0
	s_cbranch_execz .LBB44_105
; %bb.104:
	v_mul_u32_u24_e32 v1, 34, v0
	s_delay_alu instid0(VALU_DEP_1)
	v_dual_mov_b32 v2, 0 :: v_dual_lshlrev_b32 v1, 3, v1
	ds_store_b32 v1, v2 offset:4
.LBB44_105:
	s_or_b32 exec_lo, exec_lo, s6
	s_and_not1_saveexec_b32 s5, s5
	s_cbranch_execz .LBB44_88
.LBB44_106:
	ds_load_b64 v[1:2], v9 offset:264
	s_waitcnt lgkmcnt(0)
	v_xor_b32_e32 v2, 0x80000000, v2
	ds_store_b64 v4, v[1:2] offset:16
	s_or_b32 exec_lo, exec_lo, s5
	s_and_saveexec_b32 s5, s8
	s_delay_alu instid0(SALU_CYCLE_1)
	s_xor_b32 s5, exec_lo, s5
	s_cbranch_execz .LBB44_89
.LBB44_107:
	s_mov_b32 s6, exec_lo
	v_cmpx_eq_u32_e64 v10, v0
	s_cbranch_execz .LBB44_109
; %bb.108:
	v_mul_u32_u24_e32 v1, 34, v0
	s_delay_alu instid0(VALU_DEP_1)
	v_dual_mov_b32 v2, 0 :: v_dual_lshlrev_b32 v1, 3, v1
	ds_store_b32 v1, v2 offset:4
.LBB44_109:
	s_or_b32 exec_lo, exec_lo, s6
	s_and_not1_saveexec_b32 s5, s5
	s_cbranch_execnz .LBB44_90
	s_branch .LBB44_91
.LBB44_110:
                                        ; implicit-def: $vgpr6
                                        ; implicit-def: $vgpr7
                                        ; implicit-def: $vgpr1
                                        ; implicit-def: $vgpr8
                                        ; implicit-def: $vgpr2
                                        ; implicit-def: $vgpr9
                                        ; implicit-def: $vgpr10
.LBB44_111:
	v_or_b32_e32 v1, 32, v0
	s_ashr_i32 s21, s20, 31
	v_cmp_le_i32_e64 s6, s20, v5
	s_lshl_b64 s[8:9], s[20:21], 3
	s_delay_alu instid0(VALU_DEP_2) | instskip(NEXT) | instid1(VALU_DEP_1)
	v_lshlrev_b32_e32 v2, 3, v1
	v_sub_co_u32 v2, vcc_lo, v24, v2
	v_subrev_co_ci_u32_e32 v6, vcc_lo, 0, v25, vcc_lo
	s_delay_alu instid0(VALU_DEP_2) | instskip(NEXT) | instid1(VALU_DEP_2)
	v_add_co_u32 v2, vcc_lo, v2, s8
	v_add_co_ci_u32_e32 v6, vcc_lo, s9, v6, vcc_lo
	s_delay_alu instid0(VALU_DEP_2) | instskip(NEXT) | instid1(VALU_DEP_2)
	v_add_co_u32 v7, vcc_lo, v2, -8
	v_add_co_ci_u32_e32 v2, vcc_lo, -1, v6, vcc_lo
	v_cmp_gt_i32_e32 vcc_lo, s20, v1
	v_mad_u32_u24 v6, v5, 33, v0
	s_delay_alu instid0(VALU_DEP_3) | instskip(NEXT) | instid1(VALU_DEP_2)
	v_dual_cndmask_b32 v1, v7, v24 :: v_dual_cndmask_b32 v2, v2, v25
	v_lshlrev_b32_e32 v11, 3, v6
	s_and_saveexec_b32 s7, s6
	s_delay_alu instid0(SALU_CYCLE_1)
	s_xor_b32 s6, exec_lo, s7
	s_cbranch_execz .LBB44_113
; %bb.112:
	v_mov_b32_e32 v7, 0
	s_delay_alu instid0(VALU_DEP_1)
	v_mov_b32_e32 v8, v7
	ds_store_b64 v11, v[7:8]
.LBB44_113:
	s_and_not1_saveexec_b32 s6, s6
	s_cbranch_execz .LBB44_115
; %bb.114:
	flat_load_b64 v[7:8], v[1:2]
	s_waitcnt vmcnt(0) lgkmcnt(0)
	ds_store_b64 v11, v[7:8]
.LBB44_115:
	s_or_b32 exec_lo, exec_lo, s6
	v_add_nc_u32_e32 v7, 8, v5
	s_delay_alu instid0(VALU_DEP_1) | instskip(NEXT) | instid1(VALU_DEP_1)
	v_cmp_le_i32_e64 s6, s20, v7
	s_and_saveexec_b32 s7, s6
	s_delay_alu instid0(SALU_CYCLE_1)
	s_xor_b32 s6, exec_lo, s7
	s_cbranch_execz .LBB44_117
; %bb.116:
	v_mul_u32_u24_e32 v9, 33, v7
	v_mov_b32_e32 v8, 0
	s_delay_alu instid0(VALU_DEP_2) | instskip(NEXT) | instid1(VALU_DEP_2)
	v_add_lshl_u32 v10, v9, v0, 3
	v_mov_b32_e32 v9, v8
	ds_store_b64 v10, v[8:9]
.LBB44_117:
	s_and_not1_saveexec_b32 s7, s6
	s_cbranch_execz .LBB44_119
; %bb.118:
	s_lshl_b64 s[24:25], s[12:13], 6
	s_delay_alu instid0(SALU_CYCLE_1) | instskip(NEXT) | instid1(VALU_DEP_1)
	v_add_co_u32 v8, s6, v1, s24
	v_add_co_ci_u32_e64 v9, s6, s25, v2, s6
	flat_load_b64 v[8:9], v[8:9]
	s_waitcnt vmcnt(0) lgkmcnt(0)
	ds_store_b64 v11, v[8:9] offset:2112
.LBB44_119:
	s_or_b32 exec_lo, exec_lo, s7
	v_add_nc_u32_e32 v8, 16, v5
	s_delay_alu instid0(VALU_DEP_1) | instskip(NEXT) | instid1(VALU_DEP_1)
	v_cmp_le_i32_e64 s6, s20, v8
	s_and_saveexec_b32 s7, s6
	s_delay_alu instid0(SALU_CYCLE_1)
	s_xor_b32 s6, exec_lo, s7
	s_cbranch_execz .LBB44_121
; %bb.120:
	v_mul_u32_u24_e32 v10, 33, v8
	v_mov_b32_e32 v9, 0
	s_delay_alu instid0(VALU_DEP_2) | instskip(NEXT) | instid1(VALU_DEP_2)
	v_add_lshl_u32 v12, v10, v0, 3
	v_mov_b32_e32 v10, v9
	ds_store_b64 v12, v[9:10]
.LBB44_121:
	s_and_not1_saveexec_b32 s7, s6
	s_cbranch_execz .LBB44_123
; %bb.122:
	s_lshl_b64 s[24:25], s[12:13], 7
	s_delay_alu instid0(SALU_CYCLE_1) | instskip(NEXT) | instid1(VALU_DEP_1)
	v_add_co_u32 v9, s6, v1, s24
	v_add_co_ci_u32_e64 v10, s6, s25, v2, s6
	flat_load_b64 v[9:10], v[9:10]
	s_waitcnt vmcnt(0) lgkmcnt(0)
	ds_store_b64 v11, v[9:10] offset:4224
.LBB44_123:
	s_or_b32 exec_lo, exec_lo, s7
	v_add_nc_u32_e32 v9, 24, v5
                                        ; implicit-def: $vgpr10
	s_delay_alu instid0(VALU_DEP_1) | instskip(NEXT) | instid1(VALU_DEP_1)
	v_cmp_le_i32_e64 s6, s20, v9
	s_and_saveexec_b32 s7, s6
	s_delay_alu instid0(SALU_CYCLE_1)
	s_xor_b32 s6, exec_lo, s7
	s_cbranch_execz .LBB44_125
; %bb.124:
	v_mov_b32_e32 v12, 0
	s_delay_alu instid0(VALU_DEP_1)
	v_dual_mov_b32 v13, v12 :: v_dual_add_nc_u32 v10, 0x318, v6
	ds_store_b64 v11, v[12:13] offset:6336
                                        ; implicit-def: $vgpr11
.LBB44_125:
	s_and_not1_saveexec_b32 s6, s6
	s_cbranch_execz .LBB44_127
; %bb.126:
	v_mad_u64_u32 v[12:13], null, 0xc0, s12, v[1:2]
	s_delay_alu instid0(VALU_DEP_1) | instskip(NEXT) | instid1(VALU_DEP_1)
	v_mov_b32_e32 v10, v13
	v_mad_u64_u32 v[13:14], null, 0xc0, s13, v[10:11]
	v_add_nc_u32_e32 v10, 0x318, v6
	flat_load_b64 v[12:13], v[12:13]
	s_waitcnt vmcnt(0) lgkmcnt(0)
	ds_store_b64 v11, v[12:13] offset:6336
.LBB44_127:
	s_or_b32 exec_lo, exec_lo, s6
	v_lshlrev_b32_e32 v0, 3, v0
	s_delay_alu instid0(VALU_DEP_1) | instskip(NEXT) | instid1(VALU_DEP_1)
	v_add_co_u32 v0, s6, v1, v0
	v_add_co_ci_u32_e64 v1, s6, 0, v2, s6
	s_delay_alu instid0(VALU_DEP_2) | instskip(NEXT) | instid1(VALU_DEP_1)
	v_sub_co_u32 v0, s6, v0, s8
	v_subrev_co_ci_u32_e64 v1, s6, s9, v1, s6
	s_delay_alu instid0(VALU_DEP_2) | instskip(NEXT) | instid1(VALU_DEP_1)
	v_add_co_u32 v0, s6, 0x108, v0
	v_add_co_ci_u32_e64 v2, s6, 0, v1, s6
	s_delay_alu instid0(VALU_DEP_2) | instskip(NEXT) | instid1(VALU_DEP_2)
	v_dual_cndmask_b32 v24, v0, v24 :: v_dual_add_nc_u32 v1, 0x108, v6
	v_dual_cndmask_b32 v25, v2, v25 :: v_dual_add_nc_u32 v2, 0x210, v6
.LBB44_128:
	v_lshlrev_b32_e32 v0, 3, v6
	v_lshlrev_b32_e32 v5, 3, v5
	s_delay_alu instid0(VALU_DEP_4)
	v_lshlrev_b32_e32 v1, 3, v1
	v_lshlrev_b32_e32 v6, 3, v7
	;; [unrolled: 1-line block ×6, first 2 shown]
	s_waitcnt lgkmcnt(0)
	s_barrier
	buffer_gl0_inv
	ds_load_b64 v[30:31], v0
	ds_load_b64 v[32:33], v5 offset:9088
	ds_load_b64 v[34:35], v1
	ds_load_b64 v[36:37], v6 offset:9088
	ds_load_b64 v[38:39], v2
	ds_load_b64 v[40:41], v7 offset:9088
	ds_load_b64 v[42:43], v8
	ds_load_b64 v[44:45], v9 offset:9088
	ds_load_b128 v[8:11], v3 offset:256
	ds_load_b128 v[0:3], v3 offset:272
	ds_load_2addr_b64 v[12:15], v4 offset1:1
	ds_load_2addr_b64 v[4:7], v4 offset0:2 offset1:3
	s_waitcnt lgkmcnt(0)
	s_barrier
	buffer_gl0_inv
	v_mul_f32_e32 v46, v33, v31
	v_mul_f32_e32 v31, v32, v31
	;; [unrolled: 1-line block ×4, first 2 shown]
	s_delay_alu instid0(VALU_DEP_4) | instskip(NEXT) | instid1(VALU_DEP_4)
	v_fma_f32 v32, v32, v30, -v46
	v_dual_fmac_f32 v31, v33, v30 :: v_dual_mul_f32 v30, v40, v39
	v_mul_f32_e32 v35, v36, v35
	v_fma_f32 v33, v36, v34, -v47
	s_delay_alu instid0(VALU_DEP_3) | instskip(NEXT) | instid1(VALU_DEP_4)
	v_dual_add_f32 v32, 0, v32 :: v_dual_add_f32 v31, 0, v31
	v_fmac_f32_e32 v30, v41, v38
	s_delay_alu instid0(VALU_DEP_4) | instskip(SKIP_2) | instid1(VALU_DEP_3)
	v_dual_fmac_f32 v35, v37, v34 :: v_dual_mul_f32 v34, v44, v43
	v_mul_f32_e32 v49, v45, v43
	v_fma_f32 v36, v40, v38, -v48
	v_dual_add_f32 v32, v32, v33 :: v_dual_add_f32 v31, v31, v35
	s_delay_alu instid0(VALU_DEP_4) | instskip(NEXT) | instid1(VALU_DEP_4)
	v_fmac_f32_e32 v34, v45, v42
	v_fma_f32 v33, v44, v42, -v49
	s_delay_alu instid0(VALU_DEP_3) | instskip(NEXT) | instid1(VALU_DEP_1)
	v_dual_add_f32 v32, v32, v36 :: v_dual_add_f32 v31, v31, v30
	v_dual_add_f32 v30, v32, v33 :: v_dual_add_f32 v31, v31, v34
	ds_store_b64 v29, v[30:31]
	s_waitcnt lgkmcnt(0)
	s_barrier
	buffer_gl0_inv
	s_and_saveexec_b32 s6, s5
	s_cbranch_execz .LBB44_130
; %bb.129:
	v_lshlrev_b32_e32 v42, 3, v28
	ds_load_2addr_b64 v[30:33], v42 offset1:1
	ds_load_2addr_b64 v[34:37], v42 offset0:2 offset1:3
	s_waitcnt lgkmcnt(1)
	v_dual_add_f32 v19, v19, v31 :: v_dual_add_f32 v18, v18, v30
	ds_load_2addr_b64 v[38:41], v42 offset0:4 offset1:5
	v_dual_add_f32 v19, v19, v33 :: v_dual_add_f32 v18, v18, v32
	ds_load_2addr_b64 v[30:33], v42 offset0:6 offset1:7
	s_waitcnt lgkmcnt(2)
	v_dual_add_f32 v19, v19, v35 :: v_dual_add_f32 v18, v18, v34
	s_delay_alu instid0(VALU_DEP_1) | instskip(SKIP_1) | instid1(VALU_DEP_1)
	v_dual_add_f32 v19, v19, v37 :: v_dual_add_f32 v18, v18, v36
	s_waitcnt lgkmcnt(1)
	v_dual_add_f32 v19, v19, v39 :: v_dual_add_f32 v18, v18, v38
	s_delay_alu instid0(VALU_DEP_1) | instskip(SKIP_1) | instid1(VALU_DEP_1)
	v_dual_add_f32 v19, v19, v41 :: v_dual_add_f32 v18, v18, v40
	s_waitcnt lgkmcnt(0)
	v_dual_add_f32 v19, v19, v31 :: v_dual_add_f32 v18, v18, v30
	s_delay_alu instid0(VALU_DEP_1)
	v_dual_add_f32 v19, v19, v33 :: v_dual_add_f32 v18, v18, v32
.LBB44_130:
	s_or_b32 exec_lo, exec_lo, s6
	v_dual_mul_f32 v30, v13, v9 :: v_dual_mul_f32 v31, v15, v11
	v_dual_mul_f32 v15, v15, v10 :: v_dual_mul_f32 v32, v5, v1
	s_delay_alu instid0(VALU_DEP_2) | instskip(SKIP_1) | instid1(VALU_DEP_4)
	v_fmac_f32_e32 v30, v12, v8
	v_mul_f32_e32 v13, v13, v8
	v_fmac_f32_e32 v31, v14, v10
	s_delay_alu instid0(VALU_DEP_4)
	v_fma_f32 v11, v14, v11, -v15
	s_barrier
	v_add_f32_e32 v10, 0, v30
	v_fma_f32 v8, v12, v9, -v13
	v_mul_f32_e32 v9, v7, v3
	v_dual_mul_f32 v7, v7, v2 :: v_dual_fmac_f32 v32, v4, v0
	buffer_gl0_inv
	v_add_f32_e32 v8, 0, v8
	v_dual_mul_f32 v5, v5, v0 :: v_dual_add_f32 v0, v10, v31
	v_fmac_f32_e32 v9, v6, v2
	v_fma_f32 v2, v6, v3, -v7
	s_delay_alu instid0(VALU_DEP_3) | instskip(SKIP_1) | instid1(VALU_DEP_1)
	v_fma_f32 v1, v4, v1, -v5
	v_add_f32_e32 v4, v8, v11
	v_add_f32_e32 v1, v4, v1
	s_delay_alu instid0(VALU_DEP_1) | instskip(NEXT) | instid1(VALU_DEP_1)
	v_dual_add_f32 v0, v0, v32 :: v_dual_add_f32 v1, v1, v2
	v_add_f32_e32 v0, v0, v9
	ds_store_b64 v29, v[0:1]
	s_waitcnt lgkmcnt(0)
	s_barrier
	buffer_gl0_inv
	s_and_saveexec_b32 s5, s4
	s_cbranch_execz .LBB44_132
; %bb.131:
	v_lshlrev_b32_e32 v12, 3, v28
	ds_load_2addr_b64 v[0:3], v12 offset1:1
	ds_load_2addr_b64 v[4:7], v12 offset0:2 offset1:3
	s_waitcnt lgkmcnt(1)
	v_add_f32_e32 v1, v19, v1
	ds_load_2addr_b64 v[8:11], v12 offset0:4 offset1:5
	v_add_f32_e32 v14, v1, v3
	s_waitcnt lgkmcnt(1)
	s_delay_alu instid0(VALU_DEP_1) | instskip(NEXT) | instid1(VALU_DEP_1)
	v_add_f32_e32 v5, v14, v5
	v_dual_add_f32 v0, v18, v0 :: v_dual_add_f32 v5, v5, v7
	s_delay_alu instid0(VALU_DEP_1) | instskip(SKIP_3) | instid1(VALU_DEP_1)
	v_add_f32_e32 v13, v0, v2
	ds_load_2addr_b64 v[0:3], v12 offset0:6 offset1:7
	v_add_f32_e32 v4, v13, v4
	s_waitcnt lgkmcnt(1)
	v_dual_add_f32 v5, v5, v9 :: v_dual_add_f32 v4, v4, v6
	s_delay_alu instid0(VALU_DEP_1) | instskip(SKIP_1) | instid1(VALU_DEP_1)
	v_dual_add_f32 v5, v5, v11 :: v_dual_add_f32 v4, v4, v8
	s_waitcnt lgkmcnt(0)
	v_dual_add_f32 v4, v4, v10 :: v_dual_add_f32 v1, v5, v1
	s_delay_alu instid0(VALU_DEP_1) | instskip(NEXT) | instid1(VALU_DEP_1)
	v_dual_add_f32 v0, v4, v0 :: v_dual_add_f32 v19, v1, v3
	v_add_f32_e32 v18, v0, v2
.LBB44_132:
	s_or_b32 exec_lo, exec_lo, s5
	s_load_b64 s[0:1], s[0:1], 0x68
	s_mul_hi_u32 s4, s15, s16
	s_mul_i32 s26, s26, s16
	s_mul_i32 s5, s15, s16
	s_add_i32 s4, s4, s26
	s_mul_hi_u32 s6, s5, s17
	s_mul_i32 s7, s4, s17
	s_mul_i32 s4, s5, s17
	s_add_i32 s5, s6, s7
	s_mul_i32 s6, s14, s15
	s_lshl_b64 s[4:5], s[4:5], 3
	v_cmp_le_i32_e32 vcc_lo, s20, v26
	v_lshlrev_b32_e32 v73, 3, v26
	s_waitcnt lgkmcnt(0)
	s_barrier
	buffer_gl0_inv
	s_add_u32 s4, s0, s4
	s_addc_u32 s5, s1, s5
	s_ashr_i32 s7, s6, 31
	s_delay_alu instid0(SALU_CYCLE_1) | instskip(NEXT) | instid1(SALU_CYCLE_1)
	s_lshl_b64 s[0:1], s[6:7], 3
	s_add_u32 s6, s4, s0
	s_addc_u32 s7, s5, s1
	s_and_b32 vcc_lo, s27, vcc_lo
	s_cmp_lt_i32 s14, 1
	s_cbranch_scc1 .LBB44_139
; %bb.133:
	v_lshlrev_b32_e32 v1, 2, v72
	s_ashr_i32 s21, s20, 31
	s_mul_i32 s1, s18, s11
	s_lshl_b64 s[8:9], s[20:21], 3
	s_mul_hi_u32 s5, s18, s10
	v_mad_u64_u32 v[2:3], null, v1, s12, 0
	v_and_b32_e32 v6, 15, v26
	v_lshrrev_b32_e32 v7, 4, v27
	s_mul_i32 s15, s19, s10
	s_add_i32 s1, s5, s1
	s_mul_i32 s4, s18, s10
	s_add_i32 s5, s1, s15
	s_delay_alu instid0(VALU_DEP_3)
	v_mov_b32_e32 v0, v3
	s_lshl_b64 s[4:5], s[4:5], 3
	v_add_nc_u32_e32 v74, 0x2180, v73
	v_lshl_add_u32 v81, v72, 5, 0x2180
	v_mad_u32_u24 v82, 0x860, v72, v73
	v_mad_u64_u32 v[3:4], null, v1, s13, v[0:1]
	v_mov_b32_e32 v1, 0
	v_sub_co_u32 v0, s0, v24, s22
	s_delay_alu instid0(VALU_DEP_1) | instskip(SKIP_1) | instid1(VALU_DEP_4)
	v_subrev_co_ci_u32_e64 v4, s0, s23, v25, s0
	s_mul_i32 s1, s13, 0x68
	v_lshlrev_b64 v[2:3], 3, v[2:3]
	s_delay_alu instid0(VALU_DEP_3) | instskip(NEXT) | instid1(VALU_DEP_1)
	v_sub_co_u32 v0, s0, v0, v22
	v_sub_co_ci_u32_e64 v4, s0, v4, v23, s0
	s_delay_alu instid0(VALU_DEP_2) | instskip(NEXT) | instid1(VALU_DEP_1)
	v_add_co_u32 v0, s0, v0, v2
	v_add_co_ci_u32_e64 v2, s0, v4, v3, s0
	s_delay_alu instid0(VALU_DEP_2) | instskip(NEXT) | instid1(VALU_DEP_1)
	v_add_co_u32 v0, s0, 0xffffff00, v0
	v_add_co_ci_u32_e64 v2, s0, -1, v2, s0
	s_delay_alu instid0(VALU_DEP_2) | instskip(NEXT) | instid1(VALU_DEP_1)
	v_add_co_u32 v4, s0, v0, s8
	v_add_co_ci_u32_e64 v5, s0, s9, v2, s0
	v_add_co_u32 v0, s0, v0, v73
	s_delay_alu instid0(VALU_DEP_1) | instskip(NEXT) | instid1(VALU_DEP_4)
	v_add_co_ci_u32_e64 v2, s0, 0, v2, s0
	v_add_co_u32 v4, s0, v4, -8
	s_delay_alu instid0(VALU_DEP_1) | instskip(SKIP_1) | instid1(VALU_DEP_3)
	v_add_co_ci_u32_e64 v5, s0, -1, v5, s0
	v_and_b32_e32 v8, 48, v26
	v_dual_cndmask_b32 v4, v0, v4 :: v_dual_add_nc_u32 v75, 0x2380, v73
	s_delay_alu instid0(VALU_DEP_3) | instskip(SKIP_1) | instid1(VALU_DEP_4)
	v_cndmask_b32_e32 v5, v2, v5, vcc_lo
	v_or_b32_e32 v0, 0x78, v73
	v_lshlrev_b32_e32 v3, 3, v8
	v_lshlrev_b32_e32 v2, 5, v7
	v_sub_co_u32 v76, s0, v20, s4
	s_delay_alu instid0(VALU_DEP_1) | instskip(NEXT) | instid1(VALU_DEP_4)
	v_subrev_co_ci_u32_e64 v77, s0, s5, v21, s0
	v_mad_u32_u24 v78, 0x218, v6, v3
	v_lshlrev_b32_e32 v3, 3, v7
	v_cmp_gt_u32_e64 s0, 64, v27
	v_mad_u32_u24 v79, 0x218, v6, v0
	v_mad_u32_u24 v80, 0x218, v6, v2
	v_or_b32_e32 v84, v8, v6
	v_mad_u32_u24 v83, 0x218, v6, v3
	s_mul_hi_u32 s8, s12, 0x68
	s_lshl_b64 s[4:5], s[12:13], 3
	s_add_i32 s8, s8, s1
	s_mul_i32 s9, s12, 0x68
	s_mov_b32 s12, 0
	s_branch .LBB44_135
.LBB44_134:                             ;   in Loop: Header=BB44_135 Depth=1
	s_or_b32 exec_lo, exec_lo, s13
	v_mul_f32_e32 v0, v3, v11
	v_dual_mul_f32 v11, v2, v11 :: v_dual_mul_f32 v86, v9, v29
	v_mul_f32_e32 v85, v7, v27
	v_mul_f32_e32 v27, v6, v27
	s_delay_alu instid0(VALU_DEP_4)
	v_fma_f32 v0, v2, v10, -v0
	v_mul_f32_e32 v2, v8, v29
	v_mul_f32_e32 v29, v5, v25
	;; [unrolled: 1-line block ×3, first 2 shown]
	v_fma_f32 v6, v6, v26, -v85
	v_dual_add_f32 v0, v18, v0 :: v_dual_fmac_f32 v11, v3, v10
	v_mul_f32_e32 v18, v23, v41
	v_mul_f32_e32 v41, v22, v41
	v_fma_f32 v3, v8, v28, -v86
	s_delay_alu instid0(VALU_DEP_4) | instskip(SKIP_3) | instid1(VALU_DEP_4)
	v_add_f32_e32 v0, v0, v6
	v_dual_mul_f32 v6, v21, v45 :: v_dual_fmac_f32 v27, v7, v26
	v_dual_add_f32 v7, v19, v11 :: v_dual_fmac_f32 v2, v9, v28
	v_fma_f32 v4, v4, v24, -v29
	v_add_f32_e32 v0, v0, v3
	v_fma_f32 v8, v22, v40, -v18
	s_delay_alu instid0(VALU_DEP_4)
	v_add_f32_e32 v7, v7, v27
	v_mul_f32_e32 v3, v20, v45
	v_fmac_f32_e32 v41, v23, v40
	v_add_f32_e32 v0, v0, v4
	v_dual_mul_f32 v4, v15, v43 :: v_dual_fmac_f32 v25, v5, v24
	v_add_f32_e32 v2, v7, v2
	v_fma_f32 v5, v20, v44, -v6
	s_delay_alu instid0(VALU_DEP_4) | instskip(SKIP_1) | instid1(VALU_DEP_4)
	v_add_f32_e32 v0, v0, v8
	v_mul_f32_e32 v6, v13, v39
	v_dual_fmac_f32 v3, v21, v44 :: v_dual_add_f32 v2, v2, v25
	v_fma_f32 v4, v14, v42, -v4
	s_delay_alu instid0(VALU_DEP_4) | instskip(NEXT) | instid1(VALU_DEP_4)
	v_dual_add_f32 v0, v0, v5 :: v_dual_mul_f32 v5, v14, v43
	v_fma_f32 v6, v12, v38, -v6
	s_delay_alu instid0(VALU_DEP_4)
	v_add_f32_e32 v2, v2, v41
	s_add_i32 s14, s14, -1
	s_add_i32 s12, s12, 64
	v_fmac_f32_e32 v5, v15, v42
	s_cmp_eq_u32 s14, 0
	v_add_f32_e32 v2, v2, v3
	v_mul_f32_e32 v3, v12, v39
	v_add_f32_e32 v0, v0, v4
	v_mul_f32_e32 v4, v37, v57
	s_waitcnt_vscnt null, 0x0
	s_delay_alu instid0(VALU_DEP_3) | instskip(SKIP_4) | instid1(VALU_DEP_3)
	v_dual_add_f32 v2, v2, v5 :: v_dual_fmac_f32 v3, v13, v38
	v_mul_f32_e32 v5, v36, v57
	v_add_f32_e32 v0, v0, v6
	v_mul_f32_e32 v6, v35, v63
	s_barrier
	v_dual_add_f32 v2, v2, v3 :: v_dual_fmac_f32 v5, v37, v56
	v_mul_f32_e32 v3, v34, v63
	v_fma_f32 v4, v36, v56, -v4
	v_mul_f32_e32 v7, v48, v67
	buffer_gl0_inv
	v_dual_add_f32 v2, v2, v5 :: v_dual_fmac_f32 v3, v35, v62
	v_mul_f32_e32 v5, v32, v61
	v_add_f32_e32 v0, v0, v4
	v_fma_f32 v4, v34, v62, -v6
	s_delay_alu instid0(VALU_DEP_4) | instskip(NEXT) | instid1(VALU_DEP_4)
	v_dual_fmac_f32 v7, v49, v66 :: v_dual_add_f32 v2, v2, v3
	v_fmac_f32_e32 v5, v33, v60
	s_delay_alu instid0(VALU_DEP_3) | instskip(NEXT) | instid1(VALU_DEP_2)
	v_dual_mul_f32 v3, v55, v65 :: v_dual_add_f32 v0, v0, v4
	v_add_f32_e32 v2, v2, v5
	v_mul_f32_e32 v5, v54, v65
	v_mul_f32_e32 v6, v33, v61
	s_delay_alu instid0(VALU_DEP_4) | instskip(NEXT) | instid1(VALU_DEP_3)
	v_fma_f32 v3, v54, v64, -v3
	v_fmac_f32_e32 v5, v55, v64
	s_delay_alu instid0(VALU_DEP_3) | instskip(SKIP_1) | instid1(VALU_DEP_2)
	v_fma_f32 v4, v32, v60, -v6
	v_mul_f32_e32 v6, v31, v59
	v_add_f32_e32 v0, v0, v4
	s_delay_alu instid0(VALU_DEP_2) | instskip(SKIP_1) | instid1(VALU_DEP_2)
	v_fma_f32 v4, v30, v58, -v6
	v_mul_f32_e32 v6, v30, v59
	v_add_f32_e32 v0, v0, v4
	v_mul_f32_e32 v4, v53, v71
	s_delay_alu instid0(VALU_DEP_3) | instskip(NEXT) | instid1(VALU_DEP_3)
	v_fmac_f32_e32 v6, v31, v58
	v_add_f32_e32 v0, v0, v3
	s_delay_alu instid0(VALU_DEP_3) | instskip(NEXT) | instid1(VALU_DEP_3)
	v_fma_f32 v3, v52, v70, -v4
	v_add_f32_e32 v2, v2, v6
	v_mul_f32_e32 v4, v52, v71
	v_mul_f32_e32 v6, v51, v69
	s_delay_alu instid0(VALU_DEP_4) | instskip(NEXT) | instid1(VALU_DEP_3)
	v_dual_add_f32 v0, v0, v3 :: v_dual_mul_f32 v3, v50, v69
	v_fmac_f32_e32 v4, v53, v70
	v_add_f32_e32 v2, v2, v5
	s_delay_alu instid0(VALU_DEP_4) | instskip(NEXT) | instid1(VALU_DEP_4)
	v_fma_f32 v5, v50, v68, -v6
	v_dual_mul_f32 v6, v49, v67 :: v_dual_fmac_f32 v3, v51, v68
	s_delay_alu instid0(VALU_DEP_3) | instskip(NEXT) | instid1(VALU_DEP_3)
	v_add_f32_e32 v2, v2, v4
	v_add_f32_e32 v0, v0, v5
	s_delay_alu instid0(VALU_DEP_3) | instskip(NEXT) | instid1(VALU_DEP_3)
	v_fma_f32 v4, v48, v66, -v6
	v_add_f32_e32 v2, v2, v3
	s_delay_alu instid0(VALU_DEP_2) | instskip(SKIP_1) | instid1(VALU_DEP_3)
	v_add_f32_e32 v18, v0, v4
	v_add_co_u32 v4, s1, v46, s9
	v_add_f32_e32 v19, v2, v7
	v_add_co_ci_u32_e64 v5, s1, s8, v47, s1
	s_cbranch_scc1 .LBB44_139
.LBB44_135:                             ; =>This Inner Loop Header: Depth=1
	s_and_saveexec_b32 s13, s3
	s_cbranch_execz .LBB44_137
; %bb.136:                              ;   in Loop: Header=BB44_135 Depth=1
	s_mul_i32 s1, s12, s11
	s_mul_hi_u32 s15, s12, s10
	s_mul_i32 s16, s12, s10
	s_add_i32 s17, s15, s1
	s_delay_alu instid0(SALU_CYCLE_1) | instskip(NEXT) | instid1(SALU_CYCLE_1)
	s_lshl_b64 s[16:17], s[16:17], 3
	v_add_co_u32 v2, s1, v76, s16
	s_delay_alu instid0(VALU_DEP_1)
	v_add_co_ci_u32_e64 v3, s1, s17, v77, s1
	flat_load_b64 v[2:3], v[2:3]
	s_waitcnt vmcnt(0) lgkmcnt(0)
	ds_store_b64 v74, v[2:3]
.LBB44_137:                             ;   in Loop: Header=BB44_135 Depth=1
	s_or_b32 exec_lo, exec_lo, s13
	s_waitcnt lgkmcnt(0)
	s_barrier
	buffer_gl0_inv
	flat_load_b64 v[2:3], v[4:5]
	v_add_co_u32 v4, s1, v4, s4
	s_delay_alu instid0(VALU_DEP_1) | instskip(SKIP_2) | instid1(VALU_DEP_1)
	v_add_co_ci_u32_e64 v5, s1, s5, v5, s1
	flat_load_b64 v[6:7], v[4:5]
	v_add_co_u32 v4, s1, v4, s4
	v_add_co_ci_u32_e64 v5, s1, s5, v5, s1
	s_delay_alu instid0(VALU_DEP_2) | instskip(NEXT) | instid1(VALU_DEP_1)
	v_add_co_u32 v12, s1, v4, s4
	v_add_co_ci_u32_e64 v13, s1, s5, v5, s1
	s_clause 0x1
	flat_load_b64 v[8:9], v[4:5]
	flat_load_b64 v[4:5], v[12:13]
	ds_load_b64 v[14:15], v75
	ds_load_b64 v[10:11], v81
	v_add_co_u32 v12, s1, v12, s9
	s_delay_alu instid0(VALU_DEP_1) | instskip(NEXT) | instid1(VALU_DEP_2)
	v_add_co_ci_u32_e64 v13, s1, s8, v13, s1
	v_add_co_u32 v30, s1, v12, s4
	s_delay_alu instid0(VALU_DEP_1) | instskip(NEXT) | instid1(VALU_DEP_2)
	v_add_co_ci_u32_e64 v31, s1, s5, v13, s1
	v_add_co_u32 v32, s1, v30, s4
	s_delay_alu instid0(VALU_DEP_1) | instskip(SKIP_3) | instid1(VALU_DEP_2)
	v_add_co_ci_u32_e64 v33, s1, s5, v31, s1
	s_waitcnt vmcnt(3) lgkmcnt(1)
	v_mul_f32_e32 v20, v3, v15
	v_mul_f32_e32 v0, v3, v14
	v_fmac_f32_e32 v20, v2, v14
	s_delay_alu instid0(VALU_DEP_2)
	v_fma_f32 v21, v2, v15, -v0
	s_waitcnt vmcnt(2)
	v_mul_f32_e32 v0, v7, v14
	v_mul_f32_e32 v22, v7, v15
	ds_store_b64 v82, v[20:21]
	ds_load_b64 v[26:27], v81 offset:8
	v_fma_f32 v23, v6, v15, -v0
	v_fmac_f32_e32 v22, v6, v14
	s_waitcnt vmcnt(1)
	v_mul_f32_e32 v20, v9, v15
	v_mul_f32_e32 v21, v9, v14
	s_waitcnt vmcnt(0)
	v_mul_f32_e32 v34, v5, v15
	v_mul_f32_e32 v0, v5, v14
	ds_store_b64 v82, v[22:23] offset:536
	v_fmac_f32_e32 v20, v8, v14
	v_fma_f32 v21, v8, v15, -v21
	v_fmac_f32_e32 v34, v4, v14
	v_fma_f32 v35, v4, v15, -v0
	ds_load_b64 v[28:29], v81 offset:16
	ds_store_b64 v82, v[20:21] offset:1072
	ds_load_b64 v[24:25], v81 offset:24
	ds_store_b64 v82, v[34:35] offset:1608
	v_add_co_u32 v34, s1, v32, s4
	s_waitcnt lgkmcnt(0)
	s_barrier
	buffer_gl0_inv
	ds_load_2addr_b64 v[85:88], v80 offset1:1
	ds_load_2addr_b64 v[89:92], v80 offset0:2 offset1:3
	s_waitcnt lgkmcnt(0)
	s_barrier
	buffer_gl0_inv
	flat_load_b64 v[22:23], v[12:13]
	v_add_co_ci_u32_e64 v35, s1, s5, v33, s1
	s_clause 0x1
	flat_load_b64 v[20:21], v[30:31]
	flat_load_b64 v[14:15], v[32:33]
	flat_load_b64 v[12:13], v[34:35]
	ds_load_b64 v[30:31], v75
	ds_load_b64 v[40:41], v81 offset:128
	v_add_co_u32 v32, s1, v34, s9
	s_delay_alu instid0(VALU_DEP_1) | instskip(NEXT) | instid1(VALU_DEP_2)
	v_add_co_ci_u32_e64 v33, s1, s8, v35, s1
	v_add_co_u32 v34, s1, v32, s4
	s_delay_alu instid0(VALU_DEP_1) | instskip(SKIP_1) | instid1(VALU_DEP_3)
	v_add_co_ci_u32_e64 v35, s1, s5, v33, s1
	v_add_f32_e32 v113, 0, v86
	v_add_co_u32 v46, s1, v34, s4
	s_delay_alu instid0(VALU_DEP_1)
	v_add_co_ci_u32_e64 v47, s1, s5, v35, s1
	s_waitcnt vmcnt(3) lgkmcnt(1)
	v_mul_f32_e32 v36, v23, v31
	v_mul_f32_e32 v0, v23, v30
	s_waitcnt vmcnt(2)
	v_mul_f32_e32 v38, v21, v31
	s_waitcnt vmcnt(1)
	v_dual_mul_f32 v39, v21, v30 :: v_dual_mul_f32 v48, v15, v31
	v_mul_f32_e32 v42, v15, v30
	s_waitcnt vmcnt(0)
	v_mul_f32_e32 v50, v13, v31
	v_mul_f32_e32 v43, v13, v30
	v_fmac_f32_e32 v36, v22, v30
	v_fma_f32 v37, v22, v31, -v0
	v_fmac_f32_e32 v38, v20, v30
	v_fma_f32 v39, v20, v31, -v39
	v_fmac_f32_e32 v48, v14, v30
	v_fma_f32 v49, v14, v31, -v42
	v_fmac_f32_e32 v50, v12, v30
	v_fma_f32 v51, v12, v31, -v43
	ds_store_b64 v82, v[36:37]
	ds_load_b64 v[44:45], v81 offset:136
	ds_store_b64 v82, v[38:39] offset:536
	ds_load_b64 v[42:43], v81 offset:144
	ds_store_b64 v82, v[48:49] offset:1072
	v_add_co_u32 v48, s1, v46, s4
	ds_load_b64 v[38:39], v81 offset:152
	ds_store_b64 v82, v[50:51] offset:1608
	s_waitcnt lgkmcnt(0)
	s_barrier
	buffer_gl0_inv
	ds_load_2addr_b64 v[93:96], v80 offset1:1
	ds_load_2addr_b64 v[97:100], v80 offset0:2 offset1:3
	s_waitcnt lgkmcnt(0)
	s_barrier
	buffer_gl0_inv
	flat_load_b64 v[36:37], v[32:33]
	v_add_co_ci_u32_e64 v49, s1, s5, v47, s1
	flat_load_b64 v[34:35], v[34:35]
	flat_load_b64 v[32:33], v[46:47]
	flat_load_b64 v[30:31], v[48:49]
	ds_load_b64 v[46:47], v75
	ds_load_b64 v[56:57], v81 offset:256
	v_add_co_u32 v48, s1, v48, s9
	s_delay_alu instid0(VALU_DEP_1) | instskip(NEXT) | instid1(VALU_DEP_2)
	v_add_co_ci_u32_e64 v49, s1, s8, v49, s1
	v_add_co_u32 v50, s1, v48, s4
	s_delay_alu instid0(VALU_DEP_1) | instskip(SKIP_1) | instid1(VALU_DEP_3)
	v_add_co_ci_u32_e64 v51, s1, s5, v49, s1
	v_add_f32_e32 v93, 0, v93
	v_add_co_u32 v64, s1, v50, s4
	s_delay_alu instid0(VALU_DEP_1) | instskip(NEXT) | instid1(VALU_DEP_3)
	v_add_co_ci_u32_e64 v65, s1, s5, v51, s1
	v_dual_add_f32 v93, v93, v95 :: v_dual_add_f32 v94, 0, v94
	s_waitcnt vmcnt(3) lgkmcnt(1)
	v_mul_f32_e32 v52, v37, v47
	v_mul_f32_e32 v0, v37, v46
	s_waitcnt vmcnt(2)
	v_mul_f32_e32 v54, v35, v47
	s_waitcnt vmcnt(1)
	v_dual_mul_f32 v55, v35, v46 :: v_dual_mul_f32 v58, v33, v47
	s_waitcnt vmcnt(0)
	v_dual_mul_f32 v59, v33, v46 :: v_dual_mul_f32 v66, v31, v47
	v_mul_f32_e32 v60, v31, v46
	v_fmac_f32_e32 v52, v36, v46
	v_fma_f32 v53, v36, v47, -v0
	v_fmac_f32_e32 v54, v34, v46
	v_fma_f32 v55, v34, v47, -v55
	;; [unrolled: 2-line block ×4, first 2 shown]
	ds_store_b64 v82, v[52:53]
	ds_load_b64 v[62:63], v81 offset:264
	ds_store_b64 v82, v[54:55] offset:536
	v_add_co_u32 v46, s1, v64, s4
	ds_load_b64 v[60:61], v81 offset:272
	ds_store_b64 v82, v[58:59] offset:1072
	ds_load_b64 v[58:59], v81 offset:280
	ds_store_b64 v82, v[66:67] offset:1608
	s_waitcnt lgkmcnt(0)
	s_barrier
	buffer_gl0_inv
	ds_load_2addr_b64 v[101:104], v80 offset1:1
	ds_load_2addr_b64 v[105:108], v80 offset0:2 offset1:3
	s_waitcnt lgkmcnt(0)
	s_barrier
	buffer_gl0_inv
	flat_load_b64 v[54:55], v[48:49]
	v_add_co_ci_u32_e64 v47, s1, s5, v65, s1
	flat_load_b64 v[52:53], v[50:51]
	flat_load_b64 v[50:51], v[64:65]
	;; [unrolled: 1-line block ×3, first 2 shown]
	ds_load_b64 v[66:67], v75
	ds_load_b64 v[64:65], v81 offset:384
	v_add_f32_e32 v0, 0, v85
	s_delay_alu instid0(VALU_DEP_1) | instskip(NEXT) | instid1(VALU_DEP_1)
	v_add_f32_e32 v0, v0, v87
	v_add_f32_e32 v0, v0, v89
	s_delay_alu instid0(VALU_DEP_1) | instskip(SKIP_2) | instid1(VALU_DEP_2)
	v_add_f32_e32 v89, v0, v91
	v_add_f32_e32 v91, v93, v97
	v_dual_add_f32 v93, 0, v102 :: v_dual_add_f32 v0, v94, v96
	v_add_f32_e32 v91, v91, v99
	s_delay_alu instid0(VALU_DEP_2) | instskip(SKIP_1) | instid1(VALU_DEP_1)
	v_dual_add_f32 v93, v93, v104 :: v_dual_add_f32 v0, v0, v98
	s_waitcnt vmcnt(3) lgkmcnt(1)
	v_dual_add_f32 v93, v93, v106 :: v_dual_mul_f32 v68, v55, v67
	v_mul_f32_e32 v69, v55, v66
	s_waitcnt vmcnt(2)
	v_mul_f32_e32 v85, v53, v67
	s_waitcnt vmcnt(1)
	v_dual_mul_f32 v70, v53, v66 :: v_dual_mul_f32 v109, v51, v67
	v_mul_f32_e32 v71, v51, v66
	s_waitcnt vmcnt(0)
	v_mul_f32_e32 v111, v49, v67
	v_mul_f32_e32 v112, v49, v66
	v_fma_f32 v69, v54, v67, -v69
	v_fmac_f32_e32 v68, v54, v66
	v_fmac_f32_e32 v85, v52, v66
	v_fma_f32 v86, v52, v67, -v70
	v_fmac_f32_e32 v109, v50, v66
	v_fma_f32 v110, v50, v67, -v71
	;; [unrolled: 2-line block ×3, first 2 shown]
	ds_store_b64 v82, v[68:69]
	ds_load_b64 v[70:71], v81 offset:392
	ds_store_b64 v82, v[85:86] offset:536
	ds_load_b64 v[68:69], v81 offset:400
	ds_store_b64 v82, v[109:110] offset:1072
	ds_load_b64 v[66:67], v81 offset:408
	ds_store_b64 v82, v[111:112] offset:1608
	s_waitcnt lgkmcnt(0)
	s_barrier
	buffer_gl0_inv
	ds_load_2addr_b64 v[109:112], v80 offset1:1
	v_add_f32_e32 v85, v113, v88
	s_delay_alu instid0(VALU_DEP_1)
	v_add_f32_e32 v90, v85, v90
	ds_load_2addr_b64 v[85:88], v80 offset0:2 offset1:3
	s_waitcnt lgkmcnt(0)
	s_barrier
	buffer_gl0_inv
	v_add_f32_e32 v90, v90, v92
	v_add_f32_e32 v92, 0, v101
	s_delay_alu instid0(VALU_DEP_1) | instskip(SKIP_1) | instid1(VALU_DEP_2)
	v_add_f32_e32 v92, v92, v103
	v_dual_add_f32 v94, 0, v109 :: v_dual_add_f32 v95, 0, v110
	v_add_f32_e32 v96, v92, v105
	v_add_f32_e32 v92, v0, v100
	s_delay_alu instid0(VALU_DEP_3) | instskip(NEXT) | instid1(VALU_DEP_1)
	v_dual_add_f32 v94, v94, v111 :: v_dual_add_f32 v95, v95, v112
	v_dual_add_f32 v94, v94, v85 :: v_dual_add_f32 v95, v95, v86
	s_delay_alu instid0(VALU_DEP_4) | instskip(NEXT) | instid1(VALU_DEP_2)
	v_dual_add_f32 v85, v96, v107 :: v_dual_add_f32 v86, v93, v108
	v_dual_add_f32 v87, v94, v87 :: v_dual_add_f32 v88, v95, v88
	ds_store_2addr_b64 v83, v[89:90], v[91:92] offset1:16
	ds_store_2addr_b64 v83, v[85:86], v[87:88] offset0:32 offset1:48
	s_waitcnt lgkmcnt(0)
	s_barrier
	buffer_gl0_inv
	s_and_saveexec_b32 s13, s0
	s_cbranch_execz .LBB44_134
; %bb.138:                              ;   in Loop: Header=BB44_135 Depth=1
	ds_load_b64 v[96:97], v78
	ds_load_2addr_b64 v[85:88], v78 offset0:1 offset1:2
	ds_load_2addr_b64 v[89:92], v78 offset0:3 offset1:4
	s_waitcnt lgkmcnt(1)
	v_dual_add_f32 v0, v85, v96 :: v_dual_add_f32 v85, v86, v97
	ds_load_2addr_b64 v[93:96], v78 offset0:5 offset1:6
	v_dual_add_f32 v0, v0, v87 :: v_dual_add_f32 v97, v85, v88
	ds_load_2addr_b64 v[85:88], v78 offset0:7 offset1:8
	s_waitcnt lgkmcnt(2)
	v_dual_add_f32 v0, v0, v89 :: v_dual_add_f32 v89, v97, v90
	s_delay_alu instid0(VALU_DEP_1) | instskip(SKIP_3) | instid1(VALU_DEP_1)
	v_dual_add_f32 v0, v0, v91 :: v_dual_add_f32 v97, v89, v92
	ds_load_2addr_b64 v[89:92], v78 offset0:9 offset1:10
	s_waitcnt lgkmcnt(2)
	v_dual_add_f32 v0, v0, v93 :: v_dual_add_f32 v93, v97, v94
	v_dual_add_f32 v0, v0, v95 :: v_dual_add_f32 v97, v93, v96
	ds_load_2addr_b64 v[93:96], v78 offset0:11 offset1:12
	s_waitcnt lgkmcnt(2)
	v_dual_add_f32 v0, v0, v85 :: v_dual_add_f32 v85, v97, v86
	s_delay_alu instid0(VALU_DEP_1) | instskip(SKIP_3) | instid1(VALU_DEP_1)
	v_dual_add_f32 v0, v0, v87 :: v_dual_add_f32 v97, v85, v88
	ds_load_2addr_b64 v[85:88], v78 offset0:13 offset1:14
	s_waitcnt lgkmcnt(2)
	v_dual_add_f32 v0, v0, v89 :: v_dual_add_f32 v89, v97, v90
	v_dual_add_f32 v0, v0, v91 :: v_dual_add_f32 v91, v89, v92
	ds_load_b64 v[89:90], v79
	s_waitcnt lgkmcnt(2)
	v_dual_add_f32 v0, v0, v93 :: v_dual_add_f32 v91, v91, v94
	s_delay_alu instid0(VALU_DEP_1) | instskip(SKIP_1) | instid1(VALU_DEP_1)
	v_dual_add_f32 v0, v0, v95 :: v_dual_add_f32 v91, v91, v96
	s_waitcnt lgkmcnt(1)
	v_dual_add_f32 v85, v0, v85 :: v_dual_add_f32 v86, v91, v86
	s_delay_alu instid0(VALU_DEP_1) | instskip(NEXT) | instid1(VALU_DEP_2)
	v_dual_add_f32 v87, v85, v87 :: v_dual_add_nc_u32 v0, s12, v84
	v_add_f32_e32 v88, v86, v88
	s_delay_alu instid0(VALU_DEP_2) | instskip(SKIP_1) | instid1(VALU_DEP_2)
	v_lshlrev_b64 v[85:86], 3, v[0:1]
	s_waitcnt lgkmcnt(0)
	v_dual_add_f32 v87, v87, v89 :: v_dual_add_f32 v88, v88, v90
	s_delay_alu instid0(VALU_DEP_2) | instskip(NEXT) | instid1(VALU_DEP_1)
	v_add_co_u32 v85, s1, s6, v85
	v_add_co_ci_u32_e64 v86, s1, s7, v86, s1
	global_store_b64 v[85:86], v[87:88], off
	s_branch .LBB44_134
.LBB44_139:
	v_mad_u32_u24 v0, 0x218, v72, v73
	s_or_b32 s0, s2, vcc_lo
	s_delay_alu instid0(SALU_CYCLE_1)
	s_xor_b32 s0, s0, -1
	ds_store_b64 v0, v[18:19]
	s_waitcnt lgkmcnt(0)
	s_barrier
	buffer_gl0_inv
	s_and_saveexec_b32 s1, s0
	s_cbranch_execz .LBB44_141
; %bb.140:
	ds_load_2addr_b64 v[0:3], v73 offset1:67
	ds_load_2addr_b64 v[4:7], v73 offset0:134 offset1:201
	s_waitcnt lgkmcnt(1)
	v_dual_add_f32 v0, v2, v0 :: v_dual_add_f32 v1, v3, v1
	s_waitcnt lgkmcnt(0)
	s_delay_alu instid0(VALU_DEP_1) | instskip(SKIP_1) | instid1(VALU_DEP_2)
	v_dual_add_f32 v2, v0, v4 :: v_dual_add_f32 v3, v1, v5
	v_lshlrev_b64 v[0:1], 3, v[16:17]
	v_dual_add_f32 v2, v2, v6 :: v_dual_add_f32 v3, v3, v7
	s_delay_alu instid0(VALU_DEP_2) | instskip(NEXT) | instid1(VALU_DEP_3)
	v_add_co_u32 v0, vcc_lo, s6, v0
	v_add_co_ci_u32_e32 v1, vcc_lo, s7, v1, vcc_lo
	global_store_b64 v[0:1], v[2:3], off
.LBB44_141:
	s_nop 0
	s_sendmsg sendmsg(MSG_DEALLOC_VGPRS)
	s_endpgm
	.section	.rodata,"a",@progbits
	.p2align	6, 0x0
	.amdhsa_kernel _ZL26rocblas_hemvn_kernel_lowerILb1ELi64ELi4ELi33ELi32ELi16El19rocblas_complex_numIfEPKPKS1_PS1_EviT6_lT7_lT5_lS8_lS9_lS7_lT8_i
		.amdhsa_group_segment_fixed_size 9600
		.amdhsa_private_segment_fixed_size 0
		.amdhsa_kernarg_size 376
		.amdhsa_user_sgpr_count 14
		.amdhsa_user_sgpr_dispatch_ptr 0
		.amdhsa_user_sgpr_queue_ptr 0
		.amdhsa_user_sgpr_kernarg_segment_ptr 1
		.amdhsa_user_sgpr_dispatch_id 0
		.amdhsa_user_sgpr_private_segment_size 0
		.amdhsa_wavefront_size32 1
		.amdhsa_uses_dynamic_stack 0
		.amdhsa_enable_private_segment 0
		.amdhsa_system_sgpr_workgroup_id_x 1
		.amdhsa_system_sgpr_workgroup_id_y 0
		.amdhsa_system_sgpr_workgroup_id_z 1
		.amdhsa_system_sgpr_workgroup_info 0
		.amdhsa_system_vgpr_workitem_id 1
		.amdhsa_next_free_vgpr 114
		.amdhsa_next_free_sgpr 32
		.amdhsa_reserve_vcc 1
		.amdhsa_float_round_mode_32 0
		.amdhsa_float_round_mode_16_64 0
		.amdhsa_float_denorm_mode_32 3
		.amdhsa_float_denorm_mode_16_64 3
		.amdhsa_dx10_clamp 1
		.amdhsa_ieee_mode 1
		.amdhsa_fp16_overflow 0
		.amdhsa_workgroup_processor_mode 1
		.amdhsa_memory_ordered 1
		.amdhsa_forward_progress 0
		.amdhsa_shared_vgpr_count 0
		.amdhsa_exception_fp_ieee_invalid_op 0
		.amdhsa_exception_fp_denorm_src 0
		.amdhsa_exception_fp_ieee_div_zero 0
		.amdhsa_exception_fp_ieee_overflow 0
		.amdhsa_exception_fp_ieee_underflow 0
		.amdhsa_exception_fp_ieee_inexact 0
		.amdhsa_exception_int_div_zero 0
	.end_amdhsa_kernel
	.section	.text._ZL26rocblas_hemvn_kernel_lowerILb1ELi64ELi4ELi33ELi32ELi16El19rocblas_complex_numIfEPKPKS1_PS1_EviT6_lT7_lT5_lS8_lS9_lS7_lT8_i,"axG",@progbits,_ZL26rocblas_hemvn_kernel_lowerILb1ELi64ELi4ELi33ELi32ELi16El19rocblas_complex_numIfEPKPKS1_PS1_EviT6_lT7_lT5_lS8_lS9_lS7_lT8_i,comdat
.Lfunc_end44:
	.size	_ZL26rocblas_hemvn_kernel_lowerILb1ELi64ELi4ELi33ELi32ELi16El19rocblas_complex_numIfEPKPKS1_PS1_EviT6_lT7_lT5_lS8_lS9_lS7_lT8_i, .Lfunc_end44-_ZL26rocblas_hemvn_kernel_lowerILb1ELi64ELi4ELi33ELi32ELi16El19rocblas_complex_numIfEPKPKS1_PS1_EviT6_lT7_lT5_lS8_lS9_lS7_lT8_i
                                        ; -- End function
	.section	.AMDGPU.csdata,"",@progbits
; Kernel info:
; codeLenInByte = 8988
; NumSgprs: 34
; NumVgprs: 114
; ScratchSize: 0
; MemoryBound: 1
; FloatMode: 240
; IeeeMode: 1
; LDSByteSize: 9600 bytes/workgroup (compile time only)
; SGPRBlocks: 4
; VGPRBlocks: 14
; NumSGPRsForWavesPerEU: 34
; NumVGPRsForWavesPerEU: 114
; Occupancy: 12
; WaveLimiterHint : 0
; COMPUTE_PGM_RSRC2:SCRATCH_EN: 0
; COMPUTE_PGM_RSRC2:USER_SGPR: 14
; COMPUTE_PGM_RSRC2:TRAP_HANDLER: 0
; COMPUTE_PGM_RSRC2:TGID_X_EN: 1
; COMPUTE_PGM_RSRC2:TGID_Y_EN: 0
; COMPUTE_PGM_RSRC2:TGID_Z_EN: 1
; COMPUTE_PGM_RSRC2:TIDIG_COMP_CNT: 1
	.section	.text._ZL36rocblas_hemvn_kernel_lower_block_sumILi64El19rocblas_complex_numIfEPKPS1_S1_EviT1_lS5_lT2_lT0_lPT3_i,"axG",@progbits,_ZL36rocblas_hemvn_kernel_lower_block_sumILi64El19rocblas_complex_numIfEPKPS1_S1_EviT1_lS5_lT2_lT0_lPT3_i,comdat
	.globl	_ZL36rocblas_hemvn_kernel_lower_block_sumILi64El19rocblas_complex_numIfEPKPS1_S1_EviT1_lS5_lT2_lT0_lPT3_i ; -- Begin function _ZL36rocblas_hemvn_kernel_lower_block_sumILi64El19rocblas_complex_numIfEPKPS1_S1_EviT1_lS5_lT2_lT0_lPT3_i
	.p2align	8
	.type	_ZL36rocblas_hemvn_kernel_lower_block_sumILi64El19rocblas_complex_numIfEPKPS1_S1_EviT1_lS5_lT2_lT0_lPT3_i,@function
_ZL36rocblas_hemvn_kernel_lower_block_sumILi64El19rocblas_complex_numIfEPKPS1_S1_EviT1_lS5_lT2_lT0_lPT3_i: ; @_ZL36rocblas_hemvn_kernel_lower_block_sumILi64El19rocblas_complex_numIfEPKPS1_S1_EviT1_lS5_lT2_lT0_lPT3_i
; %bb.0:
	s_clause 0x1
	s_load_b128 s[8:11], s[0:1], 0x0
	s_load_b64 s[12:13], s[0:1], 0x18
	s_mov_b32 s16, s15
	s_waitcnt lgkmcnt(0)
	s_or_b32 s2, s9, s10
	s_delay_alu instid0(SALU_CYCLE_1) | instskip(NEXT) | instid1(SALU_CYCLE_1)
	s_bitset0_b32 s2, 31
	s_cmp_eq_u32 s2, 0
	s_cselect_b32 s11, -1, 0
	s_cmp_lg_u32 s2, 0
	s_mov_b32 s2, -1
	s_cbranch_scc1 .LBB45_2
; %bb.1:
	v_cmp_neq_f32_e64 s2, s12, 1.0
	v_cmp_neq_f32_e64 s3, s13, 0
	s_delay_alu instid0(VALU_DEP_1)
	s_or_b32 s2, s2, s3
.LBB45_2:
	s_delay_alu instid0(SALU_CYCLE_1)
	s_and_not1_b32 vcc_lo, exec_lo, s2
	s_cbranch_vccnz .LBB45_19
; %bb.3:
	s_clause 0x1
	s_load_b64 s[2:3], s[0:1], 0x28
	s_load_b128 s[4:7], s[0:1], 0x30
	s_mov_b32 s17, 0
	v_lshl_or_b32 v0, s14, 6, v0
	s_lshl_b64 s[18:19], s[16:17], 3
	s_waitcnt lgkmcnt(0)
	s_add_u32 s2, s2, s18
	s_addc_u32 s3, s3, s19
	s_lshl_b64 s[4:5], s[4:5], 3
	s_load_b64 s[18:19], s[2:3], 0x0
	v_cmp_gt_i32_e64 s2, s8, v0
	s_waitcnt lgkmcnt(0)
	s_add_u32 s3, s18, s4
	s_addc_u32 s4, s19, s5
	s_and_not1_b32 vcc_lo, exec_lo, s11
	s_mov_b32 s5, -1
	s_cbranch_vccnz .LBB45_9
; %bb.4:
	s_and_saveexec_b32 s5, s2
	s_cbranch_execz .LBB45_8
; %bb.5:
	v_ashrrev_i32_e32 v1, 31, v0
	v_mul_lo_u32 v3, v0, s7
	v_cmp_neq_f32_e64 s2, s12, 0
	v_cmp_neq_f32_e64 s11, s13, 0
	s_delay_alu instid0(VALU_DEP_4) | instskip(SKIP_1) | instid1(VALU_DEP_3)
	v_mul_lo_u32 v4, v1, s6
	v_mad_u64_u32 v[1:2], null, v0, s6, 0
	s_or_b32 s2, s2, s11
	s_delay_alu instid0(SALU_CYCLE_1) | instskip(NEXT) | instid1(VALU_DEP_1)
	s_and_not1_b32 vcc_lo, exec_lo, s2
	v_add3_u32 v2, v2, v3, v4
	v_dual_mov_b32 v3, 0 :: v_dual_mov_b32 v4, 0
	s_delay_alu instid0(VALU_DEP_2)
	v_lshlrev_b64 v[1:2], 3, v[1:2]
	s_cbranch_vccnz .LBB45_7
; %bb.6:
	s_delay_alu instid0(VALU_DEP_1) | instskip(NEXT) | instid1(VALU_DEP_2)
	v_add_co_u32 v3, vcc_lo, s3, v1
	v_add_co_ci_u32_e32 v4, vcc_lo, s4, v2, vcc_lo
	global_load_b64 v[5:6], v[3:4], off
	s_waitcnt vmcnt(0)
	v_mul_f32_e32 v4, s12, v6
	s_delay_alu instid0(VALU_DEP_1) | instskip(NEXT) | instid1(VALU_DEP_1)
	v_dual_mul_f32 v3, s13, v6 :: v_dual_fmac_f32 v4, s13, v5
	v_fma_f32 v3, v5, s12, -v3
.LBB45_7:
	s_delay_alu instid0(VALU_DEP_1) | instskip(NEXT) | instid1(VALU_DEP_2)
	v_add_co_u32 v1, vcc_lo, s3, v1
	v_add_co_ci_u32_e32 v2, vcc_lo, s4, v2, vcc_lo
	global_store_b64 v[1:2], v[3:4], off
.LBB45_8:
	s_or_b32 exec_lo, exec_lo, s5
	s_mov_b32 s5, 0
.LBB45_9:
	s_delay_alu instid0(SALU_CYCLE_1)
	s_and_not1_b32 vcc_lo, exec_lo, s5
	s_cbranch_vccnz .LBB45_19
; %bb.10:
	s_mov_b32 s2, exec_lo
	v_cmpx_gt_i32_e64 s8, v0
	s_cbranch_execz .LBB45_19
; %bb.11:
	s_load_b32 s2, s[0:1], 0x58
	v_dual_mov_b32 v3, 0 :: v_dual_mov_b32 v4, 0
	s_waitcnt lgkmcnt(0)
	s_cmp_ge_i32 s14, s2
	s_cbranch_scc1 .LBB45_14
; %bb.12:
	s_load_b64 s[0:1], s[0:1], 0x48
	v_mad_u64_u32 v[1:2], null, s14, s8, v[0:1]
	s_ashr_i32 s17, s8, 31
	s_mul_hi_u32 s5, s8, s16
	s_mul_i32 s11, s17, s16
	s_mul_i32 s15, s8, s16
	s_add_i32 s5, s5, s11
	s_mul_hi_u32 s11, s15, s2
	s_delay_alu instid0(VALU_DEP_1)
	v_ashrrev_i32_e32 v2, 31, v1
	s_mul_i32 s5, s5, s2
	s_mul_i32 s18, s15, s2
	s_add_i32 s19, s11, s5
	v_dual_mov_b32 v3, 0 :: v_dual_mov_b32 v4, 0
	v_lshlrev_b64 v[1:2], 3, v[1:2]
	s_lshl_b64 s[18:19], s[18:19], 3
	s_mov_b32 s16, s8
	s_waitcnt lgkmcnt(0)
	s_add_u32 s0, s0, s18
	s_addc_u32 s1, s1, s19
	v_add_co_u32 v1, vcc_lo, s0, v1
	v_add_co_ci_u32_e32 v2, vcc_lo, s1, v2, vcc_lo
	s_lshl_b64 s[0:1], s[16:17], 3
	s_delay_alu instid0(VALU_DEP_2) | instskip(NEXT) | instid1(VALU_DEP_2)
	v_add_co_u32 v1, vcc_lo, v1, 4
	v_add_co_ci_u32_e32 v2, vcc_lo, 0, v2, vcc_lo
.LBB45_13:                              ; =>This Inner Loop Header: Depth=1
	global_load_b64 v[5:6], v[1:2], off offset:-4
	v_add_co_u32 v1, vcc_lo, v1, s0
	v_add_co_ci_u32_e32 v2, vcc_lo, s1, v2, vcc_lo
	s_add_i32 s14, s14, 1
	s_delay_alu instid0(SALU_CYCLE_1)
	s_cmp_ge_i32 s14, s2
	s_waitcnt vmcnt(0)
	v_dual_add_f32 v4, v4, v5 :: v_dual_add_f32 v3, v3, v6
	s_cbranch_scc0 .LBB45_13
.LBB45_14:
	v_ashrrev_i32_e32 v1, 31, v0
	s_delay_alu instid0(VALU_DEP_2)
	v_mul_f32_e32 v2, s9, v3
	v_mul_f32_e32 v7, s10, v3
	v_cmp_neq_f32_e64 s0, s12, 0
	v_cmp_neq_f32_e64 s1, s13, 0
	v_mul_lo_u32 v5, v0, s7
	v_fmac_f32_e32 v2, s10, v4
	v_mul_lo_u32 v6, v1, s6
	v_fma_f32 v1, v4, s9, -v7
	s_or_b32 s0, s0, s1
	s_delay_alu instid0(SALU_CYCLE_1)
	s_and_not1_b32 vcc_lo, exec_lo, s0
	s_mov_b32 s0, 0
	s_cbranch_vccz .LBB45_16
; %bb.15:
	v_mad_u64_u32 v[3:4], null, v0, s6, 0
	s_delay_alu instid0(VALU_DEP_1)
	v_add3_u32 v4, v4, v5, v6
	s_and_not1_b32 vcc_lo, exec_lo, s0
	s_cbranch_vccz .LBB45_17
	s_branch .LBB45_18
.LBB45_16:
                                        ; implicit-def: $vgpr3_vgpr4
.LBB45_17:
	v_mad_u64_u32 v[3:4], null, v0, s6, 0
	s_delay_alu instid0(VALU_DEP_1) | instskip(NEXT) | instid1(VALU_DEP_1)
	v_add3_u32 v4, v4, v5, v6
	v_lshlrev_b64 v[5:6], 3, v[3:4]
	s_delay_alu instid0(VALU_DEP_1) | instskip(NEXT) | instid1(VALU_DEP_2)
	v_add_co_u32 v5, vcc_lo, s3, v5
	v_add_co_ci_u32_e32 v6, vcc_lo, s4, v6, vcc_lo
	global_load_b64 v[5:6], v[5:6], off
	s_waitcnt vmcnt(0)
	v_mul_f32_e32 v0, s13, v6
	s_delay_alu instid0(VALU_DEP_1) | instskip(NEXT) | instid1(VALU_DEP_1)
	v_fma_f32 v0, v5, s12, -v0
	v_dual_mul_f32 v6, s12, v6 :: v_dual_add_f32 v1, v1, v0
	s_delay_alu instid0(VALU_DEP_1) | instskip(NEXT) | instid1(VALU_DEP_1)
	v_fmac_f32_e32 v6, s13, v5
	v_add_f32_e32 v2, v2, v6
.LBB45_18:
	s_delay_alu instid0(VALU_DEP_1) | instskip(NEXT) | instid1(VALU_DEP_1)
	v_lshlrev_b64 v[3:4], 3, v[3:4]
	v_add_co_u32 v3, vcc_lo, s3, v3
	s_delay_alu instid0(VALU_DEP_2)
	v_add_co_ci_u32_e32 v4, vcc_lo, s4, v4, vcc_lo
	global_store_b64 v[3:4], v[1:2], off
.LBB45_19:
	s_nop 0
	s_sendmsg sendmsg(MSG_DEALLOC_VGPRS)
	s_endpgm
	.section	.rodata,"a",@progbits
	.p2align	6, 0x0
	.amdhsa_kernel _ZL36rocblas_hemvn_kernel_lower_block_sumILi64El19rocblas_complex_numIfEPKPS1_S1_EviT1_lS5_lT2_lT0_lPT3_i
		.amdhsa_group_segment_fixed_size 0
		.amdhsa_private_segment_fixed_size 0
		.amdhsa_kernarg_size 344
		.amdhsa_user_sgpr_count 14
		.amdhsa_user_sgpr_dispatch_ptr 0
		.amdhsa_user_sgpr_queue_ptr 0
		.amdhsa_user_sgpr_kernarg_segment_ptr 1
		.amdhsa_user_sgpr_dispatch_id 0
		.amdhsa_user_sgpr_private_segment_size 0
		.amdhsa_wavefront_size32 1
		.amdhsa_uses_dynamic_stack 0
		.amdhsa_enable_private_segment 0
		.amdhsa_system_sgpr_workgroup_id_x 1
		.amdhsa_system_sgpr_workgroup_id_y 0
		.amdhsa_system_sgpr_workgroup_id_z 1
		.amdhsa_system_sgpr_workgroup_info 0
		.amdhsa_system_vgpr_workitem_id 0
		.amdhsa_next_free_vgpr 8
		.amdhsa_next_free_sgpr 20
		.amdhsa_reserve_vcc 1
		.amdhsa_float_round_mode_32 0
		.amdhsa_float_round_mode_16_64 0
		.amdhsa_float_denorm_mode_32 3
		.amdhsa_float_denorm_mode_16_64 3
		.amdhsa_dx10_clamp 1
		.amdhsa_ieee_mode 1
		.amdhsa_fp16_overflow 0
		.amdhsa_workgroup_processor_mode 1
		.amdhsa_memory_ordered 1
		.amdhsa_forward_progress 0
		.amdhsa_shared_vgpr_count 0
		.amdhsa_exception_fp_ieee_invalid_op 0
		.amdhsa_exception_fp_denorm_src 0
		.amdhsa_exception_fp_ieee_div_zero 0
		.amdhsa_exception_fp_ieee_overflow 0
		.amdhsa_exception_fp_ieee_underflow 0
		.amdhsa_exception_fp_ieee_inexact 0
		.amdhsa_exception_int_div_zero 0
	.end_amdhsa_kernel
	.section	.text._ZL36rocblas_hemvn_kernel_lower_block_sumILi64El19rocblas_complex_numIfEPKPS1_S1_EviT1_lS5_lT2_lT0_lPT3_i,"axG",@progbits,_ZL36rocblas_hemvn_kernel_lower_block_sumILi64El19rocblas_complex_numIfEPKPS1_S1_EviT1_lS5_lT2_lT0_lPT3_i,comdat
.Lfunc_end45:
	.size	_ZL36rocblas_hemvn_kernel_lower_block_sumILi64El19rocblas_complex_numIfEPKPS1_S1_EviT1_lS5_lT2_lT0_lPT3_i, .Lfunc_end45-_ZL36rocblas_hemvn_kernel_lower_block_sumILi64El19rocblas_complex_numIfEPKPS1_S1_EviT1_lS5_lT2_lT0_lPT3_i
                                        ; -- End function
	.section	.AMDGPU.csdata,"",@progbits
; Kernel info:
; codeLenInByte = 856
; NumSgprs: 22
; NumVgprs: 8
; ScratchSize: 0
; MemoryBound: 0
; FloatMode: 240
; IeeeMode: 1
; LDSByteSize: 0 bytes/workgroup (compile time only)
; SGPRBlocks: 2
; VGPRBlocks: 0
; NumSGPRsForWavesPerEU: 22
; NumVGPRsForWavesPerEU: 8
; Occupancy: 16
; WaveLimiterHint : 1
; COMPUTE_PGM_RSRC2:SCRATCH_EN: 0
; COMPUTE_PGM_RSRC2:USER_SGPR: 14
; COMPUTE_PGM_RSRC2:TRAP_HANDLER: 0
; COMPUTE_PGM_RSRC2:TGID_X_EN: 1
; COMPUTE_PGM_RSRC2:TGID_Y_EN: 0
; COMPUTE_PGM_RSRC2:TGID_Z_EN: 1
; COMPUTE_PGM_RSRC2:TIDIG_COMP_CNT: 0
	.section	.text._ZL26rocblas_hemvn_kernel_lowerILb1ELi64ELi4ELi33ELi32ELi16Ei19rocblas_complex_numIfEPKPKS1_PS1_EviT6_lT7_lT5_lS8_lS9_lS7_lT8_i,"axG",@progbits,_ZL26rocblas_hemvn_kernel_lowerILb1ELi64ELi4ELi33ELi32ELi16Ei19rocblas_complex_numIfEPKPKS1_PS1_EviT6_lT7_lT5_lS8_lS9_lS7_lT8_i,comdat
	.globl	_ZL26rocblas_hemvn_kernel_lowerILb1ELi64ELi4ELi33ELi32ELi16Ei19rocblas_complex_numIfEPKPKS1_PS1_EviT6_lT7_lT5_lS8_lS9_lS7_lT8_i ; -- Begin function _ZL26rocblas_hemvn_kernel_lowerILb1ELi64ELi4ELi33ELi32ELi16Ei19rocblas_complex_numIfEPKPKS1_PS1_EviT6_lT7_lT5_lS8_lS9_lS7_lT8_i
	.p2align	8
	.type	_ZL26rocblas_hemvn_kernel_lowerILb1ELi64ELi4ELi33ELi32ELi16Ei19rocblas_complex_numIfEPKPKS1_PS1_EviT6_lT7_lT5_lS8_lS9_lS7_lT8_i,@function
_ZL26rocblas_hemvn_kernel_lowerILb1ELi64ELi4ELi33ELi32ELi16Ei19rocblas_complex_numIfEPKPKS1_PS1_EviT6_lT7_lT5_lS8_lS9_lS7_lT8_i: ; @_ZL26rocblas_hemvn_kernel_lowerILb1ELi64ELi4ELi33ELi32ELi16Ei19rocblas_complex_numIfEPKPKS1_PS1_EviT6_lT7_lT5_lS8_lS9_lS7_lT8_i
; %bb.0:
	s_load_b64 s[4:5], s[0:1], 0x84
	s_add_u32 s2, s0, 0x78
	s_addc_u32 s3, s1, 0
	s_waitcnt lgkmcnt(0)
	s_lshr_b32 s6, s4, 16
	s_and_b32 s4, s4, 0xffff
	s_and_b32 s5, s5, 0xffff
	s_mul_i32 s4, s6, s4
	s_delay_alu instid0(SALU_CYCLE_1) | instskip(NEXT) | instid1(SALU_CYCLE_1)
	s_mul_i32 s4, s4, s5
	s_cmpk_lg_i32 s4, 0x100
	s_cbranch_scc1 .LBB46_141
; %bb.1:
	s_load_b64 s[4:5], s[0:1], 0x4
	s_mov_b32 s10, s15
	s_mov_b32 s7, 0
	s_waitcnt lgkmcnt(0)
	s_or_b32 s4, s4, s5
	s_delay_alu instid0(SALU_CYCLE_1) | instskip(NEXT) | instid1(SALU_CYCLE_1)
	s_bitset0_b32 s4, 31
	s_cmp_lg_u32 s4, 0
	s_cselect_b32 s6, -1, 0
	s_delay_alu instid0(SALU_CYCLE_1)
	s_and_b32 vcc_lo, exec_lo, s6
	s_cbranch_vccnz .LBB46_4
; %bb.2:
	s_load_b64 s[4:5], s[0:1], 0x58
	s_mov_b32 s8, 0
	s_waitcnt lgkmcnt(0)
	v_cmp_eq_f32_e64 s4, s4, 1.0
	v_cmp_eq_f32_e64 s5, s5, 0
	s_delay_alu instid0(VALU_DEP_1) | instskip(NEXT) | instid1(SALU_CYCLE_1)
	s_and_b32 s4, s4, s5
	s_and_not1_b32 vcc_lo, exec_lo, s4
                                        ; implicit-def: $sgpr4_sgpr5
	s_cbranch_vccz .LBB46_5
; %bb.3:
	s_mov_b32 s7, -1
	s_mov_b64 s[4:5], 0
	s_branch .LBB46_5
.LBB46_4:
	s_mov_b32 s8, -1
                                        ; implicit-def: $sgpr4_sgpr5
.LBB46_5:
	s_delay_alu instid0(SALU_CYCLE_1)
	s_and_b32 vcc_lo, exec_lo, s8
	s_cbranch_vccz .LBB46_7
; %bb.6:
	s_load_b128 s[16:19], s[0:1], 0x18
	s_mov_b32 s11, 0
	s_mov_b32 s7, -1
	s_lshl_b64 s[4:5], s[10:11], 3
	s_waitcnt lgkmcnt(0)
	s_add_u32 s4, s16, s4
	s_addc_u32 s5, s17, s5
	s_lshl_b64 s[8:9], s[18:19], 3
	s_load_b64 s[4:5], s[4:5], 0x0
	s_waitcnt lgkmcnt(0)
	s_add_u32 s4, s4, s8
	s_addc_u32 s5, s5, s9
.LBB46_7:
	s_and_not1_b32 vcc_lo, exec_lo, s7
	s_cbranch_vccnz .LBB46_141
; %bb.8:
	v_cndmask_b32_e64 v1, 0, 1, s6
	s_and_not1_b32 vcc_lo, exec_lo, s6
	s_mov_b64 s[6:7], 0
	s_cbranch_vccnz .LBB46_10
; %bb.9:
	s_load_b128 s[16:19], s[0:1], 0x38
	s_mov_b32 s11, 0
	s_delay_alu instid0(SALU_CYCLE_1)
	s_lshl_b64 s[6:7], s[10:11], 3
	s_waitcnt lgkmcnt(0)
	s_add_u32 s6, s16, s6
	s_addc_u32 s7, s17, s7
	s_lshl_b64 s[8:9], s[18:19], 3
	s_load_b64 s[6:7], s[6:7], 0x0
	s_waitcnt lgkmcnt(0)
	s_add_u32 s6, s6, s8
	s_addc_u32 s7, s7, s9
.LBB46_10:
	s_delay_alu instid0(VALU_DEP_1)
	v_cmp_ne_u32_e32 vcc_lo, 1, v1
	s_cbranch_vccnz .LBB46_141
; %bb.11:
	s_clause 0x1
	s_load_b32 s11, s[0:1], 0x48
	s_load_b32 s15, s[0:1], 0x0
	v_and_b32_e32 v25, 0x3ff, v0
	s_lshl_b32 s18, s14, 6
	s_load_b32 s26, s[2:3], 0x0
	v_bfe_u32 v71, v0, 10, 10
	s_delay_alu instid0(VALU_DEP_2) | instskip(SKIP_1) | instid1(VALU_DEP_1)
	v_add_nc_u32_e32 v16, s18, v25
	s_waitcnt lgkmcnt(0)
	v_mul_lo_u32 v1, v16, s11
	s_ashr_i32 s27, s15, 31
	s_delay_alu instid0(SALU_CYCLE_1) | instskip(SKIP_4) | instid1(VALU_DEP_2)
	s_lshr_b32 s2, s27, 26
	s_add_i32 s8, s26, -1
	s_add_i32 s3, s15, s2
	v_cmp_ne_u32_e64 s2, 0, v71
	s_and_not1_b32 s3, s3, 63
	v_ashrrev_i32_e32 v2, 31, v1
	s_sub_i32 s9, s15, s3
	v_cmp_eq_u32_e64 s3, 0, v71
	s_cmp_eq_u32 s14, s8
	s_cselect_b32 s12, s9, 0
	v_lshlrev_b64 v[0:1], 3, v[1:2]
	s_delay_alu instid0(VALU_DEP_1) | instskip(NEXT) | instid1(VALU_DEP_2)
	v_add_co_u32 v19, vcc_lo, s6, v0
	v_add_co_ci_u32_e32 v20, vcc_lo, s7, v1, vcc_lo
	s_mov_b32 s6, -1
	s_and_saveexec_b32 s7, s3
	s_cbranch_execz .LBB46_16
; %bb.12:
	v_cmp_le_i32_e32 vcc_lo, s12, v25
	s_cmp_lg_u32 s12, 0
	v_lshl_add_u32 v0, v25, 3, 0x2380
	s_cselect_b32 s8, -1, 0
	s_delay_alu instid0(SALU_CYCLE_1) | instskip(NEXT) | instid1(SALU_CYCLE_1)
	s_and_b32 s8, s8, vcc_lo
	s_and_saveexec_b32 s9, s8
	s_delay_alu instid0(SALU_CYCLE_1)
	s_xor_b32 s8, exec_lo, s9
	s_cbranch_execz .LBB46_14
; %bb.13:
	v_mov_b32_e32 v1, 0
	s_delay_alu instid0(VALU_DEP_1)
	v_mov_b32_e32 v2, v1
	ds_store_b64 v0, v[1:2]
                                        ; implicit-def: $vgpr0
.LBB46_14:
	s_and_not1_saveexec_b32 s8, s8
	s_cbranch_execz .LBB46_16
; %bb.15:
	flat_load_b64 v[1:2], v[19:20]
	s_waitcnt vmcnt(0) lgkmcnt(0)
	ds_store_b64 v0, v[1:2]
.LBB46_16:
	s_or_b32 exec_lo, exec_lo, s7
	s_load_b32 s16, s[0:1], 0x28
	v_lshl_add_u32 v26, v71, 6, v25
	v_and_b32_e32 v0, 31, v25
	s_ashr_i32 s19, s18, 31
	s_delay_alu instid0(SALU_CYCLE_1) | instskip(NEXT) | instid1(VALU_DEP_2)
	s_lshl_b64 s[8:9], s[18:19], 3
	v_lshrrev_b32_e32 v5, 5, v26
	s_add_u32 s7, s4, s8
	s_addc_u32 s8, s5, s9
	s_waitcnt lgkmcnt(0)
	s_delay_alu instid0(VALU_DEP_1) | instskip(SKIP_1) | instid1(SALU_CYCLE_1)
	v_mad_u64_u32 v[1:2], null, v5, s16, v[0:1]
	s_mul_i32 s4, s18, s16
	s_ashr_i32 s5, s4, 31
	s_delay_alu instid0(SALU_CYCLE_1) | instskip(NEXT) | instid1(SALU_CYCLE_1)
	s_lshl_b64 s[20:21], s[4:5], 3
	s_add_u32 s4, s20, s7
	s_delay_alu instid0(VALU_DEP_1) | instskip(SKIP_3) | instid1(VALU_DEP_1)
	v_ashrrev_i32_e32 v2, 31, v1
	s_addc_u32 s5, s21, s8
	s_cmp_lg_u32 s12, 0
	s_cselect_b32 s19, -1, 0
	v_lshlrev_b64 v[21:22], 3, v[1:2]
	s_cmp_eq_u32 s12, 0
	s_cselect_b32 s9, -1, 0
	s_delay_alu instid0(VALU_DEP_1) | instskip(NEXT) | instid1(VALU_DEP_2)
	v_add_co_u32 v1, vcc_lo, s4, v21
	v_add_co_ci_u32_e32 v2, vcc_lo, s5, v22, vcc_lo
	s_and_b32 vcc_lo, exec_lo, s19
	s_cbranch_vccnz .LBB46_18
; %bb.17:
	flat_load_b64 v[3:4], v[1:2]
	s_lshl_b32 s4, s16, 3
	v_mul_u32_u24_e32 v6, 33, v5
	s_ashr_i32 s5, s4, 31
	s_ashr_i32 s17, s16, 31
	s_lshl_b64 s[4:5], s[4:5], 3
	s_mov_b32 s6, 0
	v_add_lshl_u32 v8, v6, v0, 3
	v_add_co_u32 v6, vcc_lo, v1, s4
	v_add_co_ci_u32_e32 v7, vcc_lo, s5, v2, vcc_lo
	s_lshl_b64 s[4:5], s[16:17], 6
	s_waitcnt vmcnt(0) lgkmcnt(0)
	ds_store_b64 v8, v[3:4]
	flat_load_b64 v[3:4], v[6:7]
	v_add_co_u32 v6, vcc_lo, v6, s4
	v_add_co_ci_u32_e32 v7, vcc_lo, s5, v7, vcc_lo
	s_waitcnt vmcnt(0) lgkmcnt(0)
	ds_store_b64 v8, v[3:4] offset:2112
	flat_load_b64 v[3:4], v[6:7]
	v_add_co_u32 v6, vcc_lo, v6, s4
	v_add_co_ci_u32_e32 v7, vcc_lo, s5, v7, vcc_lo
	s_waitcnt vmcnt(0) lgkmcnt(0)
	ds_store_b64 v8, v[3:4] offset:4224
	flat_load_b64 v[3:4], v[6:7]
	s_waitcnt vmcnt(0) lgkmcnt(0)
	ds_store_b64 v8, v[3:4] offset:6336
.LBB46_18:
	s_and_not1_b32 vcc_lo, exec_lo, s6
	s_cbranch_vccnz .LBB46_36
; %bb.19:
	v_lshlrev_b32_e32 v6, 3, v0
	s_ashr_i32 s13, s12, 31
	v_mul_u32_u24_e32 v7, 33, v5
	s_lshl_b64 s[6:7], s[12:13], 3
	v_cmp_le_i32_e64 s4, s12, v5
	v_sub_co_u32 v3, vcc_lo, v1, v6
	v_subrev_co_ci_u32_e32 v4, vcc_lo, 0, v2, vcc_lo
	v_add_lshl_u32 v7, v7, v0, 3
	s_delay_alu instid0(VALU_DEP_3) | instskip(NEXT) | instid1(VALU_DEP_3)
	v_add_co_u32 v3, vcc_lo, v3, s6
	v_add_co_ci_u32_e32 v4, vcc_lo, s7, v4, vcc_lo
	s_delay_alu instid0(VALU_DEP_2) | instskip(NEXT) | instid1(VALU_DEP_2)
	v_add_co_u32 v3, vcc_lo, v3, -8
	v_add_co_ci_u32_e32 v4, vcc_lo, -1, v4, vcc_lo
	v_cmp_gt_i32_e32 vcc_lo, s12, v0
	s_delay_alu instid0(VALU_DEP_2) | instskip(SKIP_1) | instid1(SALU_CYCLE_1)
	v_dual_cndmask_b32 v3, v3, v1 :: v_dual_cndmask_b32 v4, v4, v2
	s_and_saveexec_b32 s5, s4
	s_xor_b32 s4, exec_lo, s5
	s_cbranch_execz .LBB46_21
; %bb.20:
	v_mov_b32_e32 v8, 0
	s_delay_alu instid0(VALU_DEP_1)
	v_mov_b32_e32 v9, v8
	ds_store_b64 v7, v[8:9]
.LBB46_21:
	s_and_not1_saveexec_b32 s4, s4
	s_cbranch_execz .LBB46_23
; %bb.22:
	flat_load_b64 v[8:9], v[3:4]
	s_waitcnt vmcnt(0) lgkmcnt(0)
	ds_store_b64 v7, v[8:9]
.LBB46_23:
	s_or_b32 exec_lo, exec_lo, s4
	v_add_nc_u32_e32 v8, 8, v5
	s_delay_alu instid0(VALU_DEP_1) | instskip(NEXT) | instid1(VALU_DEP_1)
	v_cmp_le_i32_e64 s4, s12, v8
	s_and_saveexec_b32 s5, s4
	s_delay_alu instid0(SALU_CYCLE_1)
	s_xor_b32 s4, exec_lo, s5
	s_cbranch_execz .LBB46_25
; %bb.24:
	v_mul_u32_u24_e32 v9, 33, v8
	v_mov_b32_e32 v8, 0
	s_delay_alu instid0(VALU_DEP_2) | instskip(NEXT) | instid1(VALU_DEP_2)
	v_add_lshl_u32 v10, v9, v0, 3
	v_mov_b32_e32 v9, v8
	ds_store_b64 v10, v[8:9]
.LBB46_25:
	s_and_not1_saveexec_b32 s5, s4
	s_cbranch_execz .LBB46_27
; %bb.26:
	s_lshl_b32 s22, s16, 3
	s_delay_alu instid0(SALU_CYCLE_1) | instskip(NEXT) | instid1(SALU_CYCLE_1)
	s_ashr_i32 s23, s22, 31
	s_lshl_b64 s[22:23], s[22:23], 3
	s_delay_alu instid0(SALU_CYCLE_1) | instskip(NEXT) | instid1(VALU_DEP_1)
	v_add_co_u32 v8, s4, v3, s22
	v_add_co_ci_u32_e64 v9, s4, s23, v4, s4
	flat_load_b64 v[8:9], v[8:9]
	s_waitcnt vmcnt(0) lgkmcnt(0)
	ds_store_b64 v7, v[8:9] offset:2112
.LBB46_27:
	s_or_b32 exec_lo, exec_lo, s5
	v_add_nc_u32_e32 v8, 16, v5
	s_delay_alu instid0(VALU_DEP_1) | instskip(NEXT) | instid1(VALU_DEP_1)
	v_cmp_le_i32_e64 s4, s12, v8
	s_and_saveexec_b32 s5, s4
	s_delay_alu instid0(SALU_CYCLE_1)
	s_xor_b32 s4, exec_lo, s5
	s_cbranch_execz .LBB46_29
; %bb.28:
	v_mul_u32_u24_e32 v9, 33, v8
	v_mov_b32_e32 v8, 0
	s_delay_alu instid0(VALU_DEP_2) | instskip(NEXT) | instid1(VALU_DEP_2)
	v_add_lshl_u32 v10, v9, v0, 3
	v_mov_b32_e32 v9, v8
	ds_store_b64 v10, v[8:9]
.LBB46_29:
	s_and_not1_saveexec_b32 s5, s4
	s_cbranch_execz .LBB46_31
; %bb.30:
	s_lshl_b32 s22, s16, 4
	s_delay_alu instid0(SALU_CYCLE_1) | instskip(NEXT) | instid1(SALU_CYCLE_1)
	s_ashr_i32 s23, s22, 31
	s_lshl_b64 s[22:23], s[22:23], 3
	s_delay_alu instid0(SALU_CYCLE_1) | instskip(NEXT) | instid1(VALU_DEP_1)
	v_add_co_u32 v8, s4, v3, s22
	v_add_co_ci_u32_e64 v9, s4, s23, v4, s4
	flat_load_b64 v[8:9], v[8:9]
	s_waitcnt vmcnt(0) lgkmcnt(0)
	ds_store_b64 v7, v[8:9] offset:4224
.LBB46_31:
	s_or_b32 exec_lo, exec_lo, s5
	v_add_nc_u32_e32 v8, 24, v5
	s_delay_alu instid0(VALU_DEP_1) | instskip(NEXT) | instid1(VALU_DEP_1)
	v_cmp_le_i32_e64 s4, s12, v8
	s_and_saveexec_b32 s5, s4
	s_delay_alu instid0(SALU_CYCLE_1)
	s_xor_b32 s4, exec_lo, s5
	s_cbranch_execz .LBB46_33
; %bb.32:
	v_mov_b32_e32 v8, 0
	s_delay_alu instid0(VALU_DEP_1)
	v_mov_b32_e32 v9, v8
	ds_store_b64 v7, v[8:9] offset:6336
                                        ; implicit-def: $vgpr7
.LBB46_33:
	s_and_not1_saveexec_b32 s5, s4
	s_cbranch_execz .LBB46_35
; %bb.34:
	s_mul_i32 s22, s16, 24
	s_delay_alu instid0(SALU_CYCLE_1) | instskip(NEXT) | instid1(SALU_CYCLE_1)
	s_ashr_i32 s23, s22, 31
	s_lshl_b64 s[22:23], s[22:23], 3
	s_delay_alu instid0(SALU_CYCLE_1) | instskip(NEXT) | instid1(VALU_DEP_1)
	v_add_co_u32 v8, s4, v3, s22
	v_add_co_ci_u32_e64 v9, s4, s23, v4, s4
	flat_load_b64 v[8:9], v[8:9]
	s_waitcnt vmcnt(0) lgkmcnt(0)
	ds_store_b64 v7, v[8:9] offset:6336
.LBB46_35:
	s_or_b32 exec_lo, exec_lo, s5
	v_add_co_u32 v3, s4, v3, v6
	s_delay_alu instid0(VALU_DEP_1) | instskip(NEXT) | instid1(VALU_DEP_2)
	v_add_co_ci_u32_e64 v4, s4, 0, v4, s4
	v_sub_co_u32 v3, s4, v3, s6
	s_delay_alu instid0(VALU_DEP_1) | instskip(NEXT) | instid1(VALU_DEP_2)
	v_subrev_co_ci_u32_e64 v4, s4, s7, v4, s4
	v_add_co_u32 v3, s4, v3, 8
	s_delay_alu instid0(VALU_DEP_1) | instskip(NEXT) | instid1(VALU_DEP_1)
	v_add_co_ci_u32_e64 v4, s4, 0, v4, s4
	v_dual_cndmask_b32 v1, v3, v1 :: v_dual_cndmask_b32 v2, v4, v2
.LBB46_36:
	v_lshlrev_b32_e32 v6, 2, v5
	s_waitcnt lgkmcnt(0)
	s_barrier
	buffer_gl0_inv
	v_cmp_ge_u32_e64 s5, v6, v0
	s_delay_alu instid0(VALU_DEP_1) | instskip(NEXT) | instid1(SALU_CYCLE_1)
	s_and_saveexec_b32 s4, s5
	s_xor_b32 s4, exec_lo, s4
	s_cbranch_execz .LBB46_40
; %bb.37:
	s_mov_b32 s6, exec_lo
	v_cmpx_eq_u32_e64 v6, v0
	s_cbranch_execz .LBB46_39
; %bb.38:
	v_mul_u32_u24_e32 v3, 34, v0
	s_delay_alu instid0(VALU_DEP_1)
	v_dual_mov_b32 v4, 0 :: v_dual_lshlrev_b32 v3, 3, v3
	ds_store_b32 v3, v4 offset:4
.LBB46_39:
	s_or_b32 exec_lo, exec_lo, s6
.LBB46_40:
	s_or_saveexec_b32 s4, s4
	v_mul_u32_u24_e32 v27, 33, v0
	v_mul_u32_u24_e32 v3, 0x84, v5
	s_delay_alu instid0(VALU_DEP_2)
	v_add_lshl_u32 v4, v6, v27, 3
	s_xor_b32 exec_lo, exec_lo, s4
	s_cbranch_execz .LBB46_42
; %bb.41:
	s_delay_alu instid0(VALU_DEP_2)
	v_add_lshl_u32 v7, v3, v0, 3
	ds_load_b64 v[7:8], v7
	s_waitcnt lgkmcnt(0)
	v_xor_b32_e32 v8, 0x80000000, v8
	ds_store_b64 v4, v[7:8]
.LBB46_42:
	s_or_b32 exec_lo, exec_lo, s4
	v_or_b32_e32 v7, 1, v6
	s_delay_alu instid0(VALU_DEP_1) | instskip(NEXT) | instid1(VALU_DEP_1)
	v_cmp_ge_u32_e64 s6, v7, v0
	s_and_saveexec_b32 s4, s6
	s_delay_alu instid0(SALU_CYCLE_1)
	s_xor_b32 s4, exec_lo, s4
	s_cbranch_execz .LBB46_46
; %bb.43:
	s_mov_b32 s7, exec_lo
	v_cmpx_eq_u32_e64 v7, v0
	s_cbranch_execz .LBB46_45
; %bb.44:
	v_mul_u32_u24_e32 v8, 34, v0
	s_delay_alu instid0(VALU_DEP_1)
	v_dual_mov_b32 v9, 0 :: v_dual_lshlrev_b32 v8, 3, v8
	ds_store_b32 v8, v9 offset:4
.LBB46_45:
	s_or_b32 exec_lo, exec_lo, s7
.LBB46_46:
	s_or_saveexec_b32 s4, s4
	v_mul_u32_u24_e32 v9, 33, v7
	s_xor_b32 exec_lo, exec_lo, s4
	s_cbranch_execz .LBB46_48
; %bb.47:
	s_delay_alu instid0(VALU_DEP_1)
	v_add_lshl_u32 v8, v9, v0, 3
	ds_load_b64 v[10:11], v8
	s_waitcnt lgkmcnt(0)
	v_xor_b32_e32 v11, 0x80000000, v11
	ds_store_b64 v4, v[10:11] offset:8
.LBB46_48:
	s_or_b32 exec_lo, exec_lo, s4
	v_or_b32_e32 v8, 2, v6
	s_delay_alu instid0(VALU_DEP_1) | instskip(NEXT) | instid1(VALU_DEP_1)
	v_cmp_ge_u32_e64 s7, v8, v0
	s_and_saveexec_b32 s4, s7
	s_delay_alu instid0(SALU_CYCLE_1)
	s_xor_b32 s4, exec_lo, s4
	s_cbranch_execz .LBB46_52
; %bb.49:
	s_mov_b32 s8, exec_lo
	v_cmpx_eq_u32_e64 v8, v0
	s_cbranch_execz .LBB46_51
; %bb.50:
	v_mul_u32_u24_e32 v10, 34, v0
	s_delay_alu instid0(VALU_DEP_1)
	v_dual_mov_b32 v11, 0 :: v_dual_lshlrev_b32 v10, 3, v10
	ds_store_b32 v10, v11 offset:4
.LBB46_51:
	s_or_b32 exec_lo, exec_lo, s8
.LBB46_52:
	s_and_not1_saveexec_b32 s4, s4
	s_cbranch_execz .LBB46_54
; %bb.53:
	v_mul_u32_u24_e32 v10, 33, v8
	s_delay_alu instid0(VALU_DEP_1)
	v_add_lshl_u32 v10, v10, v0, 3
	ds_load_b64 v[10:11], v10
	s_waitcnt lgkmcnt(0)
	v_xor_b32_e32 v11, 0x80000000, v11
	ds_store_b64 v4, v[10:11] offset:16
.LBB46_54:
	s_or_b32 exec_lo, exec_lo, s4
	v_or_b32_e32 v10, 3, v6
	s_delay_alu instid0(VALU_DEP_1) | instskip(NEXT) | instid1(VALU_DEP_1)
	v_cmp_ge_u32_e64 s8, v10, v0
	s_and_saveexec_b32 s4, s8
	s_delay_alu instid0(SALU_CYCLE_1)
	s_xor_b32 s4, exec_lo, s4
	s_cbranch_execz .LBB46_58
; %bb.55:
	s_mov_b32 s13, exec_lo
	v_cmpx_eq_u32_e64 v10, v0
	s_cbranch_execz .LBB46_57
; %bb.56:
	v_mul_u32_u24_e32 v11, 34, v0
	s_delay_alu instid0(VALU_DEP_1)
	v_dual_mov_b32 v12, 0 :: v_dual_lshlrev_b32 v11, 3, v11
	ds_store_b32 v11, v12 offset:4
.LBB46_57:
	s_or_b32 exec_lo, exec_lo, s13
.LBB46_58:
	s_and_not1_saveexec_b32 s4, s4
	s_cbranch_execz .LBB46_60
; %bb.59:
	v_mul_u32_u24_e32 v11, 33, v10
	s_delay_alu instid0(VALU_DEP_1)
	v_add_lshl_u32 v11, v11, v0, 3
	ds_load_b64 v[11:12], v11
	s_waitcnt lgkmcnt(0)
	v_xor_b32_e32 v12, 0x80000000, v12
	ds_store_b64 v4, v[11:12] offset:24
.LBB46_60:
	s_or_b32 exec_lo, exec_lo, s4
	v_add_lshl_u32 v11, v3, v0, 3
	v_lshlrev_b32_e32 v3, 3, v6
	v_add_lshl_u32 v9, v9, v0, 3
	s_waitcnt lgkmcnt(0)
	s_barrier
	buffer_gl0_inv
	ds_load_b64 v[17:18], v11
	ds_load_b128 v[12:15], v3 offset:9088
	ds_load_2addr_b64 v[28:31], v9 offset1:33
	ds_load_b128 v[32:35], v3 offset:9104
	ds_load_b64 v[23:24], v9 offset:528
	v_cmp_gt_u32_e64 s4, 32, v26
	s_waitcnt lgkmcnt(0)
	s_barrier
	buffer_gl0_inv
	v_dual_mul_f32 v36, v13, v18 :: v_dual_mul_f32 v37, v15, v29
	v_dual_mul_f32 v18, v12, v18 :: v_dual_mul_f32 v29, v14, v29
	v_mul_f32_e32 v38, v33, v31
	s_delay_alu instid0(VALU_DEP_3) | instskip(NEXT) | instid1(VALU_DEP_3)
	v_fma_f32 v12, v12, v17, -v36
	v_dual_mul_f32 v31, v32, v31 :: v_dual_fmac_f32 v18, v13, v17
	v_fma_f32 v14, v14, v28, -v37
	s_delay_alu instid0(VALU_DEP_4) | instskip(NEXT) | instid1(VALU_DEP_4)
	v_fma_f32 v17, v32, v30, -v38
	v_add_f32_e32 v12, 0, v12
	v_mul_f32_e32 v13, v35, v24
	v_fmac_f32_e32 v31, v33, v30
	s_delay_alu instid0(VALU_DEP_3) | instskip(SKIP_1) | instid1(VALU_DEP_4)
	v_dual_add_f32 v12, v12, v14 :: v_dual_fmac_f32 v29, v15, v28
	v_dual_add_f32 v15, 0, v18 :: v_dual_mul_f32 v18, v34, v24
	v_fma_f32 v13, v34, v23, -v13
	s_delay_alu instid0(VALU_DEP_3) | instskip(NEXT) | instid1(VALU_DEP_3)
	v_dual_add_f32 v12, v12, v17 :: v_dual_mov_b32 v17, 0
	v_add_f32_e32 v14, v15, v29
	s_delay_alu instid0(VALU_DEP_4) | instskip(SKIP_1) | instid1(VALU_DEP_3)
	v_fmac_f32_e32 v18, v35, v23
	v_add_lshl_u32 v28, v5, v27, 3
	v_add_f32_e32 v14, v14, v31
	s_delay_alu instid0(VALU_DEP_1)
	v_dual_add_f32 v12, v12, v13 :: v_dual_add_f32 v13, v14, v18
	v_mov_b32_e32 v18, 0
	ds_store_b64 v28, v[12:13]
	s_waitcnt lgkmcnt(0)
	s_barrier
	buffer_gl0_inv
	s_and_saveexec_b32 s13, s4
	s_cbranch_execz .LBB46_62
; %bb.61:
	v_lshlrev_b32_e32 v17, 3, v27
	ds_load_2addr_b64 v[12:15], v17 offset1:7
	ds_load_2addr_b64 v[29:32], v17 offset0:1 offset1:2
	ds_load_2addr_b64 v[33:36], v17 offset0:3 offset1:4
	;; [unrolled: 1-line block ×3, first 2 shown]
	s_waitcnt lgkmcnt(2)
	v_dual_add_f32 v12, v29, v12 :: v_dual_add_f32 v13, v30, v13
	s_delay_alu instid0(VALU_DEP_1) | instskip(SKIP_1) | instid1(VALU_DEP_1)
	v_dual_add_f32 v12, v12, v31 :: v_dual_add_f32 v13, v13, v32
	s_waitcnt lgkmcnt(1)
	v_dual_add_f32 v12, v12, v33 :: v_dual_add_f32 v13, v13, v34
	s_delay_alu instid0(VALU_DEP_1) | instskip(SKIP_1) | instid1(VALU_DEP_1)
	v_dual_add_f32 v12, v12, v35 :: v_dual_add_f32 v13, v13, v36
	s_waitcnt lgkmcnt(0)
	v_dual_add_f32 v12, v12, v37 :: v_dual_add_f32 v13, v13, v38
	s_delay_alu instid0(VALU_DEP_1) | instskip(NEXT) | instid1(VALU_DEP_1)
	v_dual_add_f32 v12, v12, v39 :: v_dual_add_f32 v13, v13, v40
	v_dual_add_f32 v17, v12, v14 :: v_dual_add_f32 v18, v13, v15
.LBB46_62:
	s_or_b32 exec_lo, exec_lo, s13
	s_lshl_b32 s22, s16, 5
	v_cndmask_b32_e64 v12, 0, 1, s9
	s_ashr_i32 s23, s22, 31
	s_delay_alu instid0(SALU_CYCLE_1)
	s_lshl_b64 s[22:23], s[22:23], 3
	s_barrier
	v_add_co_u32 v1, vcc_lo, v1, s22
	v_add_co_ci_u32_e32 v2, vcc_lo, s23, v2, vcc_lo
	buffer_gl0_inv
	v_add_co_u32 v13, vcc_lo, 0x100, v1
	v_add_co_ci_u32_e32 v14, vcc_lo, 0, v2, vcc_lo
	s_and_not1_b32 vcc_lo, exec_lo, s9
	s_cbranch_vccnz .LBB46_64
; %bb.63:
	flat_load_b64 v[23:24], v[1:2] offset:256
	s_lshl_b32 s24, s16, 3
	v_mul_u32_u24_e32 v15, 33, v5
	s_ashr_i32 s25, s24, 31
	s_ashr_i32 s17, s16, 31
	s_lshl_b64 s[24:25], s[24:25], 3
	s_delay_alu instid0(SALU_CYCLE_1)
	v_add_co_u32 v1, vcc_lo, v1, s24
	v_add_lshl_u32 v15, v15, v0, 3
	v_add_co_ci_u32_e32 v2, vcc_lo, s25, v2, vcc_lo
	s_lshl_b64 s[24:25], s[16:17], 6
	s_waitcnt vmcnt(0) lgkmcnt(0)
	ds_store_b64 v15, v[23:24]
	flat_load_b64 v[23:24], v[1:2] offset:256
	v_add_co_u32 v1, vcc_lo, v1, s24
	v_add_co_ci_u32_e32 v2, vcc_lo, s25, v2, vcc_lo
	s_waitcnt vmcnt(0) lgkmcnt(0)
	ds_store_b64 v15, v[23:24] offset:2112
	flat_load_b64 v[23:24], v[1:2] offset:256
	v_add_co_u32 v1, vcc_lo, v1, s24
	v_add_co_ci_u32_e32 v2, vcc_lo, s25, v2, vcc_lo
	s_waitcnt vmcnt(0) lgkmcnt(0)
	ds_store_b64 v15, v[23:24] offset:4224
	flat_load_b64 v[1:2], v[1:2] offset:256
	s_waitcnt vmcnt(0) lgkmcnt(0)
	ds_store_b64 v15, v[1:2] offset:6336
	s_cbranch_execz .LBB46_65
	s_branch .LBB46_82
.LBB46_64:
.LBB46_65:
	v_or_b32_e32 v1, 32, v0
	s_ashr_i32 s13, s12, 31
	v_mul_u32_u24_e32 v23, 33, v5
	s_lshl_b64 s[24:25], s[12:13], 3
	s_sub_i32 s13, s12, 32
	v_lshlrev_b32_e32 v2, 3, v1
	v_cmp_le_i32_e64 s9, s13, v5
	s_delay_alu instid0(VALU_DEP_2) | instskip(SKIP_1) | instid1(VALU_DEP_2)
	v_sub_co_u32 v2, vcc_lo, v13, v2
	v_subrev_co_ci_u32_e32 v15, vcc_lo, 0, v14, vcc_lo
	v_add_co_u32 v2, vcc_lo, v2, s24
	s_delay_alu instid0(VALU_DEP_2) | instskip(NEXT) | instid1(VALU_DEP_2)
	v_add_co_ci_u32_e32 v15, vcc_lo, s25, v15, vcc_lo
	v_add_co_u32 v24, vcc_lo, v2, -8
	s_delay_alu instid0(VALU_DEP_2) | instskip(SKIP_2) | instid1(VALU_DEP_3)
	v_add_co_ci_u32_e32 v2, vcc_lo, -1, v15, vcc_lo
	v_cmp_gt_i32_e32 vcc_lo, s12, v1
	v_add_lshl_u32 v15, v23, v0, 3
	v_dual_cndmask_b32 v2, v2, v14 :: v_dual_cndmask_b32 v1, v24, v13
	s_and_saveexec_b32 s17, s9
	s_delay_alu instid0(SALU_CYCLE_1)
	s_xor_b32 s9, exec_lo, s17
	s_cbranch_execz .LBB46_67
; %bb.66:
	v_mov_b32_e32 v23, 0
	s_delay_alu instid0(VALU_DEP_1)
	v_mov_b32_e32 v24, v23
	ds_store_b64 v15, v[23:24]
.LBB46_67:
	s_and_not1_saveexec_b32 s9, s9
	s_cbranch_execz .LBB46_69
; %bb.68:
	flat_load_b64 v[23:24], v[1:2]
	s_waitcnt vmcnt(0) lgkmcnt(0)
	ds_store_b64 v15, v[23:24]
.LBB46_69:
	s_or_b32 exec_lo, exec_lo, s9
	v_add_nc_u32_e32 v23, 8, v5
	s_delay_alu instid0(VALU_DEP_1) | instskip(NEXT) | instid1(VALU_DEP_1)
	v_cmp_le_i32_e64 s9, s13, v23
	s_and_saveexec_b32 s17, s9
	s_delay_alu instid0(SALU_CYCLE_1)
	s_xor_b32 s9, exec_lo, s17
	s_cbranch_execz .LBB46_71
; %bb.70:
	v_mul_u32_u24_e32 v24, 33, v23
	v_mov_b32_e32 v23, 0
	s_delay_alu instid0(VALU_DEP_2) | instskip(NEXT) | instid1(VALU_DEP_2)
	v_add_lshl_u32 v29, v24, v0, 3
	v_mov_b32_e32 v24, v23
	ds_store_b64 v29, v[23:24]
.LBB46_71:
	s_and_not1_saveexec_b32 s17, s9
	s_cbranch_execz .LBB46_73
; %bb.72:
	s_lshl_b32 s28, s16, 3
	s_delay_alu instid0(SALU_CYCLE_1) | instskip(NEXT) | instid1(SALU_CYCLE_1)
	s_ashr_i32 s29, s28, 31
	s_lshl_b64 s[28:29], s[28:29], 3
	s_delay_alu instid0(SALU_CYCLE_1) | instskip(NEXT) | instid1(VALU_DEP_1)
	v_add_co_u32 v23, s9, v1, s28
	v_add_co_ci_u32_e64 v24, s9, s29, v2, s9
	flat_load_b64 v[23:24], v[23:24]
	s_waitcnt vmcnt(0) lgkmcnt(0)
	ds_store_b64 v15, v[23:24] offset:2112
.LBB46_73:
	s_or_b32 exec_lo, exec_lo, s17
	v_add_nc_u32_e32 v23, 16, v5
	s_delay_alu instid0(VALU_DEP_1) | instskip(NEXT) | instid1(VALU_DEP_1)
	v_cmp_le_i32_e64 s9, s13, v23
	s_and_saveexec_b32 s17, s9
	s_delay_alu instid0(SALU_CYCLE_1)
	s_xor_b32 s9, exec_lo, s17
	s_cbranch_execz .LBB46_75
; %bb.74:
	v_mul_u32_u24_e32 v24, 33, v23
	v_mov_b32_e32 v23, 0
	s_delay_alu instid0(VALU_DEP_2) | instskip(NEXT) | instid1(VALU_DEP_2)
	v_add_lshl_u32 v29, v24, v0, 3
	v_mov_b32_e32 v24, v23
	ds_store_b64 v29, v[23:24]
.LBB46_75:
	s_and_not1_saveexec_b32 s17, s9
	s_cbranch_execz .LBB46_77
; %bb.76:
	s_lshl_b32 s28, s16, 4
	s_delay_alu instid0(SALU_CYCLE_1) | instskip(NEXT) | instid1(SALU_CYCLE_1)
	s_ashr_i32 s29, s28, 31
	s_lshl_b64 s[28:29], s[28:29], 3
	s_delay_alu instid0(SALU_CYCLE_1) | instskip(NEXT) | instid1(VALU_DEP_1)
	v_add_co_u32 v23, s9, v1, s28
	v_add_co_ci_u32_e64 v24, s9, s29, v2, s9
	flat_load_b64 v[23:24], v[23:24]
	s_waitcnt vmcnt(0) lgkmcnt(0)
	ds_store_b64 v15, v[23:24] offset:4224
.LBB46_77:
	s_or_b32 exec_lo, exec_lo, s17
	v_add_nc_u32_e32 v23, 24, v5
	s_delay_alu instid0(VALU_DEP_1) | instskip(NEXT) | instid1(VALU_DEP_1)
	v_cmp_le_i32_e64 s9, s13, v23
	s_and_saveexec_b32 s13, s9
	s_delay_alu instid0(SALU_CYCLE_1)
	s_xor_b32 s9, exec_lo, s13
	s_cbranch_execz .LBB46_79
; %bb.78:
	v_mov_b32_e32 v23, 0
	s_delay_alu instid0(VALU_DEP_1)
	v_mov_b32_e32 v24, v23
	ds_store_b64 v15, v[23:24] offset:6336
                                        ; implicit-def: $vgpr15
.LBB46_79:
	s_and_not1_saveexec_b32 s13, s9
	s_cbranch_execz .LBB46_81
; %bb.80:
	s_mul_i32 s28, s16, 24
	s_delay_alu instid0(SALU_CYCLE_1) | instskip(NEXT) | instid1(SALU_CYCLE_1)
	s_ashr_i32 s29, s28, 31
	s_lshl_b64 s[28:29], s[28:29], 3
	s_delay_alu instid0(SALU_CYCLE_1) | instskip(NEXT) | instid1(VALU_DEP_1)
	v_add_co_u32 v23, s9, v1, s28
	v_add_co_ci_u32_e64 v24, s9, s29, v2, s9
	flat_load_b64 v[23:24], v[23:24]
	s_waitcnt vmcnt(0) lgkmcnt(0)
	ds_store_b64 v15, v[23:24] offset:6336
.LBB46_81:
	s_or_b32 exec_lo, exec_lo, s13
	v_lshlrev_b32_e32 v15, 3, v0
	s_delay_alu instid0(VALU_DEP_1) | instskip(NEXT) | instid1(VALU_DEP_1)
	v_add_co_u32 v1, s9, v1, v15
	v_add_co_ci_u32_e64 v2, s9, 0, v2, s9
	s_delay_alu instid0(VALU_DEP_2) | instskip(NEXT) | instid1(VALU_DEP_1)
	v_sub_co_u32 v1, s9, v1, s24
	v_subrev_co_ci_u32_e64 v2, s9, s25, v2, s9
	s_delay_alu instid0(VALU_DEP_2) | instskip(NEXT) | instid1(VALU_DEP_1)
	v_add_co_u32 v1, s9, 0x108, v1
	v_add_co_ci_u32_e64 v2, s9, 0, v2, s9
	s_delay_alu instid0(VALU_DEP_1)
	v_dual_cndmask_b32 v13, v1, v13 :: v_dual_cndmask_b32 v14, v2, v14
.LBB46_82:
	v_add_nc_u32_e32 v3, 0x2380, v3
	s_waitcnt lgkmcnt(0)
	s_barrier
	buffer_gl0_inv
	s_and_saveexec_b32 s9, s5
	s_delay_alu instid0(SALU_CYCLE_1)
	s_xor_b32 s5, exec_lo, s9
	s_cbranch_execnz .LBB46_95
; %bb.83:
	s_and_not1_saveexec_b32 s5, s5
	s_cbranch_execnz .LBB46_98
.LBB46_84:
	s_or_b32 exec_lo, exec_lo, s5
	s_and_saveexec_b32 s5, s6
	s_delay_alu instid0(SALU_CYCLE_1)
	s_xor_b32 s5, exec_lo, s5
	s_cbranch_execnz .LBB46_99
.LBB46_85:
	s_and_not1_saveexec_b32 s5, s5
	s_cbranch_execnz .LBB46_102
.LBB46_86:
	s_or_b32 exec_lo, exec_lo, s5
	s_and_saveexec_b32 s5, s7
	s_delay_alu instid0(SALU_CYCLE_1)
	s_xor_b32 s5, exec_lo, s5
	s_cbranch_execnz .LBB46_103
.LBB46_87:
	s_and_not1_saveexec_b32 s5, s5
	s_cbranch_execnz .LBB46_106
.LBB46_88:
	s_or_b32 exec_lo, exec_lo, s5
	s_and_saveexec_b32 s5, s8
	s_delay_alu instid0(SALU_CYCLE_1)
	s_xor_b32 s5, exec_lo, s5
	s_cbranch_execnz .LBB46_107
.LBB46_89:
	s_and_not1_saveexec_b32 s5, s5
	s_cbranch_execz .LBB46_91
.LBB46_90:
	ds_load_b64 v[1:2], v9 offset:528
	s_waitcnt lgkmcnt(0)
	v_xor_b32_e32 v2, 0x80000000, v2
	ds_store_b64 v4, v[1:2] offset:24
.LBB46_91:
	s_or_b32 exec_lo, exec_lo, s5
	s_waitcnt lgkmcnt(0)
	s_barrier
	buffer_gl0_inv
	ds_load_b64 v[1:2], v11
	ds_load_b128 v[29:32], v3 offset:256
	ds_load_2addr_b64 v[33:36], v9 offset1:33
	ds_load_b128 v[37:40], v3 offset:272
	ds_load_b64 v[6:7], v9 offset:528
	v_cmp_eq_u32_e64 s5, 1, v5
	s_waitcnt lgkmcnt(0)
	s_barrier
	buffer_gl0_inv
	v_mul_f32_e32 v8, v30, v2
	v_dual_mul_f32 v2, v29, v2 :: v_dual_mul_f32 v11, v38, v36
	v_mul_f32_e32 v9, v32, v34
	v_mul_f32_e32 v15, v37, v36
	s_delay_alu instid0(VALU_DEP_4) | instskip(NEXT) | instid1(VALU_DEP_4)
	v_fma_f32 v8, v29, v1, -v8
	v_fmac_f32_e32 v2, v30, v1
	v_dual_mul_f32 v10, v31, v34 :: v_dual_mul_f32 v1, v40, v7
	v_fma_f32 v9, v31, v33, -v9
	s_delay_alu instid0(VALU_DEP_4) | instskip(NEXT) | instid1(VALU_DEP_3)
	v_dual_add_f32 v8, 0, v8 :: v_dual_fmac_f32 v15, v38, v35
	v_dual_fmac_f32 v10, v32, v33 :: v_dual_mul_f32 v7, v39, v7
	v_fma_f32 v11, v37, v35, -v11
	s_delay_alu instid0(VALU_DEP_3) | instskip(SKIP_1) | instid1(VALU_DEP_4)
	v_add_f32_e32 v8, v8, v9
	v_fma_f32 v1, v39, v6, -v1
	v_fmac_f32_e32 v7, v40, v6
	s_delay_alu instid0(VALU_DEP_3) | instskip(NEXT) | instid1(VALU_DEP_1)
	v_add_f32_e32 v6, v8, v11
	v_dual_add_f32 v2, 0, v2 :: v_dual_add_f32 v1, v6, v1
	s_delay_alu instid0(VALU_DEP_1) | instskip(NEXT) | instid1(VALU_DEP_1)
	v_add_f32_e32 v2, v2, v10
	v_add_f32_e32 v2, v2, v15
	s_delay_alu instid0(VALU_DEP_1)
	v_add_f32_e32 v2, v2, v7
	ds_store_b64 v28, v[1:2]
	s_waitcnt lgkmcnt(0)
	s_barrier
	buffer_gl0_inv
	s_and_saveexec_b32 s6, s5
	s_cbranch_execz .LBB46_93
; %bb.92:
	v_lshlrev_b32_e32 v1, 3, v27
	ds_load_2addr_b64 v[6:9], v1 offset1:7
	ds_load_2addr_b64 v[29:32], v1 offset0:1 offset1:2
	ds_load_2addr_b64 v[33:36], v1 offset0:3 offset1:4
	;; [unrolled: 1-line block ×3, first 2 shown]
	s_waitcnt lgkmcnt(2)
	v_dual_add_f32 v1, v29, v6 :: v_dual_add_f32 v2, v30, v7
	s_delay_alu instid0(VALU_DEP_1) | instskip(SKIP_1) | instid1(VALU_DEP_1)
	v_dual_add_f32 v2, v2, v32 :: v_dual_add_f32 v1, v1, v31
	s_waitcnt lgkmcnt(1)
	v_dual_add_f32 v2, v2, v34 :: v_dual_add_f32 v1, v1, v33
	s_delay_alu instid0(VALU_DEP_1) | instskip(SKIP_1) | instid1(VALU_DEP_1)
	v_dual_add_f32 v2, v2, v36 :: v_dual_add_f32 v1, v1, v35
	s_waitcnt lgkmcnt(0)
	v_dual_add_f32 v2, v2, v38 :: v_dual_add_f32 v1, v1, v37
	s_delay_alu instid0(VALU_DEP_1) | instskip(NEXT) | instid1(VALU_DEP_1)
	v_dual_add_f32 v2, v2, v40 :: v_dual_add_f32 v1, v1, v39
	v_dual_add_f32 v18, v2, v9 :: v_dual_add_f32 v17, v1, v8
.LBB46_93:
	s_or_b32 exec_lo, exec_lo, s6
	v_cmp_ne_u32_e32 vcc_lo, 1, v12
	v_sub_co_u32 v23, s6, v13, s22
	s_delay_alu instid0(VALU_DEP_1)
	v_subrev_co_ci_u32_e64 v24, s6, s23, v14, s6
	s_barrier
	buffer_gl0_inv
	s_cbranch_vccnz .LBB46_110
; %bb.94:
	flat_load_b64 v[1:2], v[23:24]
	s_lshl_b32 s6, s16, 3
	v_mad_u32_u24 v6, v5, 33, v0
	s_ashr_i32 s7, s6, 31
	s_ashr_i32 s17, s16, 31
	s_lshl_b64 s[6:7], s[6:7], 3
	v_add_nc_u32_e32 v9, 24, v5
	v_add_co_u32 v7, vcc_lo, v23, s6
	v_lshlrev_b32_e32 v10, 3, v6
	v_add_co_ci_u32_e32 v8, vcc_lo, s7, v24, vcc_lo
	s_lshl_b64 s[6:7], s[16:17], 6
	v_add_nc_u32_e32 v11, 0x318, v6
	s_waitcnt vmcnt(0) lgkmcnt(0)
	ds_store_b64 v10, v[1:2]
	flat_load_b64 v[1:2], v[7:8]
	v_add_co_u32 v7, vcc_lo, v7, s6
	v_add_co_ci_u32_e32 v8, vcc_lo, s7, v8, vcc_lo
	s_waitcnt vmcnt(0) lgkmcnt(0)
	ds_store_b64 v10, v[1:2] offset:2112
	flat_load_b64 v[1:2], v[7:8]
	v_add_co_u32 v7, vcc_lo, v7, s6
	v_add_co_ci_u32_e32 v8, vcc_lo, s7, v8, vcc_lo
	s_waitcnt vmcnt(0) lgkmcnt(0)
	ds_store_b64 v10, v[1:2] offset:4224
	flat_load_b64 v[12:13], v[7:8]
	v_add_nc_u32_e32 v7, 8, v5
	v_add_nc_u32_e32 v1, 0x108, v6
	;; [unrolled: 1-line block ×4, first 2 shown]
	s_waitcnt vmcnt(0) lgkmcnt(0)
	ds_store_b64 v10, v[12:13] offset:6336
	s_cbranch_execz .LBB46_111
	s_branch .LBB46_128
.LBB46_95:
	s_mov_b32 s9, exec_lo
	v_cmpx_eq_u32_e64 v6, v0
	s_cbranch_execz .LBB46_97
; %bb.96:
	v_mul_u32_u24_e32 v1, 34, v0
	s_delay_alu instid0(VALU_DEP_1)
	v_dual_mov_b32 v2, 0 :: v_dual_lshlrev_b32 v1, 3, v1
	ds_store_b32 v1, v2 offset:4
.LBB46_97:
	s_or_b32 exec_lo, exec_lo, s9
	s_and_not1_saveexec_b32 s5, s5
	s_cbranch_execz .LBB46_84
.LBB46_98:
	ds_load_b64 v[1:2], v11
	s_waitcnt lgkmcnt(0)
	v_xor_b32_e32 v2, 0x80000000, v2
	ds_store_b64 v4, v[1:2]
	s_or_b32 exec_lo, exec_lo, s5
	s_and_saveexec_b32 s5, s6
	s_delay_alu instid0(SALU_CYCLE_1)
	s_xor_b32 s5, exec_lo, s5
	s_cbranch_execz .LBB46_85
.LBB46_99:
	s_mov_b32 s6, exec_lo
	v_cmpx_eq_u32_e64 v7, v0
	s_cbranch_execz .LBB46_101
; %bb.100:
	v_mul_u32_u24_e32 v1, 34, v0
	s_delay_alu instid0(VALU_DEP_1)
	v_dual_mov_b32 v2, 0 :: v_dual_lshlrev_b32 v1, 3, v1
	ds_store_b32 v1, v2 offset:4
.LBB46_101:
	s_or_b32 exec_lo, exec_lo, s6
	s_and_not1_saveexec_b32 s5, s5
	s_cbranch_execz .LBB46_86
.LBB46_102:
	ds_load_b64 v[1:2], v9
	s_waitcnt lgkmcnt(0)
	v_xor_b32_e32 v2, 0x80000000, v2
	ds_store_b64 v4, v[1:2] offset:8
	s_or_b32 exec_lo, exec_lo, s5
	s_and_saveexec_b32 s5, s7
	s_delay_alu instid0(SALU_CYCLE_1)
	s_xor_b32 s5, exec_lo, s5
	s_cbranch_execz .LBB46_87
.LBB46_103:
	s_mov_b32 s6, exec_lo
	v_cmpx_eq_u32_e64 v8, v0
	s_cbranch_execz .LBB46_105
; %bb.104:
	v_mul_u32_u24_e32 v1, 34, v0
	s_delay_alu instid0(VALU_DEP_1)
	v_dual_mov_b32 v2, 0 :: v_dual_lshlrev_b32 v1, 3, v1
	ds_store_b32 v1, v2 offset:4
.LBB46_105:
	s_or_b32 exec_lo, exec_lo, s6
	s_and_not1_saveexec_b32 s5, s5
	s_cbranch_execz .LBB46_88
.LBB46_106:
	ds_load_b64 v[1:2], v9 offset:264
	s_waitcnt lgkmcnt(0)
	v_xor_b32_e32 v2, 0x80000000, v2
	ds_store_b64 v4, v[1:2] offset:16
	s_or_b32 exec_lo, exec_lo, s5
	s_and_saveexec_b32 s5, s8
	s_delay_alu instid0(SALU_CYCLE_1)
	s_xor_b32 s5, exec_lo, s5
	s_cbranch_execz .LBB46_89
.LBB46_107:
	s_mov_b32 s6, exec_lo
	v_cmpx_eq_u32_e64 v10, v0
	s_cbranch_execz .LBB46_109
; %bb.108:
	v_mul_u32_u24_e32 v1, 34, v0
	s_delay_alu instid0(VALU_DEP_1)
	v_dual_mov_b32 v2, 0 :: v_dual_lshlrev_b32 v1, 3, v1
	ds_store_b32 v1, v2 offset:4
.LBB46_109:
	s_or_b32 exec_lo, exec_lo, s6
	s_and_not1_saveexec_b32 s5, s5
	s_cbranch_execnz .LBB46_90
	s_branch .LBB46_91
.LBB46_110:
                                        ; implicit-def: $vgpr6
                                        ; implicit-def: $vgpr7
                                        ; implicit-def: $vgpr1
                                        ; implicit-def: $vgpr8
                                        ; implicit-def: $vgpr2
                                        ; implicit-def: $vgpr9
                                        ; implicit-def: $vgpr11
.LBB46_111:
	v_or_b32_e32 v1, 32, v0
	s_ashr_i32 s13, s12, 31
	v_cmp_le_i32_e64 s6, s12, v5
	s_lshl_b64 s[8:9], s[12:13], 3
	s_delay_alu instid0(VALU_DEP_2) | instskip(NEXT) | instid1(VALU_DEP_1)
	v_lshlrev_b32_e32 v2, 3, v1
	v_sub_co_u32 v2, vcc_lo, v23, v2
	v_subrev_co_ci_u32_e32 v6, vcc_lo, 0, v24, vcc_lo
	s_delay_alu instid0(VALU_DEP_2) | instskip(NEXT) | instid1(VALU_DEP_2)
	v_add_co_u32 v2, vcc_lo, v2, s8
	v_add_co_ci_u32_e32 v6, vcc_lo, s9, v6, vcc_lo
	s_delay_alu instid0(VALU_DEP_2) | instskip(NEXT) | instid1(VALU_DEP_2)
	v_add_co_u32 v7, vcc_lo, v2, -8
	v_add_co_ci_u32_e32 v2, vcc_lo, -1, v6, vcc_lo
	v_cmp_gt_i32_e32 vcc_lo, s12, v1
	v_mad_u32_u24 v6, v5, 33, v0
	s_delay_alu instid0(VALU_DEP_3) | instskip(NEXT) | instid1(VALU_DEP_2)
	v_dual_cndmask_b32 v1, v7, v23 :: v_dual_cndmask_b32 v2, v2, v24
	v_lshlrev_b32_e32 v10, 3, v6
	s_and_saveexec_b32 s7, s6
	s_delay_alu instid0(SALU_CYCLE_1)
	s_xor_b32 s6, exec_lo, s7
	s_cbranch_execz .LBB46_113
; %bb.112:
	v_mov_b32_e32 v7, 0
	s_delay_alu instid0(VALU_DEP_1)
	v_mov_b32_e32 v8, v7
	ds_store_b64 v10, v[7:8]
.LBB46_113:
	s_and_not1_saveexec_b32 s6, s6
	s_cbranch_execz .LBB46_115
; %bb.114:
	flat_load_b64 v[7:8], v[1:2]
	s_waitcnt vmcnt(0) lgkmcnt(0)
	ds_store_b64 v10, v[7:8]
.LBB46_115:
	s_or_b32 exec_lo, exec_lo, s6
	v_add_nc_u32_e32 v7, 8, v5
	s_delay_alu instid0(VALU_DEP_1) | instskip(NEXT) | instid1(VALU_DEP_1)
	v_cmp_le_i32_e64 s6, s12, v7
	s_and_saveexec_b32 s7, s6
	s_delay_alu instid0(SALU_CYCLE_1)
	s_xor_b32 s6, exec_lo, s7
	s_cbranch_execz .LBB46_117
; %bb.116:
	v_mul_u32_u24_e32 v9, 33, v7
	v_mov_b32_e32 v8, 0
	s_delay_alu instid0(VALU_DEP_2) | instskip(NEXT) | instid1(VALU_DEP_2)
	v_add_lshl_u32 v11, v9, v0, 3
	v_mov_b32_e32 v9, v8
	ds_store_b64 v11, v[8:9]
.LBB46_117:
	s_and_not1_saveexec_b32 s7, s6
	s_cbranch_execz .LBB46_119
; %bb.118:
	s_lshl_b32 s22, s16, 3
	s_delay_alu instid0(SALU_CYCLE_1) | instskip(NEXT) | instid1(SALU_CYCLE_1)
	s_ashr_i32 s23, s22, 31
	s_lshl_b64 s[22:23], s[22:23], 3
	s_delay_alu instid0(SALU_CYCLE_1) | instskip(NEXT) | instid1(VALU_DEP_1)
	v_add_co_u32 v8, s6, v1, s22
	v_add_co_ci_u32_e64 v9, s6, s23, v2, s6
	flat_load_b64 v[8:9], v[8:9]
	s_waitcnt vmcnt(0) lgkmcnt(0)
	ds_store_b64 v10, v[8:9] offset:2112
.LBB46_119:
	s_or_b32 exec_lo, exec_lo, s7
	v_add_nc_u32_e32 v8, 16, v5
	s_delay_alu instid0(VALU_DEP_1) | instskip(NEXT) | instid1(VALU_DEP_1)
	v_cmp_le_i32_e64 s6, s12, v8
	s_and_saveexec_b32 s7, s6
	s_delay_alu instid0(SALU_CYCLE_1)
	s_xor_b32 s6, exec_lo, s7
	s_cbranch_execz .LBB46_121
; %bb.120:
	v_mul_u32_u24_e32 v9, 33, v8
	v_mov_b32_e32 v11, 0
	s_delay_alu instid0(VALU_DEP_2) | instskip(NEXT) | instid1(VALU_DEP_2)
	v_add_lshl_u32 v9, v9, v0, 3
	v_mov_b32_e32 v12, v11
	ds_store_b64 v9, v[11:12]
.LBB46_121:
	s_and_not1_saveexec_b32 s7, s6
	s_cbranch_execz .LBB46_123
; %bb.122:
	s_lshl_b32 s22, s16, 4
	s_delay_alu instid0(SALU_CYCLE_1) | instskip(NEXT) | instid1(SALU_CYCLE_1)
	s_ashr_i32 s23, s22, 31
	s_lshl_b64 s[22:23], s[22:23], 3
	s_delay_alu instid0(SALU_CYCLE_1) | instskip(NEXT) | instid1(VALU_DEP_1)
	v_add_co_u32 v11, s6, v1, s22
	v_add_co_ci_u32_e64 v12, s6, s23, v2, s6
	flat_load_b64 v[11:12], v[11:12]
	s_waitcnt vmcnt(0) lgkmcnt(0)
	ds_store_b64 v10, v[11:12] offset:4224
.LBB46_123:
	s_or_b32 exec_lo, exec_lo, s7
	v_add_nc_u32_e32 v9, 24, v5
                                        ; implicit-def: $vgpr11
	s_delay_alu instid0(VALU_DEP_1) | instskip(NEXT) | instid1(VALU_DEP_1)
	v_cmp_le_i32_e64 s6, s12, v9
	s_and_saveexec_b32 s7, s6
	s_delay_alu instid0(SALU_CYCLE_1)
	s_xor_b32 s6, exec_lo, s7
	s_cbranch_execz .LBB46_125
; %bb.124:
	v_mad_u32_u24 v11, v9, 33, v0
	v_mov_b32_e32 v12, 0
	s_delay_alu instid0(VALU_DEP_1)
	v_dual_mov_b32 v13, v12 :: v_dual_lshlrev_b32 v10, 3, v11
	ds_store_b64 v10, v[12:13]
                                        ; implicit-def: $vgpr10
.LBB46_125:
	s_and_not1_saveexec_b32 s7, s6
	s_cbranch_execz .LBB46_127
; %bb.126:
	s_mul_i32 s22, s16, 24
	s_delay_alu instid0(SALU_CYCLE_1) | instskip(NEXT) | instid1(SALU_CYCLE_1)
	s_ashr_i32 s23, s22, 31
	s_lshl_b64 s[22:23], s[22:23], 3
	s_delay_alu instid0(SALU_CYCLE_1) | instskip(NEXT) | instid1(VALU_DEP_1)
	v_add_co_u32 v11, s6, v1, s22
	v_add_co_ci_u32_e64 v12, s6, s23, v2, s6
	flat_load_b64 v[12:13], v[11:12]
	v_add_nc_u32_e32 v11, 0x318, v6
	s_waitcnt vmcnt(0) lgkmcnt(0)
	ds_store_b64 v10, v[12:13] offset:6336
.LBB46_127:
	s_or_b32 exec_lo, exec_lo, s7
	v_lshlrev_b32_e32 v0, 3, v0
	s_delay_alu instid0(VALU_DEP_1) | instskip(NEXT) | instid1(VALU_DEP_1)
	v_add_co_u32 v0, s6, v1, v0
	v_add_co_ci_u32_e64 v1, s6, 0, v2, s6
	s_delay_alu instid0(VALU_DEP_2) | instskip(NEXT) | instid1(VALU_DEP_1)
	v_sub_co_u32 v0, s6, v0, s8
	v_subrev_co_ci_u32_e64 v1, s6, s9, v1, s6
	s_delay_alu instid0(VALU_DEP_2) | instskip(NEXT) | instid1(VALU_DEP_1)
	v_add_co_u32 v0, s6, 0x108, v0
	v_add_co_ci_u32_e64 v2, s6, 0, v1, s6
	v_add_nc_u32_e32 v1, 0x108, v6
	s_delay_alu instid0(VALU_DEP_2)
	v_dual_cndmask_b32 v23, v0, v23 :: v_dual_cndmask_b32 v24, v2, v24
	v_add_nc_u32_e32 v2, 0x210, v6
.LBB46_128:
	v_lshlrev_b32_e32 v0, 3, v6
	v_lshlrev_b32_e32 v5, 3, v5
	;; [unrolled: 1-line block ×8, first 2 shown]
	s_waitcnt lgkmcnt(0)
	s_barrier
	buffer_gl0_inv
	ds_load_b64 v[29:30], v0
	ds_load_b64 v[31:32], v5 offset:9088
	ds_load_b64 v[33:34], v1
	ds_load_b64 v[35:36], v6 offset:9088
	ds_load_b64 v[37:38], v2
	ds_load_b64 v[39:40], v7 offset:9088
	ds_load_b64 v[41:42], v8
	ds_load_b64 v[43:44], v9 offset:9088
	ds_load_b128 v[8:11], v3 offset:256
	ds_load_b128 v[0:3], v3 offset:272
	ds_load_2addr_b64 v[12:15], v4 offset1:1
	ds_load_2addr_b64 v[4:7], v4 offset0:2 offset1:3
	s_waitcnt lgkmcnt(0)
	s_barrier
	buffer_gl0_inv
	v_mul_f32_e32 v45, v32, v30
	v_mul_f32_e32 v30, v31, v30
	;; [unrolled: 1-line block ×5, first 2 shown]
	v_fma_f32 v31, v31, v29, -v45
	v_dual_fmac_f32 v30, v32, v29 :: v_dual_mul_f32 v29, v39, v38
	v_fma_f32 v32, v35, v33, -v46
	v_dual_fmac_f32 v34, v36, v33 :: v_dual_mul_f32 v33, v43, v42
	s_delay_alu instid0(VALU_DEP_3) | instskip(SKIP_3) | instid1(VALU_DEP_4)
	v_dual_add_f32 v31, 0, v31 :: v_dual_add_f32 v30, 0, v30
	v_mul_f32_e32 v48, v44, v42
	v_fma_f32 v35, v39, v37, -v47
	v_fmac_f32_e32 v29, v40, v37
	v_dual_add_f32 v31, v31, v32 :: v_dual_add_f32 v30, v30, v34
	v_fmac_f32_e32 v33, v44, v41
	v_fma_f32 v32, v43, v41, -v48
	s_delay_alu instid0(VALU_DEP_3) | instskip(NEXT) | instid1(VALU_DEP_1)
	v_dual_add_f32 v31, v31, v35 :: v_dual_add_f32 v30, v30, v29
	v_dual_add_f32 v29, v31, v32 :: v_dual_add_f32 v30, v30, v33
	ds_store_b64 v28, v[29:30]
	s_waitcnt lgkmcnt(0)
	s_barrier
	buffer_gl0_inv
	s_and_saveexec_b32 s6, s5
	s_cbranch_execz .LBB46_130
; %bb.129:
	v_lshlrev_b32_e32 v41, 3, v27
	ds_load_2addr_b64 v[29:32], v41 offset1:1
	ds_load_2addr_b64 v[33:36], v41 offset0:2 offset1:3
	s_waitcnt lgkmcnt(1)
	v_dual_add_f32 v18, v18, v30 :: v_dual_add_f32 v17, v17, v29
	ds_load_2addr_b64 v[37:40], v41 offset0:4 offset1:5
	v_dual_add_f32 v18, v18, v32 :: v_dual_add_f32 v17, v17, v31
	ds_load_2addr_b64 v[29:32], v41 offset0:6 offset1:7
	s_waitcnt lgkmcnt(2)
	v_dual_add_f32 v18, v18, v34 :: v_dual_add_f32 v17, v17, v33
	s_delay_alu instid0(VALU_DEP_1) | instskip(SKIP_1) | instid1(VALU_DEP_1)
	v_dual_add_f32 v18, v18, v36 :: v_dual_add_f32 v17, v17, v35
	s_waitcnt lgkmcnt(1)
	v_dual_add_f32 v18, v18, v38 :: v_dual_add_f32 v17, v17, v37
	s_delay_alu instid0(VALU_DEP_1) | instskip(SKIP_1) | instid1(VALU_DEP_1)
	v_dual_add_f32 v18, v18, v40 :: v_dual_add_f32 v17, v17, v39
	s_waitcnt lgkmcnt(0)
	v_dual_add_f32 v18, v18, v30 :: v_dual_add_f32 v17, v17, v29
	s_delay_alu instid0(VALU_DEP_1)
	v_dual_add_f32 v18, v18, v32 :: v_dual_add_f32 v17, v17, v31
.LBB46_130:
	s_or_b32 exec_lo, exec_lo, s6
	v_dual_mul_f32 v29, v13, v9 :: v_dual_mul_f32 v30, v15, v11
	v_mul_f32_e32 v13, v13, v8
	s_barrier
	buffer_gl0_inv
	v_dual_fmac_f32 v30, v14, v10 :: v_dual_fmac_f32 v29, v12, v8
	v_mul_f32_e32 v15, v15, v10
	v_fma_f32 v8, v12, v9, -v13
	v_mul_f32_e32 v31, v5, v1
	s_delay_alu instid0(VALU_DEP_4) | instskip(NEXT) | instid1(VALU_DEP_4)
	v_dual_mul_f32 v9, v7, v3 :: v_dual_add_f32 v10, 0, v29
	v_fma_f32 v11, v14, v11, -v15
	s_delay_alu instid0(VALU_DEP_4) | instskip(SKIP_1) | instid1(VALU_DEP_4)
	v_add_f32_e32 v8, 0, v8
	v_mul_f32_e32 v5, v5, v0
	v_dual_fmac_f32 v31, v4, v0 :: v_dual_add_f32 v0, v10, v30
	v_mul_f32_e32 v7, v7, v2
	v_fmac_f32_e32 v9, v6, v2
	s_delay_alu instid0(VALU_DEP_4) | instskip(SKIP_3) | instid1(VALU_DEP_3)
	v_fma_f32 v1, v4, v1, -v5
	v_add_f32_e32 v4, v8, v11
	v_add_f32_e32 v0, v0, v31
	v_fma_f32 v2, v6, v3, -v7
	v_add_f32_e32 v1, v4, v1
	s_delay_alu instid0(VALU_DEP_1)
	v_dual_add_f32 v0, v0, v9 :: v_dual_add_f32 v1, v1, v2
	ds_store_b64 v28, v[0:1]
	s_waitcnt lgkmcnt(0)
	s_barrier
	buffer_gl0_inv
	s_and_saveexec_b32 s5, s4
	s_cbranch_execz .LBB46_132
; %bb.131:
	v_lshlrev_b32_e32 v12, 3, v27
	ds_load_2addr_b64 v[0:3], v12 offset1:1
	ds_load_2addr_b64 v[4:7], v12 offset0:2 offset1:3
	s_waitcnt lgkmcnt(1)
	v_add_f32_e32 v1, v18, v1
	ds_load_2addr_b64 v[8:11], v12 offset0:4 offset1:5
	v_add_f32_e32 v14, v1, v3
	s_waitcnt lgkmcnt(1)
	s_delay_alu instid0(VALU_DEP_1) | instskip(NEXT) | instid1(VALU_DEP_1)
	v_dual_add_f32 v0, v17, v0 :: v_dual_add_f32 v5, v14, v5
	v_add_f32_e32 v13, v0, v2
	ds_load_2addr_b64 v[0:3], v12 offset0:6 offset1:7
	v_add_f32_e32 v5, v5, v7
	s_waitcnt lgkmcnt(1)
	s_delay_alu instid0(VALU_DEP_1) | instskip(NEXT) | instid1(VALU_DEP_1)
	v_add_f32_e32 v5, v5, v9
	v_add_f32_e32 v5, v5, v11
	s_waitcnt lgkmcnt(0)
	s_delay_alu instid0(VALU_DEP_1) | instskip(NEXT) | instid1(VALU_DEP_1)
	v_add_f32_e32 v1, v5, v1
	v_add_f32_e32 v18, v1, v3
	;; [unrolled: 1-line block ×3, first 2 shown]
	s_delay_alu instid0(VALU_DEP_1) | instskip(NEXT) | instid1(VALU_DEP_1)
	v_add_f32_e32 v4, v4, v6
	v_add_f32_e32 v4, v4, v8
	s_delay_alu instid0(VALU_DEP_1) | instskip(NEXT) | instid1(VALU_DEP_1)
	v_add_f32_e32 v4, v4, v10
	v_add_f32_e32 v0, v4, v0
	s_delay_alu instid0(VALU_DEP_1)
	v_add_f32_e32 v17, v0, v2
.LBB46_132:
	s_or_b32 exec_lo, exec_lo, s5
	s_load_b64 s[0:1], s[0:1], 0x68
	s_mul_hi_u32 s4, s15, s10
	s_mul_i32 s27, s27, s10
	s_mul_i32 s5, s15, s10
	s_add_i32 s4, s4, s27
	s_mul_hi_u32 s6, s5, s26
	s_mul_i32 s7, s4, s26
	s_mul_i32 s4, s5, s26
	s_add_i32 s5, s6, s7
	s_mul_i32 s6, s14, s15
	s_lshl_b64 s[4:5], s[4:5], 3
	v_cmp_le_i32_e32 vcc_lo, s12, v25
	v_lshlrev_b32_e32 v72, 3, v25
	s_waitcnt lgkmcnt(0)
	s_barrier
	buffer_gl0_inv
	s_add_u32 s4, s0, s4
	s_addc_u32 s5, s1, s5
	s_ashr_i32 s7, s6, 31
	s_delay_alu instid0(SALU_CYCLE_1) | instskip(NEXT) | instid1(SALU_CYCLE_1)
	s_lshl_b64 s[0:1], s[6:7], 3
	s_add_u32 s8, s4, s0
	s_addc_u32 s9, s5, s1
	s_and_b32 vcc_lo, s19, vcc_lo
	s_cmp_lt_i32 s14, 1
	s_cbranch_scc1 .LBB46_139
; %bb.133:
	v_mul_lo_u32 v0, v71, s16
	s_ashr_i32 s13, s12, 31
	v_dual_mov_b32 v1, 0 :: v_dual_and_b32 v6, 15, v25
	s_lshl_b64 s[6:7], s[12:13], 3
	v_lshrrev_b32_e32 v7, 4, v26
	s_mul_i32 s4, s18, s11
	v_add_nc_u32_e32 v76, 0x2380, v72
	s_delay_alu instid0(VALU_DEP_4) | instskip(SKIP_1) | instid1(VALU_DEP_1)
	v_lshl_add_u32 v2, v0, 2, v25
	v_sub_co_u32 v0, s0, v23, s20
	v_subrev_co_ci_u32_e64 v4, s0, s21, v24, s0
	s_delay_alu instid0(VALU_DEP_3) | instskip(NEXT) | instid1(VALU_DEP_3)
	v_ashrrev_i32_e32 v3, 31, v2
	v_sub_co_u32 v0, s0, v0, v21
	s_delay_alu instid0(VALU_DEP_1) | instskip(NEXT) | instid1(VALU_DEP_3)
	v_sub_co_ci_u32_e64 v4, s0, v4, v22, s0
	v_lshlrev_b64 v[2:3], 3, v[2:3]
	s_ashr_i32 s5, s4, 31
	v_lshl_add_u32 v80, v71, 5, 0x2180
	s_lshl_b64 s[4:5], s[4:5], 3
	v_mad_u32_u24 v81, 0x860, v71, v72
	s_ashr_i32 s17, s16, 31
	v_add_co_u32 v0, s0, v0, v2
	s_delay_alu instid0(VALU_DEP_1) | instskip(SKIP_1) | instid1(VALU_DEP_2)
	v_add_co_ci_u32_e64 v2, s0, v4, v3, s0
	s_lshl_b32 s10, s11, 6
	v_add_co_u32 v0, s0, 0xffffff00, v0
	s_delay_alu instid0(VALU_DEP_1) | instskip(SKIP_1) | instid1(VALU_DEP_2)
	v_add_co_ci_u32_e64 v2, s0, -1, v2, s0
	s_mul_hi_i32 s11, s16, 0x68
	v_sub_co_u32 v3, s0, v0, v72
	s_delay_alu instid0(VALU_DEP_1) | instskip(SKIP_1) | instid1(VALU_DEP_2)
	v_subrev_co_ci_u32_e64 v4, s0, 0, v2, s0
	s_mul_i32 s12, s16, 0x68
	v_add_co_u32 v3, s0, v3, s6
	s_delay_alu instid0(VALU_DEP_1) | instskip(SKIP_1) | instid1(VALU_DEP_2)
	v_add_co_ci_u32_e64 v4, s0, s7, v4, s0
	s_mov_b32 s6, 0
	v_add_co_u32 v3, s0, v3, -8
	s_delay_alu instid0(VALU_DEP_1) | instskip(SKIP_3) | instid1(VALU_DEP_4)
	v_add_co_ci_u32_e64 v4, s0, -1, v4, s0
	v_add_nc_u32_e32 v73, 0x2180, v72
	v_and_b32_e32 v8, 48, v25
	v_sub_co_u32 v74, s0, v19, s4
	v_dual_cndmask_b32 v5, v2, v4 :: v_dual_cndmask_b32 v4, v0, v3
	v_or_b32_e32 v0, 0x78, v72
	s_delay_alu instid0(VALU_DEP_4) | instskip(SKIP_2) | instid1(VALU_DEP_4)
	v_lshlrev_b32_e32 v9, 3, v8
	v_lshlrev_b32_e32 v2, 5, v7
	v_subrev_co_ci_u32_e64 v75, s0, s5, v20, s0
	v_mad_u32_u24 v78, 0x218, v6, v0
	v_lshlrev_b32_e32 v0, 3, v7
	v_cmp_gt_u32_e64 s0, 64, v26
	v_mad_u32_u24 v77, 0x218, v6, v9
	v_mad_u32_u24 v79, 0x218, v6, v2
	s_lshl_b64 s[4:5], s[16:17], 3
	v_mad_u32_u24 v82, 0x218, v6, v0
	v_or_b32_e32 v0, v8, v6
	s_branch .LBB46_135
.LBB46_134:                             ;   in Loop: Header=BB46_135 Depth=1
	s_or_b32 exec_lo, exec_lo, s7
	v_mul_f32_e32 v83, v3, v11
	v_dual_mul_f32 v11, v2, v11 :: v_dual_mul_f32 v84, v7, v26
	v_mul_f32_e32 v26, v6, v26
	v_add_nc_u32_e32 v0, 64, v0
	s_delay_alu instid0(VALU_DEP_4)
	v_fma_f32 v2, v2, v10, -v83
	v_mul_f32_e32 v83, v5, v24
	v_fma_f32 v6, v6, v25, -v84
	v_fmac_f32_e32 v26, v7, v25
	s_add_i32 s14, s14, -1
	v_dual_add_f32 v2, v17, v2 :: v_dual_mul_f32 v17, v22, v40
	v_mul_f32_e32 v85, v9, v28
	v_dual_mul_f32 v28, v8, v28 :: v_dual_fmac_f32 v11, v3, v10
	v_mul_f32_e32 v24, v4, v24
	s_delay_alu instid0(VALU_DEP_4) | instskip(NEXT) | instid1(VALU_DEP_4)
	v_add_f32_e32 v2, v2, v6
	v_fma_f32 v3, v8, v27, -v85
	s_delay_alu instid0(VALU_DEP_4) | instskip(SKIP_2) | instid1(VALU_DEP_4)
	v_fmac_f32_e32 v28, v9, v27
	v_dual_add_f32 v7, v18, v11 :: v_dual_mul_f32 v40, v21, v40
	v_fma_f32 v4, v4, v23, -v83
	v_dual_add_f32 v2, v2, v3 :: v_dual_mul_f32 v3, v19, v44
	s_delay_alu instid0(VALU_DEP_3) | instskip(SKIP_2) | instid1(VALU_DEP_4)
	v_dual_add_f32 v7, v7, v26 :: v_dual_fmac_f32 v24, v5, v23
	v_mul_f32_e32 v6, v20, v44
	v_fma_f32 v8, v21, v39, -v17
	v_dual_add_f32 v2, v2, v4 :: v_dual_fmac_f32 v3, v20, v43
	s_delay_alu instid0(VALU_DEP_4) | instskip(SKIP_3) | instid1(VALU_DEP_4)
	v_add_f32_e32 v5, v7, v28
	v_mul_f32_e32 v4, v15, v42
	v_dual_fmac_f32 v40, v22, v39 :: v_dual_mul_f32 v7, v13, v38
	v_fma_f32 v6, v19, v43, -v6
	v_add_f32_e32 v5, v5, v24
	s_delay_alu instid0(VALU_DEP_4)
	v_fma_f32 v4, v14, v41, -v4
	s_add_i32 s6, s6, s10
	v_fma_f32 v7, v12, v37, -v7
	s_cmp_eq_u32 s14, 0
	v_add_f32_e32 v5, v5, v40
	v_add_f32_e32 v2, v2, v8
	s_waitcnt_vscnt null, 0x0
	s_barrier
	buffer_gl0_inv
	v_add_f32_e32 v3, v5, v3
	v_mul_f32_e32 v5, v12, v38
	v_add_f32_e32 v2, v2, v6
	v_mul_f32_e32 v6, v14, v42
	s_delay_alu instid0(VALU_DEP_3) | instskip(NEXT) | instid1(VALU_DEP_3)
	v_dual_mul_f32 v8, v47, v66 :: v_dual_fmac_f32 v5, v13, v37
	v_add_f32_e32 v2, v2, v4
	v_mul_f32_e32 v4, v36, v56
	s_delay_alu instid0(VALU_DEP_2) | instskip(SKIP_1) | instid1(VALU_DEP_3)
	v_add_f32_e32 v2, v2, v7
	v_mul_f32_e32 v7, v34, v62
	v_fma_f32 v4, v35, v55, -v4
	s_delay_alu instid0(VALU_DEP_1) | instskip(NEXT) | instid1(VALU_DEP_3)
	v_add_f32_e32 v2, v2, v4
	v_fma_f32 v4, v33, v61, -v7
	v_dual_mul_f32 v7, v32, v60 :: v_dual_fmac_f32 v6, v15, v41
	s_delay_alu instid0(VALU_DEP_2) | instskip(NEXT) | instid1(VALU_DEP_2)
	v_add_f32_e32 v2, v2, v4
	v_fma_f32 v4, v31, v59, -v7
	s_delay_alu instid0(VALU_DEP_3) | instskip(SKIP_1) | instid1(VALU_DEP_2)
	v_add_f32_e32 v3, v3, v6
	v_dual_mul_f32 v6, v35, v56 :: v_dual_mul_f32 v7, v30, v58
	v_add_f32_e32 v3, v3, v5
	s_delay_alu instid0(VALU_DEP_2) | instskip(NEXT) | instid1(VALU_DEP_1)
	v_dual_mul_f32 v5, v33, v62 :: v_dual_fmac_f32 v6, v36, v55
	v_fmac_f32_e32 v5, v34, v61
	s_delay_alu instid0(VALU_DEP_2) | instskip(SKIP_1) | instid1(VALU_DEP_2)
	v_add_f32_e32 v3, v3, v6
	v_mul_f32_e32 v6, v31, v60
	v_dual_add_f32 v3, v3, v5 :: v_dual_add_f32 v2, v2, v4
	v_fma_f32 v4, v29, v57, -v7
	v_mul_f32_e32 v5, v54, v64
	s_delay_alu instid0(VALU_DEP_4) | instskip(NEXT) | instid1(VALU_DEP_1)
	v_dual_mul_f32 v7, v29, v58 :: v_dual_fmac_f32 v6, v32, v59
	v_fmac_f32_e32 v7, v30, v57
	s_delay_alu instid0(VALU_DEP_2) | instskip(SKIP_3) | instid1(VALU_DEP_4)
	v_dual_add_f32 v3, v3, v6 :: v_dual_mul_f32 v6, v53, v64
	v_add_f32_e32 v2, v2, v4
	v_fma_f32 v4, v53, v63, -v5
	v_mul_f32_e32 v5, v52, v70
	v_add_f32_e32 v3, v3, v7
	v_fmac_f32_e32 v6, v54, v63
	v_mul_f32_e32 v7, v50, v68
	v_add_f32_e32 v2, v2, v4
	v_fma_f32 v4, v51, v69, -v5
	v_mul_f32_e32 v5, v51, v70
	v_add_f32_e32 v3, v3, v6
	v_fma_f32 v6, v49, v67, -v7
	s_delay_alu instid0(VALU_DEP_3) | instskip(SKIP_1) | instid1(VALU_DEP_2)
	v_dual_add_f32 v2, v2, v4 :: v_dual_fmac_f32 v5, v52, v69
	v_dual_mul_f32 v4, v49, v68 :: v_dual_mul_f32 v7, v48, v66
	v_dual_add_f32 v2, v2, v6 :: v_dual_add_f32 v3, v3, v5
	s_delay_alu instid0(VALU_DEP_2) | instskip(NEXT) | instid1(VALU_DEP_3)
	v_fmac_f32_e32 v4, v50, v67
	v_fma_f32 v5, v47, v65, -v7
	s_delay_alu instid0(VALU_DEP_2) | instskip(SKIP_1) | instid1(VALU_DEP_3)
	v_dual_fmac_f32 v8, v48, v65 :: v_dual_add_f32 v3, v3, v4
	v_add_co_u32 v4, s1, v45, s12
	v_add_f32_e32 v17, v2, v5
	v_add_co_ci_u32_e64 v5, s1, s11, v46, s1
	s_delay_alu instid0(VALU_DEP_4)
	v_add_f32_e32 v18, v3, v8
	s_cbranch_scc1 .LBB46_139
.LBB46_135:                             ; =>This Inner Loop Header: Depth=1
	s_and_saveexec_b32 s13, s3
	s_cbranch_execz .LBB46_137
; %bb.136:                              ;   in Loop: Header=BB46_135 Depth=1
	s_ashr_i32 s7, s6, 31
	s_delay_alu instid0(SALU_CYCLE_1) | instskip(NEXT) | instid1(SALU_CYCLE_1)
	s_lshl_b64 s[16:17], s[6:7], 3
	v_add_co_u32 v2, s1, v74, s16
	s_delay_alu instid0(VALU_DEP_1)
	v_add_co_ci_u32_e64 v3, s1, s17, v75, s1
	flat_load_b64 v[2:3], v[2:3]
	s_waitcnt vmcnt(0) lgkmcnt(0)
	ds_store_b64 v73, v[2:3]
.LBB46_137:                             ;   in Loop: Header=BB46_135 Depth=1
	s_or_b32 exec_lo, exec_lo, s13
	s_waitcnt lgkmcnt(0)
	s_barrier
	buffer_gl0_inv
	flat_load_b64 v[2:3], v[4:5]
	v_add_co_u32 v4, s1, v4, s4
	s_delay_alu instid0(VALU_DEP_1) | instskip(SKIP_2) | instid1(VALU_DEP_1)
	v_add_co_ci_u32_e64 v5, s1, s5, v5, s1
	flat_load_b64 v[6:7], v[4:5]
	v_add_co_u32 v4, s1, v4, s4
	v_add_co_ci_u32_e64 v5, s1, s5, v5, s1
	s_delay_alu instid0(VALU_DEP_2) | instskip(NEXT) | instid1(VALU_DEP_1)
	v_add_co_u32 v12, s1, v4, s4
	v_add_co_ci_u32_e64 v13, s1, s5, v5, s1
	s_clause 0x1
	flat_load_b64 v[8:9], v[4:5]
	flat_load_b64 v[4:5], v[12:13]
	ds_load_b64 v[14:15], v76
	ds_load_b64 v[10:11], v80
	v_add_co_u32 v12, s1, v12, s12
	s_delay_alu instid0(VALU_DEP_1) | instskip(NEXT) | instid1(VALU_DEP_2)
	v_add_co_ci_u32_e64 v13, s1, s11, v13, s1
	v_add_co_u32 v29, s1, v12, s4
	s_delay_alu instid0(VALU_DEP_1) | instskip(NEXT) | instid1(VALU_DEP_2)
	v_add_co_ci_u32_e64 v30, s1, s5, v13, s1
	v_add_co_u32 v31, s1, v29, s4
	s_delay_alu instid0(VALU_DEP_1) | instskip(SKIP_3) | instid1(VALU_DEP_2)
	v_add_co_ci_u32_e64 v32, s1, s5, v30, s1
	s_waitcnt vmcnt(3) lgkmcnt(1)
	v_mul_f32_e32 v19, v3, v15
	v_mul_f32_e32 v20, v3, v14
	v_fmac_f32_e32 v19, v2, v14
	s_delay_alu instid0(VALU_DEP_2)
	v_fma_f32 v20, v2, v15, -v20
	s_waitcnt vmcnt(2)
	v_mul_f32_e32 v21, v7, v15
	v_mul_f32_e32 v22, v7, v14
	ds_store_b64 v81, v[19:20]
	ds_load_b64 v[25:26], v80 offset:8
	v_fmac_f32_e32 v21, v6, v14
	s_waitcnt vmcnt(1)
	v_mul_f32_e32 v19, v9, v15
	v_mul_f32_e32 v20, v9, v14
	s_waitcnt vmcnt(0)
	v_mul_f32_e32 v33, v5, v15
	v_mul_f32_e32 v23, v5, v14
	v_fma_f32 v22, v6, v15, -v22
	v_fmac_f32_e32 v19, v8, v14
	v_fma_f32 v20, v8, v15, -v20
	v_fmac_f32_e32 v33, v4, v14
	v_fma_f32 v34, v4, v15, -v23
	ds_store_b64 v81, v[21:22] offset:536
	ds_load_b64 v[27:28], v80 offset:16
	ds_store_b64 v81, v[19:20] offset:1072
	ds_load_b64 v[23:24], v80 offset:24
	ds_store_b64 v81, v[33:34] offset:1608
	v_add_co_u32 v33, s1, v31, s4
	s_waitcnt lgkmcnt(0)
	s_barrier
	buffer_gl0_inv
	ds_load_2addr_b64 v[83:86], v79 offset1:1
	ds_load_2addr_b64 v[87:90], v79 offset0:2 offset1:3
	s_waitcnt lgkmcnt(0)
	s_barrier
	buffer_gl0_inv
	flat_load_b64 v[21:22], v[12:13]
	v_add_co_ci_u32_e64 v34, s1, s5, v32, s1
	s_clause 0x1
	flat_load_b64 v[19:20], v[29:30]
	flat_load_b64 v[14:15], v[31:32]
	;; [unrolled: 1-line block ×3, first 2 shown]
	ds_load_b64 v[29:30], v76
	ds_load_b64 v[39:40], v80 offset:128
	v_add_co_u32 v31, s1, v33, s12
	s_delay_alu instid0(VALU_DEP_1) | instskip(NEXT) | instid1(VALU_DEP_2)
	v_add_co_ci_u32_e64 v32, s1, s11, v34, s1
	v_add_co_u32 v33, s1, v31, s4
	s_delay_alu instid0(VALU_DEP_1) | instskip(SKIP_1) | instid1(VALU_DEP_3)
	v_add_co_ci_u32_e64 v34, s1, s5, v32, s1
	v_add_f32_e32 v112, 0, v84
	v_add_co_u32 v45, s1, v33, s4
	s_delay_alu instid0(VALU_DEP_1)
	v_add_co_ci_u32_e64 v46, s1, s5, v34, s1
	v_add_f32_e32 v111, 0, v83
	s_waitcnt vmcnt(3) lgkmcnt(1)
	v_mul_f32_e32 v35, v22, v30
	s_waitcnt vmcnt(2)
	v_dual_mul_f32 v36, v22, v29 :: v_dual_mul_f32 v37, v20, v30
	s_waitcnt vmcnt(1)
	v_dual_mul_f32 v38, v20, v29 :: v_dual_mul_f32 v47, v15, v30
	v_mul_f32_e32 v41, v15, v29
	s_waitcnt vmcnt(0)
	v_mul_f32_e32 v49, v13, v30
	v_mul_f32_e32 v42, v13, v29
	v_fmac_f32_e32 v35, v21, v29
	v_fma_f32 v36, v21, v30, -v36
	v_fmac_f32_e32 v37, v19, v29
	v_fma_f32 v38, v19, v30, -v38
	;; [unrolled: 2-line block ×4, first 2 shown]
	ds_store_b64 v81, v[35:36]
	ds_load_b64 v[43:44], v80 offset:136
	ds_store_b64 v81, v[37:38] offset:536
	ds_load_b64 v[41:42], v80 offset:144
	ds_store_b64 v81, v[47:48] offset:1072
	v_add_co_u32 v47, s1, v45, s4
	ds_load_b64 v[37:38], v80 offset:152
	ds_store_b64 v81, v[49:50] offset:1608
	s_waitcnt lgkmcnt(0)
	s_barrier
	buffer_gl0_inv
	ds_load_2addr_b64 v[91:94], v79 offset1:1
	ds_load_2addr_b64 v[95:98], v79 offset0:2 offset1:3
	s_waitcnt lgkmcnt(0)
	s_barrier
	buffer_gl0_inv
	flat_load_b64 v[35:36], v[31:32]
	v_add_co_ci_u32_e64 v48, s1, s5, v46, s1
	flat_load_b64 v[33:34], v[33:34]
	flat_load_b64 v[31:32], v[45:46]
	;; [unrolled: 1-line block ×3, first 2 shown]
	ds_load_b64 v[45:46], v76
	ds_load_b64 v[55:56], v80 offset:256
	v_add_co_u32 v47, s1, v47, s12
	s_delay_alu instid0(VALU_DEP_1) | instskip(NEXT) | instid1(VALU_DEP_2)
	v_add_co_ci_u32_e64 v48, s1, s11, v48, s1
	v_add_co_u32 v49, s1, v47, s4
	s_delay_alu instid0(VALU_DEP_1) | instskip(SKIP_1) | instid1(VALU_DEP_3)
	v_add_co_ci_u32_e64 v50, s1, s5, v48, s1
	v_add_f32_e32 v91, 0, v91
	v_add_co_u32 v63, s1, v49, s4
	s_delay_alu instid0(VALU_DEP_1) | instskip(NEXT) | instid1(VALU_DEP_3)
	v_add_co_ci_u32_e64 v64, s1, s5, v50, s1
	v_dual_add_f32 v92, 0, v92 :: v_dual_add_f32 v91, v91, v93
	s_waitcnt vmcnt(3) lgkmcnt(1)
	v_mul_f32_e32 v51, v36, v46
	s_waitcnt vmcnt(2)
	v_dual_mul_f32 v52, v36, v45 :: v_dual_mul_f32 v53, v34, v46
	s_waitcnt vmcnt(1)
	v_dual_mul_f32 v54, v34, v45 :: v_dual_mul_f32 v57, v32, v46
	;; [unrolled: 2-line block ×3, first 2 shown]
	v_mul_f32_e32 v59, v30, v45
	v_fmac_f32_e32 v51, v35, v45
	v_fma_f32 v52, v35, v46, -v52
	v_fmac_f32_e32 v53, v33, v45
	v_fma_f32 v54, v33, v46, -v54
	;; [unrolled: 2-line block ×4, first 2 shown]
	ds_store_b64 v81, v[51:52]
	ds_load_b64 v[61:62], v80 offset:264
	ds_store_b64 v81, v[53:54] offset:536
	v_add_co_u32 v45, s1, v63, s4
	ds_load_b64 v[59:60], v80 offset:272
	ds_store_b64 v81, v[57:58] offset:1072
	ds_load_b64 v[57:58], v80 offset:280
	ds_store_b64 v81, v[65:66] offset:1608
	s_waitcnt lgkmcnt(0)
	s_barrier
	buffer_gl0_inv
	ds_load_2addr_b64 v[99:102], v79 offset1:1
	ds_load_2addr_b64 v[103:106], v79 offset0:2 offset1:3
	s_waitcnt lgkmcnt(0)
	s_barrier
	buffer_gl0_inv
	flat_load_b64 v[53:54], v[47:48]
	v_add_co_ci_u32_e64 v46, s1, s5, v64, s1
	flat_load_b64 v[51:52], v[49:50]
	flat_load_b64 v[49:50], v[63:64]
	;; [unrolled: 1-line block ×3, first 2 shown]
	ds_load_b64 v[65:66], v76
	ds_load_b64 v[63:64], v80 offset:384
	s_waitcnt vmcnt(3) lgkmcnt(1)
	v_mul_f32_e32 v67, v54, v66
	s_waitcnt vmcnt(2)
	v_dual_mul_f32 v68, v54, v65 :: v_dual_mul_f32 v83, v52, v66
	v_mul_f32_e32 v69, v52, v65
	s_waitcnt vmcnt(1)
	v_mul_f32_e32 v107, v50, v66
	s_waitcnt vmcnt(0)
	v_dual_mul_f32 v70, v50, v65 :: v_dual_mul_f32 v109, v48, v66
	v_mul_f32_e32 v110, v48, v65
	v_fma_f32 v68, v53, v66, -v68
	v_fmac_f32_e32 v67, v53, v65
	v_fmac_f32_e32 v83, v51, v65
	v_fma_f32 v84, v51, v66, -v69
	v_fmac_f32_e32 v107, v49, v65
	v_fma_f32 v108, v49, v66, -v70
	;; [unrolled: 2-line block ×3, first 2 shown]
	ds_store_b64 v81, v[67:68]
	ds_load_b64 v[69:70], v80 offset:392
	ds_store_b64 v81, v[83:84] offset:536
	ds_load_b64 v[67:68], v80 offset:400
	ds_store_b64 v81, v[107:108] offset:1072
	;; [unrolled: 2-line block ×3, first 2 shown]
	s_waitcnt lgkmcnt(0)
	s_barrier
	buffer_gl0_inv
	ds_load_2addr_b64 v[107:110], v79 offset1:1
	v_dual_add_f32 v83, v111, v85 :: v_dual_add_f32 v84, v112, v86
	s_delay_alu instid0(VALU_DEP_1)
	v_dual_add_f32 v87, v83, v87 :: v_dual_add_f32 v88, v84, v88
	ds_load_2addr_b64 v[83:86], v79 offset0:2 offset1:3
	s_waitcnt lgkmcnt(0)
	s_barrier
	v_dual_add_f32 v87, v87, v89 :: v_dual_add_f32 v88, v88, v90
	v_dual_add_f32 v89, v92, v94 :: v_dual_add_f32 v90, v91, v95
	v_dual_add_f32 v91, 0, v99 :: v_dual_add_f32 v92, 0, v100
	buffer_gl0_inv
	v_add_f32_e32 v95, v89, v96
	v_add_f32_e32 v89, v90, v97
	v_dual_add_f32 v93, 0, v107 :: v_dual_add_f32 v94, 0, v108
	v_dual_add_f32 v91, v91, v101 :: v_dual_add_f32 v92, v92, v102
	s_delay_alu instid0(VALU_DEP_2) | instskip(NEXT) | instid1(VALU_DEP_2)
	v_dual_add_f32 v90, v95, v98 :: v_dual_add_f32 v93, v93, v109
	v_dual_add_f32 v94, v94, v110 :: v_dual_add_f32 v91, v91, v103
	s_delay_alu instid0(VALU_DEP_2) | instskip(NEXT) | instid1(VALU_DEP_2)
	;; [unrolled: 3-line block ×3, first 2 shown]
	v_dual_add_f32 v84, v92, v106 :: v_dual_add_f32 v85, v93, v85
	v_add_f32_e32 v86, v94, v86
	ds_store_2addr_b64 v82, v[87:88], v[89:90] offset1:16
	ds_store_2addr_b64 v82, v[83:84], v[85:86] offset0:32 offset1:48
	s_waitcnt lgkmcnt(0)
	s_barrier
	buffer_gl0_inv
	s_and_saveexec_b32 s7, s0
	s_cbranch_execz .LBB46_134
; %bb.138:                              ;   in Loop: Header=BB46_135 Depth=1
	ds_load_b64 v[94:95], v77
	ds_load_2addr_b64 v[83:86], v77 offset0:1 offset1:2
	ds_load_2addr_b64 v[87:90], v77 offset0:3 offset1:4
	s_waitcnt lgkmcnt(1)
	v_dual_add_f32 v83, v83, v94 :: v_dual_add_f32 v84, v84, v95
	ds_load_2addr_b64 v[91:94], v77 offset0:5 offset1:6
	v_add_f32_e32 v83, v83, v85
	v_add_f32_e32 v95, v84, v86
	s_waitcnt lgkmcnt(1)
	s_delay_alu instid0(VALU_DEP_2) | instskip(SKIP_3) | instid1(VALU_DEP_2)
	v_add_f32_e32 v87, v83, v87
	ds_load_2addr_b64 v[83:86], v77 offset0:7 offset1:8
	v_add_f32_e32 v88, v95, v88
	v_add_f32_e32 v87, v87, v89
	;; [unrolled: 1-line block ×3, first 2 shown]
	s_waitcnt lgkmcnt(1)
	s_delay_alu instid0(VALU_DEP_2) | instskip(SKIP_3) | instid1(VALU_DEP_2)
	v_add_f32_e32 v91, v87, v91
	ds_load_2addr_b64 v[87:90], v77 offset0:9 offset1:10
	v_add_f32_e32 v92, v95, v92
	v_add_f32_e32 v91, v91, v93
	;; [unrolled: 1-line block ×3, first 2 shown]
	s_waitcnt lgkmcnt(1)
	s_delay_alu instid0(VALU_DEP_2) | instskip(SKIP_4) | instid1(VALU_DEP_1)
	v_add_f32_e32 v83, v91, v83
	ds_load_2addr_b64 v[91:94], v77 offset0:11 offset1:12
	v_add_f32_e32 v84, v95, v84
	v_add_f32_e32 v95, v83, v85
	s_waitcnt lgkmcnt(1)
	v_add_f32_e32 v87, v95, v87
	s_delay_alu instid0(VALU_DEP_1) | instskip(SKIP_1) | instid1(VALU_DEP_1)
	v_add_f32_e32 v89, v87, v89
	s_waitcnt lgkmcnt(0)
	v_add_f32_e32 v89, v89, v91
	s_delay_alu instid0(VALU_DEP_1) | instskip(SKIP_2) | instid1(VALU_DEP_1)
	v_dual_add_f32 v89, v89, v93 :: v_dual_add_f32 v96, v84, v86
	ds_load_2addr_b64 v[83:86], v77 offset0:13 offset1:14
	v_add_f32_e32 v88, v96, v88
	v_add_f32_e32 v90, v88, v90
	ds_load_b64 v[87:88], v78
	v_add_f32_e32 v90, v90, v92
	s_waitcnt lgkmcnt(1)
	s_delay_alu instid0(VALU_DEP_1) | instskip(NEXT) | instid1(VALU_DEP_1)
	v_dual_add_f32 v90, v90, v94 :: v_dual_add_f32 v83, v89, v83
	v_dual_add_f32 v84, v90, v84 :: v_dual_add_f32 v85, v83, v85
	s_delay_alu instid0(VALU_DEP_1) | instskip(SKIP_2) | instid1(VALU_DEP_2)
	v_add_f32_e32 v86, v84, v86
	v_lshlrev_b64 v[83:84], 3, v[0:1]
	s_waitcnt lgkmcnt(0)
	v_dual_add_f32 v85, v85, v87 :: v_dual_add_f32 v86, v86, v88
	s_delay_alu instid0(VALU_DEP_2) | instskip(NEXT) | instid1(VALU_DEP_1)
	v_add_co_u32 v83, s1, s8, v83
	v_add_co_ci_u32_e64 v84, s1, s9, v84, s1
	global_store_b64 v[83:84], v[85:86], off
	s_branch .LBB46_134
.LBB46_139:
	v_mad_u32_u24 v0, 0x218, v71, v72
	s_or_b32 s0, s2, vcc_lo
	s_delay_alu instid0(SALU_CYCLE_1)
	s_xor_b32 s0, s0, -1
	ds_store_b64 v0, v[17:18]
	s_waitcnt lgkmcnt(0)
	s_barrier
	buffer_gl0_inv
	s_and_saveexec_b32 s1, s0
	s_cbranch_execz .LBB46_141
; %bb.140:
	ds_load_2addr_b64 v[0:3], v72 offset1:67
	ds_load_2addr_b64 v[4:7], v72 offset0:134 offset1:201
	v_ashrrev_i32_e32 v17, 31, v16
	s_waitcnt lgkmcnt(1)
	v_dual_add_f32 v0, v2, v0 :: v_dual_add_f32 v1, v3, v1
	s_waitcnt lgkmcnt(0)
	s_delay_alu instid0(VALU_DEP_1) | instskip(SKIP_1) | instid1(VALU_DEP_2)
	v_dual_add_f32 v2, v0, v4 :: v_dual_add_f32 v3, v1, v5
	v_lshlrev_b64 v[0:1], 3, v[16:17]
	v_dual_add_f32 v2, v2, v6 :: v_dual_add_f32 v3, v3, v7
	s_delay_alu instid0(VALU_DEP_2) | instskip(NEXT) | instid1(VALU_DEP_3)
	v_add_co_u32 v0, vcc_lo, s8, v0
	v_add_co_ci_u32_e32 v1, vcc_lo, s9, v1, vcc_lo
	global_store_b64 v[0:1], v[2:3], off
.LBB46_141:
	s_nop 0
	s_sendmsg sendmsg(MSG_DEALLOC_VGPRS)
	s_endpgm
	.section	.rodata,"a",@progbits
	.p2align	6, 0x0
	.amdhsa_kernel _ZL26rocblas_hemvn_kernel_lowerILb1ELi64ELi4ELi33ELi32ELi16Ei19rocblas_complex_numIfEPKPKS1_PS1_EviT6_lT7_lT5_lS8_lS9_lS7_lT8_i
		.amdhsa_group_segment_fixed_size 9600
		.amdhsa_private_segment_fixed_size 0
		.amdhsa_kernarg_size 376
		.amdhsa_user_sgpr_count 14
		.amdhsa_user_sgpr_dispatch_ptr 0
		.amdhsa_user_sgpr_queue_ptr 0
		.amdhsa_user_sgpr_kernarg_segment_ptr 1
		.amdhsa_user_sgpr_dispatch_id 0
		.amdhsa_user_sgpr_private_segment_size 0
		.amdhsa_wavefront_size32 1
		.amdhsa_uses_dynamic_stack 0
		.amdhsa_enable_private_segment 0
		.amdhsa_system_sgpr_workgroup_id_x 1
		.amdhsa_system_sgpr_workgroup_id_y 0
		.amdhsa_system_sgpr_workgroup_id_z 1
		.amdhsa_system_sgpr_workgroup_info 0
		.amdhsa_system_vgpr_workitem_id 1
		.amdhsa_next_free_vgpr 113
		.amdhsa_next_free_sgpr 30
		.amdhsa_reserve_vcc 1
		.amdhsa_float_round_mode_32 0
		.amdhsa_float_round_mode_16_64 0
		.amdhsa_float_denorm_mode_32 3
		.amdhsa_float_denorm_mode_16_64 3
		.amdhsa_dx10_clamp 1
		.amdhsa_ieee_mode 1
		.amdhsa_fp16_overflow 0
		.amdhsa_workgroup_processor_mode 1
		.amdhsa_memory_ordered 1
		.amdhsa_forward_progress 0
		.amdhsa_shared_vgpr_count 0
		.amdhsa_exception_fp_ieee_invalid_op 0
		.amdhsa_exception_fp_denorm_src 0
		.amdhsa_exception_fp_ieee_div_zero 0
		.amdhsa_exception_fp_ieee_overflow 0
		.amdhsa_exception_fp_ieee_underflow 0
		.amdhsa_exception_fp_ieee_inexact 0
		.amdhsa_exception_int_div_zero 0
	.end_amdhsa_kernel
	.section	.text._ZL26rocblas_hemvn_kernel_lowerILb1ELi64ELi4ELi33ELi32ELi16Ei19rocblas_complex_numIfEPKPKS1_PS1_EviT6_lT7_lT5_lS8_lS9_lS7_lT8_i,"axG",@progbits,_ZL26rocblas_hemvn_kernel_lowerILb1ELi64ELi4ELi33ELi32ELi16Ei19rocblas_complex_numIfEPKPKS1_PS1_EviT6_lT7_lT5_lS8_lS9_lS7_lT8_i,comdat
.Lfunc_end46:
	.size	_ZL26rocblas_hemvn_kernel_lowerILb1ELi64ELi4ELi33ELi32ELi16Ei19rocblas_complex_numIfEPKPKS1_PS1_EviT6_lT7_lT5_lS8_lS9_lS7_lT8_i, .Lfunc_end46-_ZL26rocblas_hemvn_kernel_lowerILb1ELi64ELi4ELi33ELi32ELi16Ei19rocblas_complex_numIfEPKPKS1_PS1_EviT6_lT7_lT5_lS8_lS9_lS7_lT8_i
                                        ; -- End function
	.section	.AMDGPU.csdata,"",@progbits
; Kernel info:
; codeLenInByte = 8984
; NumSgprs: 32
; NumVgprs: 113
; ScratchSize: 0
; MemoryBound: 1
; FloatMode: 240
; IeeeMode: 1
; LDSByteSize: 9600 bytes/workgroup (compile time only)
; SGPRBlocks: 3
; VGPRBlocks: 14
; NumSGPRsForWavesPerEU: 32
; NumVGPRsForWavesPerEU: 113
; Occupancy: 12
; WaveLimiterHint : 1
; COMPUTE_PGM_RSRC2:SCRATCH_EN: 0
; COMPUTE_PGM_RSRC2:USER_SGPR: 14
; COMPUTE_PGM_RSRC2:TRAP_HANDLER: 0
; COMPUTE_PGM_RSRC2:TGID_X_EN: 1
; COMPUTE_PGM_RSRC2:TGID_Y_EN: 0
; COMPUTE_PGM_RSRC2:TGID_Z_EN: 1
; COMPUTE_PGM_RSRC2:TIDIG_COMP_CNT: 1
	.section	.text._ZL36rocblas_hemvn_kernel_lower_block_sumILi64Ei19rocblas_complex_numIfEPKPS1_S1_EviT1_lS5_lT2_lT0_lPT3_i,"axG",@progbits,_ZL36rocblas_hemvn_kernel_lower_block_sumILi64Ei19rocblas_complex_numIfEPKPS1_S1_EviT1_lS5_lT2_lT0_lPT3_i,comdat
	.globl	_ZL36rocblas_hemvn_kernel_lower_block_sumILi64Ei19rocblas_complex_numIfEPKPS1_S1_EviT1_lS5_lT2_lT0_lPT3_i ; -- Begin function _ZL36rocblas_hemvn_kernel_lower_block_sumILi64Ei19rocblas_complex_numIfEPKPS1_S1_EviT1_lS5_lT2_lT0_lPT3_i
	.p2align	8
	.type	_ZL36rocblas_hemvn_kernel_lower_block_sumILi64Ei19rocblas_complex_numIfEPKPS1_S1_EviT1_lS5_lT2_lT0_lPT3_i,@function
_ZL36rocblas_hemvn_kernel_lower_block_sumILi64Ei19rocblas_complex_numIfEPKPS1_S1_EviT1_lS5_lT2_lT0_lPT3_i: ; @_ZL36rocblas_hemvn_kernel_lower_block_sumILi64Ei19rocblas_complex_numIfEPKPS1_S1_EviT1_lS5_lT2_lT0_lPT3_i
; %bb.0:
	s_clause 0x1
	s_load_b128 s[4:7], s[0:1], 0x0
	s_load_b64 s[8:9], s[0:1], 0x18
	s_mov_b32 s10, s15
	s_waitcnt lgkmcnt(0)
	s_or_b32 s2, s5, s6
	s_delay_alu instid0(SALU_CYCLE_1) | instskip(NEXT) | instid1(SALU_CYCLE_1)
	s_bitset0_b32 s2, 31
	s_cmp_eq_u32 s2, 0
	s_cselect_b32 s12, -1, 0
	s_cmp_lg_u32 s2, 0
	s_mov_b32 s2, -1
	s_cbranch_scc1 .LBB47_2
; %bb.1:
	v_cmp_neq_f32_e64 s2, s8, 1.0
	v_cmp_neq_f32_e64 s3, s9, 0
	s_delay_alu instid0(VALU_DEP_1)
	s_or_b32 s2, s2, s3
.LBB47_2:
	s_delay_alu instid0(SALU_CYCLE_1)
	s_and_not1_b32 vcc_lo, exec_lo, s2
	s_cbranch_vccnz .LBB47_19
; %bb.3:
	s_load_b128 s[16:19], s[0:1], 0x28
	s_mov_b32 s11, 0
	v_lshl_or_b32 v0, s14, 6, v0
	s_lshl_b64 s[2:3], s[10:11], 3
	s_load_b32 s11, s[0:1], 0x38
	s_waitcnt lgkmcnt(0)
	s_add_u32 s2, s16, s2
	s_addc_u32 s3, s17, s3
	s_lshl_b64 s[18:19], s[18:19], 3
	s_load_b64 s[16:17], s[2:3], 0x0
	v_cmp_gt_i32_e64 s2, s4, v0
	s_waitcnt lgkmcnt(0)
	s_add_u32 s3, s16, s18
	s_addc_u32 s7, s17, s19
	s_and_not1_b32 vcc_lo, exec_lo, s12
	s_mov_b32 s12, -1
	s_cbranch_vccnz .LBB47_9
; %bb.4:
	s_and_saveexec_b32 s12, s2
	s_cbranch_execz .LBB47_8
; %bb.5:
	v_mul_lo_u32 v1, v0, s11
	v_cmp_neq_f32_e64 s2, s8, 0
	v_cmp_neq_f32_e64 s13, s9, 0
	v_dual_mov_b32 v3, 0 :: v_dual_mov_b32 v4, 0
	s_delay_alu instid0(VALU_DEP_2) | instskip(NEXT) | instid1(VALU_DEP_4)
	s_or_b32 s2, s2, s13
	v_ashrrev_i32_e32 v2, 31, v1
	s_and_not1_b32 vcc_lo, exec_lo, s2
	s_delay_alu instid0(VALU_DEP_1)
	v_lshlrev_b64 v[1:2], 3, v[1:2]
	s_cbranch_vccnz .LBB47_7
; %bb.6:
	s_delay_alu instid0(VALU_DEP_1) | instskip(NEXT) | instid1(VALU_DEP_2)
	v_add_co_u32 v3, vcc_lo, s3, v1
	v_add_co_ci_u32_e32 v4, vcc_lo, s7, v2, vcc_lo
	global_load_b64 v[5:6], v[3:4], off
	s_waitcnt vmcnt(0)
	v_mul_f32_e32 v4, s8, v6
	s_delay_alu instid0(VALU_DEP_1) | instskip(NEXT) | instid1(VALU_DEP_1)
	v_dual_mul_f32 v3, s9, v6 :: v_dual_fmac_f32 v4, s9, v5
	v_fma_f32 v3, v5, s8, -v3
.LBB47_7:
	s_delay_alu instid0(VALU_DEP_1) | instskip(NEXT) | instid1(VALU_DEP_2)
	v_add_co_u32 v1, vcc_lo, s3, v1
	v_add_co_ci_u32_e32 v2, vcc_lo, s7, v2, vcc_lo
	global_store_b64 v[1:2], v[3:4], off
.LBB47_8:
	s_or_b32 exec_lo, exec_lo, s12
	s_mov_b32 s12, 0
.LBB47_9:
	s_delay_alu instid0(SALU_CYCLE_1)
	s_and_not1_b32 vcc_lo, exec_lo, s12
	s_cbranch_vccnz .LBB47_19
; %bb.10:
	s_mov_b32 s2, exec_lo
	v_cmpx_gt_i32_e64 s4, v0
	s_cbranch_execz .LBB47_19
; %bb.11:
	s_load_b32 s2, s[0:1], 0x58
	v_dual_mov_b32 v3, 0 :: v_dual_mov_b32 v4, 0
	s_waitcnt lgkmcnt(0)
	s_cmp_ge_i32 s14, s2
	s_cbranch_scc1 .LBB47_14
; %bb.12:
	s_load_b64 s[0:1], s[0:1], 0x48
	v_mad_u64_u32 v[1:2], null, s14, s4, v[0:1]
	s_ashr_i32 s13, s4, 31
	s_mul_hi_u32 s12, s4, s10
	s_mul_i32 s15, s13, s10
	s_mul_i32 s10, s4, s10
	s_add_i32 s12, s12, s15
	s_mul_hi_u32 s15, s10, s2
	s_delay_alu instid0(VALU_DEP_1)
	v_ashrrev_i32_e32 v2, 31, v1
	s_mul_i32 s12, s12, s2
	s_mul_i32 s16, s10, s2
	s_add_i32 s17, s15, s12
	v_dual_mov_b32 v3, 0 :: v_dual_mov_b32 v4, 0
	v_lshlrev_b64 v[1:2], 3, v[1:2]
	s_lshl_b64 s[16:17], s[16:17], 3
	s_mov_b32 s12, s4
	s_waitcnt lgkmcnt(0)
	s_add_u32 s0, s0, s16
	s_addc_u32 s1, s1, s17
	v_add_co_u32 v1, vcc_lo, s0, v1
	v_add_co_ci_u32_e32 v2, vcc_lo, s1, v2, vcc_lo
	s_lshl_b64 s[0:1], s[12:13], 3
	s_delay_alu instid0(VALU_DEP_2) | instskip(NEXT) | instid1(VALU_DEP_2)
	v_add_co_u32 v1, vcc_lo, v1, 4
	v_add_co_ci_u32_e32 v2, vcc_lo, 0, v2, vcc_lo
.LBB47_13:                              ; =>This Inner Loop Header: Depth=1
	global_load_b64 v[5:6], v[1:2], off offset:-4
	v_add_co_u32 v1, vcc_lo, v1, s0
	v_add_co_ci_u32_e32 v2, vcc_lo, s1, v2, vcc_lo
	s_add_i32 s14, s14, 1
	s_delay_alu instid0(SALU_CYCLE_1)
	s_cmp_ge_i32 s14, s2
	s_waitcnt vmcnt(0)
	v_dual_add_f32 v4, v4, v5 :: v_dual_add_f32 v3, v3, v6
	s_cbranch_scc0 .LBB47_13
.LBB47_14:
	v_mul_lo_u32 v2, v0, s11
	s_delay_alu instid0(VALU_DEP_2) | instskip(SKIP_3) | instid1(VALU_DEP_4)
	v_mul_f32_e32 v1, s5, v3
	v_mul_f32_e32 v0, s6, v3
	v_cmp_neq_f32_e64 s0, s8, 0
	v_cmp_neq_f32_e64 s1, s9, 0
	v_fmac_f32_e32 v1, s6, v4
	s_delay_alu instid0(VALU_DEP_4) | instskip(SKIP_1) | instid1(VALU_DEP_4)
	v_fma_f32 v0, v4, s5, -v0
	v_ashrrev_i32_e32 v3, 31, v2
	s_or_b32 s0, s0, s1
	s_delay_alu instid0(SALU_CYCLE_1)
	s_and_not1_b32 vcc_lo, exec_lo, s0
	s_mov_b32 s0, 0
	s_cbranch_vccnz .LBB47_16
; %bb.15:
	s_mov_b32 s0, -1
.LBB47_16:
	s_delay_alu instid0(SALU_CYCLE_1)
	s_and_not1_b32 vcc_lo, exec_lo, s0
	s_cbranch_vccnz .LBB47_18
; %bb.17:
	v_lshlrev_b64 v[4:5], 3, v[2:3]
	s_delay_alu instid0(VALU_DEP_1) | instskip(NEXT) | instid1(VALU_DEP_2)
	v_add_co_u32 v4, vcc_lo, s3, v4
	v_add_co_ci_u32_e32 v5, vcc_lo, s7, v5, vcc_lo
	global_load_b64 v[4:5], v[4:5], off
	s_waitcnt vmcnt(0)
	v_mul_f32_e32 v6, s9, v5
	v_mul_f32_e32 v5, s8, v5
	s_delay_alu instid0(VALU_DEP_1) | instskip(NEXT) | instid1(VALU_DEP_3)
	v_fmac_f32_e32 v5, s9, v4
	v_fma_f32 v6, v4, s8, -v6
	s_delay_alu instid0(VALU_DEP_1)
	v_dual_add_f32 v1, v1, v5 :: v_dual_add_f32 v0, v0, v6
.LBB47_18:
	v_lshlrev_b64 v[2:3], 3, v[2:3]
	s_delay_alu instid0(VALU_DEP_1) | instskip(NEXT) | instid1(VALU_DEP_2)
	v_add_co_u32 v2, vcc_lo, s3, v2
	v_add_co_ci_u32_e32 v3, vcc_lo, s7, v3, vcc_lo
	global_store_b64 v[2:3], v[0:1], off
.LBB47_19:
	s_nop 0
	s_sendmsg sendmsg(MSG_DEALLOC_VGPRS)
	s_endpgm
	.section	.rodata,"a",@progbits
	.p2align	6, 0x0
	.amdhsa_kernel _ZL36rocblas_hemvn_kernel_lower_block_sumILi64Ei19rocblas_complex_numIfEPKPS1_S1_EviT1_lS5_lT2_lT0_lPT3_i
		.amdhsa_group_segment_fixed_size 0
		.amdhsa_private_segment_fixed_size 0
		.amdhsa_kernarg_size 344
		.amdhsa_user_sgpr_count 14
		.amdhsa_user_sgpr_dispatch_ptr 0
		.amdhsa_user_sgpr_queue_ptr 0
		.amdhsa_user_sgpr_kernarg_segment_ptr 1
		.amdhsa_user_sgpr_dispatch_id 0
		.amdhsa_user_sgpr_private_segment_size 0
		.amdhsa_wavefront_size32 1
		.amdhsa_uses_dynamic_stack 0
		.amdhsa_enable_private_segment 0
		.amdhsa_system_sgpr_workgroup_id_x 1
		.amdhsa_system_sgpr_workgroup_id_y 0
		.amdhsa_system_sgpr_workgroup_id_z 1
		.amdhsa_system_sgpr_workgroup_info 0
		.amdhsa_system_vgpr_workitem_id 0
		.amdhsa_next_free_vgpr 7
		.amdhsa_next_free_sgpr 20
		.amdhsa_reserve_vcc 1
		.amdhsa_float_round_mode_32 0
		.amdhsa_float_round_mode_16_64 0
		.amdhsa_float_denorm_mode_32 3
		.amdhsa_float_denorm_mode_16_64 3
		.amdhsa_dx10_clamp 1
		.amdhsa_ieee_mode 1
		.amdhsa_fp16_overflow 0
		.amdhsa_workgroup_processor_mode 1
		.amdhsa_memory_ordered 1
		.amdhsa_forward_progress 0
		.amdhsa_shared_vgpr_count 0
		.amdhsa_exception_fp_ieee_invalid_op 0
		.amdhsa_exception_fp_denorm_src 0
		.amdhsa_exception_fp_ieee_div_zero 0
		.amdhsa_exception_fp_ieee_overflow 0
		.amdhsa_exception_fp_ieee_underflow 0
		.amdhsa_exception_fp_ieee_inexact 0
		.amdhsa_exception_int_div_zero 0
	.end_amdhsa_kernel
	.section	.text._ZL36rocblas_hemvn_kernel_lower_block_sumILi64Ei19rocblas_complex_numIfEPKPS1_S1_EviT1_lS5_lT2_lT0_lPT3_i,"axG",@progbits,_ZL36rocblas_hemvn_kernel_lower_block_sumILi64Ei19rocblas_complex_numIfEPKPS1_S1_EviT1_lS5_lT2_lT0_lPT3_i,comdat
.Lfunc_end47:
	.size	_ZL36rocblas_hemvn_kernel_lower_block_sumILi64Ei19rocblas_complex_numIfEPKPS1_S1_EviT1_lS5_lT2_lT0_lPT3_i, .Lfunc_end47-_ZL36rocblas_hemvn_kernel_lower_block_sumILi64Ei19rocblas_complex_numIfEPKPS1_S1_EviT1_lS5_lT2_lT0_lPT3_i
                                        ; -- End function
	.section	.AMDGPU.csdata,"",@progbits
; Kernel info:
; codeLenInByte = 780
; NumSgprs: 22
; NumVgprs: 7
; ScratchSize: 0
; MemoryBound: 0
; FloatMode: 240
; IeeeMode: 1
; LDSByteSize: 0 bytes/workgroup (compile time only)
; SGPRBlocks: 2
; VGPRBlocks: 0
; NumSGPRsForWavesPerEU: 22
; NumVGPRsForWavesPerEU: 7
; Occupancy: 16
; WaveLimiterHint : 1
; COMPUTE_PGM_RSRC2:SCRATCH_EN: 0
; COMPUTE_PGM_RSRC2:USER_SGPR: 14
; COMPUTE_PGM_RSRC2:TRAP_HANDLER: 0
; COMPUTE_PGM_RSRC2:TGID_X_EN: 1
; COMPUTE_PGM_RSRC2:TGID_Y_EN: 0
; COMPUTE_PGM_RSRC2:TGID_Z_EN: 1
; COMPUTE_PGM_RSRC2:TIDIG_COMP_CNT: 0
	.section	.text._ZL26rocblas_hemvn_kernel_upperILb1ELi64ELi4ELi33ELi32ELi16ElPK19rocblas_complex_numIdEPKS3_PS1_EviT6_lT7_lT5_lS8_lS9_lS7_lT8_i,"axG",@progbits,_ZL26rocblas_hemvn_kernel_upperILb1ELi64ELi4ELi33ELi32ELi16ElPK19rocblas_complex_numIdEPKS3_PS1_EviT6_lT7_lT5_lS8_lS9_lS7_lT8_i,comdat
	.globl	_ZL26rocblas_hemvn_kernel_upperILb1ELi64ELi4ELi33ELi32ELi16ElPK19rocblas_complex_numIdEPKS3_PS1_EviT6_lT7_lT5_lS8_lS9_lS7_lT8_i ; -- Begin function _ZL26rocblas_hemvn_kernel_upperILb1ELi64ELi4ELi33ELi32ELi16ElPK19rocblas_complex_numIdEPKS3_PS1_EviT6_lT7_lT5_lS8_lS9_lS7_lT8_i
	.p2align	8
	.type	_ZL26rocblas_hemvn_kernel_upperILb1ELi64ELi4ELi33ELi32ELi16ElPK19rocblas_complex_numIdEPKS3_PS1_EviT6_lT7_lT5_lS8_lS9_lS7_lT8_i,@function
_ZL26rocblas_hemvn_kernel_upperILb1ELi64ELi4ELi33ELi32ELi16ElPK19rocblas_complex_numIdEPKS3_PS1_EviT6_lT7_lT5_lS8_lS9_lS7_lT8_i: ; @_ZL26rocblas_hemvn_kernel_upperILb1ELi64ELi4ELi33ELi32ELi16ElPK19rocblas_complex_numIdEPKS3_PS1_EviT6_lT7_lT5_lS8_lS9_lS7_lT8_i
; %bb.0:
	s_load_b64 s[2:3], s[0:1], 0x84
	s_add_u32 s22, s0, 0x78
	s_addc_u32 s23, s1, 0
	s_waitcnt lgkmcnt(0)
	s_lshr_b32 s4, s2, 16
	s_and_b32 s2, s2, 0xffff
	s_and_b32 s3, s3, 0xffff
	s_mul_i32 s2, s4, s2
	s_delay_alu instid0(SALU_CYCLE_1) | instskip(NEXT) | instid1(SALU_CYCLE_1)
	s_mul_i32 s2, s2, s3
	s_cmpk_lg_i32 s2, 0x100
	s_cbranch_scc1 .LBB48_190
; %bb.1:
	s_load_b256 s[4:11], s[0:1], 0x8
	s_mov_b32 s18, s15
	s_mov_b32 s19, 0
	s_waitcnt lgkmcnt(0)
	s_mul_i32 s3, s15, s7
	s_mul_hi_u32 s7, s15, s6
	s_mul_i32 s2, s15, s6
	s_add_i32 s3, s7, s3
	s_delay_alu instid0(SALU_CYCLE_1) | instskip(NEXT) | instid1(SALU_CYCLE_1)
	s_lshl_b64 s[2:3], s[2:3], 4
	s_add_u32 s2, s4, s2
	s_addc_u32 s3, s5, s3
	s_load_b128 s[4:7], s[2:3], 0x0
	s_waitcnt lgkmcnt(0)
	v_cmp_neq_f64_e64 s2, s[4:5], 0
	v_cmp_neq_f64_e64 s3, s[6:7], 0
	s_clause 0x2
	s_load_b64 s[20:21], s[0:1], 0x68
	s_load_b64 s[12:13], s[0:1], 0x28
	s_load_b128 s[4:7], s[0:1], 0x58
	s_delay_alu instid0(VALU_DEP_1)
	s_or_b32 s15, s2, s3
	s_mov_b64 s[2:3], 0
	s_and_b32 vcc_lo, exec_lo, s15
	s_cbranch_vccnz .LBB48_3
; %bb.2:
	s_waitcnt lgkmcnt(0)
	s_mul_i32 s7, s18, s7
	s_mul_hi_u32 s16, s18, s6
	s_mul_i32 s6, s18, s6
	s_add_i32 s7, s16, s7
	s_delay_alu instid0(SALU_CYCLE_1) | instskip(NEXT) | instid1(SALU_CYCLE_1)
	s_lshl_b64 s[6:7], s[6:7], 4
	s_add_u32 s4, s4, s6
	s_addc_u32 s5, s5, s7
	s_load_b128 s[4:7], s[4:5], 0x0
	s_waitcnt lgkmcnt(0)
	v_cmp_neq_f64_e64 s4, s[4:5], 1.0
	v_cmp_neq_f64_e64 s5, s[6:7], 0
	s_delay_alu instid0(VALU_DEP_1)
	s_or_b32 s4, s4, s5
	s_cbranch_execz .LBB48_4
	s_branch .LBB48_5
.LBB48_3:
	s_waitcnt lgkmcnt(0)
	s_mov_b32 s4, s19
                                        ; implicit-def: $sgpr2_sgpr3
.LBB48_4:
	s_lshl_b64 s[2:3], s[18:19], 3
	s_delay_alu instid0(SALU_CYCLE_1)
	s_add_u32 s2, s8, s2
	s_addc_u32 s3, s9, s3
	s_lshl_b64 s[4:5], s[10:11], 4
	s_load_b64 s[2:3], s[2:3], 0x0
	s_waitcnt lgkmcnt(0)
	s_add_u32 s2, s2, s4
	s_addc_u32 s3, s3, s5
	s_mov_b32 s4, -1
.LBB48_5:
	s_delay_alu instid0(SALU_CYCLE_1)
	s_and_not1_b32 vcc_lo, exec_lo, s4
	s_cbranch_vccnz .LBB48_190
; %bb.6:
	s_clause 0x1
	s_load_b128 s[4:7], s[0:1], 0x38
	s_load_b64 s[8:9], s[0:1], 0x48
	v_cndmask_b32_e64 v1, 0, 1, s15
	s_and_not1_b32 vcc_lo, exec_lo, s15
	s_mov_b64 s[10:11], 0
	s_cbranch_vccnz .LBB48_8
; %bb.7:
	s_lshl_b64 s[10:11], s[18:19], 3
	s_waitcnt lgkmcnt(0)
	s_add_u32 s4, s4, s10
	s_addc_u32 s5, s5, s11
	s_lshl_b64 s[6:7], s[6:7], 4
	s_load_b64 s[4:5], s[4:5], 0x0
	s_waitcnt lgkmcnt(0)
	s_add_u32 s10, s4, s6
	s_addc_u32 s11, s5, s7
.LBB48_8:
	s_delay_alu instid0(VALU_DEP_1)
	v_cmp_ne_u32_e32 vcc_lo, 1, v1
	s_cbranch_vccnz .LBB48_190
; %bb.9:
	v_and_b32_e32 v183, 0x3ff, v0
	s_lshl_b32 s16, s14, 6
	s_load_b32 s24, s[0:1], 0x0
	s_waitcnt lgkmcnt(0)
	s_load_b32 s7, s[22:23], 0x0
	v_bfe_u32 v0, v0, 10, 10
	v_add_nc_u32_e32 v4, s16, v183
	s_mov_b32 s4, -1
	scratch_store_b32 off, v0, off offset:4 ; 4-byte Folded Spill
	v_ashrrev_i32_e32 v5, 31, v4
	v_mul_lo_u32 v3, v4, s9
	v_mad_u64_u32 v[1:2], null, v4, s8, 0
	scratch_store_b64 off, v[4:5], off offset:8 ; 8-byte Folded Spill
	v_mul_lo_u32 v4, v5, s8
	s_ashr_i32 s25, s24, 31
	s_waitcnt lgkmcnt(0)
	s_add_i32 s1, s7, -1
	s_delay_alu instid0(VALU_DEP_1) | instskip(SKIP_1) | instid1(SALU_CYCLE_1)
	v_add3_u32 v2, v2, v3, v4
	s_lshr_b32 s0, s25, 26
	s_add_i32 s0, s24, s0
	s_delay_alu instid0(VALU_DEP_1) | instskip(SKIP_1) | instid1(SALU_CYCLE_1)
	v_lshlrev_b64 v[1:2], 4, v[1:2]
	s_and_not1_b32 s0, s0, 63
	s_sub_i32 s15, s24, s0
	v_cmp_eq_u32_e64 s0, 0, v0
	s_cmp_eq_u32 s14, s1
	s_delay_alu instid0(VALU_DEP_2)
	v_add_co_u32 v38, vcc_lo, s10, v1
	v_add_co_ci_u32_e32 v39, vcc_lo, s11, v2, vcc_lo
	s_cselect_b32 s10, s15, 0
	s_and_saveexec_b32 s1, s0
	s_cbranch_execz .LBB48_14
; %bb.10:
	v_cmp_le_i32_e32 vcc_lo, s10, v183
	s_cmp_lg_u32 s10, 0
	v_lshl_add_u32 v0, v183, 4, 0x4700
	s_cselect_b32 s5, -1, 0
	s_delay_alu instid0(SALU_CYCLE_1) | instskip(NEXT) | instid1(SALU_CYCLE_1)
	s_and_b32 s5, s5, vcc_lo
	s_and_saveexec_b32 s6, s5
	s_delay_alu instid0(SALU_CYCLE_1)
	s_xor_b32 s5, exec_lo, s6
	s_cbranch_execz .LBB48_12
; %bb.11:
	v_mov_b32_e32 v1, 0
	s_delay_alu instid0(VALU_DEP_1)
	v_mov_b32_e32 v2, v1
	v_mov_b32_e32 v3, v1
	;; [unrolled: 1-line block ×3, first 2 shown]
	ds_store_b128 v0, v[1:4]
                                        ; implicit-def: $vgpr0
.LBB48_12:
	s_and_not1_saveexec_b32 s5, s5
	s_cbranch_execz .LBB48_14
; %bb.13:
	flat_load_b128 v[1:4], v[38:39]
	s_waitcnt vmcnt(0) lgkmcnt(0)
	ds_store_2addr_b64 v0, v[1:2], v[3:4] offset1:1
.LBB48_14:
	s_or_b32 exec_lo, exec_lo, s1
	scratch_load_b32 v0, off, off offset:4  ; 4-byte Folded Reload
	v_dual_mov_b32 v5, 0 :: v_dual_and_b32 v4, 31, v183
	s_ashr_i32 s17, s16, 31
	s_mul_i32 s1, s16, s13
	s_lshl_b64 s[22:23], s[16:17], 4
	s_mul_hi_u32 s5, s16, s12
	s_add_u32 s11, s2, s22
	s_mul_i32 s6, s17, s12
	s_addc_u32 s19, s3, s23
	s_add_i32 s1, s5, s1
	s_mul_i32 s2, s16, s12
	s_add_i32 s3, s1, s6
	v_cmp_gt_i32_e64 s1, s10, v4
	s_lshl_b64 s[2:3], s[2:3], 4
	v_lshlrev_b32_e32 v13, 4, v4
	s_add_u32 s2, s2, s11
	s_addc_u32 s3, s3, s19
	s_cmp_eq_u32 s10, 0
	s_cselect_b32 s19, -1, 0
	s_cmp_lg_u32 s10, 0
	s_cselect_b32 s26, -1, 0
	s_delay_alu instid0(SALU_CYCLE_1) | instskip(SKIP_2) | instid1(VALU_DEP_1)
	s_and_b32 vcc_lo, exec_lo, s26
	s_waitcnt vmcnt(0)
	v_lshl_add_u32 v42, v0, 6, v183
	v_lshrrev_b32_e32 v11, 5, v42
	s_delay_alu instid0(VALU_DEP_1) | instskip(SKIP_1) | instid1(VALU_DEP_2)
	v_mad_u64_u32 v[0:1], null, v11, s12, v[4:5]
	v_mul_u32_u24_e32 v12, 33, v11
	v_mad_u64_u32 v[2:3], null, v11, s13, v[1:2]
	s_delay_alu instid0(VALU_DEP_1) | instskip(NEXT) | instid1(VALU_DEP_1)
	v_mov_b32_e32 v1, v2
	v_lshlrev_b64 v[36:37], 4, v[0:1]
	s_delay_alu instid0(VALU_DEP_1) | instskip(NEXT) | instid1(VALU_DEP_1)
	v_add_co_u32 v0, s2, s2, v36
	v_add_co_ci_u32_e64 v1, s2, s3, v37, s2
	s_cbranch_vccz .LBB48_32
; %bb.15:
	s_delay_alu instid0(VALU_DEP_2) | instskip(SKIP_1) | instid1(VALU_DEP_2)
	v_sub_co_u32 v2, vcc_lo, v0, v13
	s_ashr_i32 s11, s10, 31
	v_subrev_co_ci_u32_e32 v3, vcc_lo, 0, v1, vcc_lo
	s_lshl_b64 s[2:3], s[10:11], 4
	v_add_lshl_u32 v5, v12, v4, 4
	v_add_co_u32 v2, vcc_lo, v2, s2
	s_delay_alu instid0(VALU_DEP_3) | instskip(SKIP_1) | instid1(VALU_DEP_2)
	v_add_co_ci_u32_e32 v3, vcc_lo, s3, v3, vcc_lo
	s_mov_b32 s4, exec_lo
	v_add_co_u32 v2, vcc_lo, v2, -16
	s_delay_alu instid0(VALU_DEP_2) | instskip(NEXT) | instid1(VALU_DEP_2)
	v_add_co_ci_u32_e32 v3, vcc_lo, -1, v3, vcc_lo
	v_cndmask_b32_e64 v2, v2, v0, s1
	s_delay_alu instid0(VALU_DEP_2)
	v_cndmask_b32_e64 v3, v3, v1, s1
	v_cmpx_le_i32_e64 s10, v11
	s_xor_b32 s4, exec_lo, s4
	s_cbranch_execz .LBB48_17
; %bb.16:
	v_mov_b32_e32 v6, 0
	s_delay_alu instid0(VALU_DEP_1)
	v_mov_b32_e32 v7, v6
	v_mov_b32_e32 v8, v6
	;; [unrolled: 1-line block ×3, first 2 shown]
	ds_store_b128 v5, v[6:9]
.LBB48_17:
	s_and_not1_saveexec_b32 s4, s4
	s_cbranch_execz .LBB48_19
; %bb.18:
	flat_load_b128 v[6:9], v[2:3]
	s_waitcnt vmcnt(0) lgkmcnt(0)
	ds_store_2addr_b64 v5, v[6:7], v[8:9] offset1:1
.LBB48_19:
	s_or_b32 exec_lo, exec_lo, s4
	v_add_nc_u32_e32 v6, 8, v11
	s_mov_b32 s4, exec_lo
	s_delay_alu instid0(VALU_DEP_1)
	v_cmpx_le_i32_e64 s10, v6
	s_xor_b32 s4, exec_lo, s4
	s_cbranch_execz .LBB48_21
; %bb.20:
	v_mul_u32_u24_e32 v7, 33, v6
	v_mov_b32_e32 v6, 0
	s_delay_alu instid0(VALU_DEP_2) | instskip(NEXT) | instid1(VALU_DEP_2)
	v_add_lshl_u32 v10, v7, v4, 4
	v_mov_b32_e32 v7, v6
	v_mov_b32_e32 v8, v6
	;; [unrolled: 1-line block ×3, first 2 shown]
	ds_store_b128 v10, v[6:9]
.LBB48_21:
	s_and_not1_saveexec_b32 s4, s4
	s_cbranch_execz .LBB48_23
; %bb.22:
	s_lshl_b64 s[22:23], s[12:13], 7
	v_add_nc_u32_e32 v10, 0x1080, v5
	v_add_co_u32 v6, vcc_lo, v2, s22
	v_add_co_ci_u32_e32 v7, vcc_lo, s23, v3, vcc_lo
	flat_load_b128 v[6:9], v[6:7]
	s_waitcnt vmcnt(0) lgkmcnt(0)
	ds_store_2addr_b64 v10, v[6:7], v[8:9] offset1:1
.LBB48_23:
	s_or_b32 exec_lo, exec_lo, s4
	v_add_nc_u32_e32 v6, 16, v11
	s_mov_b32 s4, exec_lo
	s_delay_alu instid0(VALU_DEP_1)
	v_cmpx_le_i32_e64 s10, v6
	s_xor_b32 s4, exec_lo, s4
	s_cbranch_execz .LBB48_25
; %bb.24:
	v_mov_b32_e32 v6, 0
	s_delay_alu instid0(VALU_DEP_1)
	v_mov_b32_e32 v7, v6
	v_mov_b32_e32 v8, v6
	;; [unrolled: 1-line block ×3, first 2 shown]
	ds_store_b128 v5, v[6:9] offset:8448
.LBB48_25:
	s_and_not1_saveexec_b32 s4, s4
	s_cbranch_execz .LBB48_27
; %bb.26:
	s_lshl_b64 s[22:23], s[12:13], 8
	v_add_nc_u32_e32 v10, 0x2100, v5
	v_add_co_u32 v6, vcc_lo, v2, s22
	v_add_co_ci_u32_e32 v7, vcc_lo, s23, v3, vcc_lo
	flat_load_b128 v[6:9], v[6:7]
	s_waitcnt vmcnt(0) lgkmcnt(0)
	ds_store_2addr_b64 v10, v[6:7], v[8:9] offset1:1
.LBB48_27:
	s_or_b32 exec_lo, exec_lo, s4
	v_add_nc_u32_e32 v6, 24, v11
	s_mov_b32 s4, exec_lo
	s_delay_alu instid0(VALU_DEP_1)
	v_cmpx_le_i32_e64 s10, v6
	s_xor_b32 s4, exec_lo, s4
	s_cbranch_execz .LBB48_29
; %bb.28:
	v_mov_b32_e32 v6, 0
	s_delay_alu instid0(VALU_DEP_1)
	v_mov_b32_e32 v7, v6
	v_mov_b32_e32 v8, v6
	v_mov_b32_e32 v9, v6
	ds_store_b128 v5, v[6:9] offset:12672
                                        ; implicit-def: $vgpr5
.LBB48_29:
	s_and_not1_saveexec_b32 s4, s4
	s_cbranch_execz .LBB48_31
; %bb.30:
	v_mad_u64_u32 v[6:7], null, 0x180, s12, v[2:3]
	v_add_nc_u32_e32 v5, 0x3180, v5
	s_delay_alu instid0(VALU_DEP_2) | instskip(NEXT) | instid1(VALU_DEP_1)
	v_mad_u64_u32 v[8:9], null, 0x180, s13, v[7:8]
	v_mov_b32_e32 v7, v8
	flat_load_b128 v[6:9], v[6:7]
	s_waitcnt vmcnt(0) lgkmcnt(0)
	ds_store_2addr_b64 v5, v[6:7], v[8:9] offset1:1
.LBB48_31:
	s_or_b32 exec_lo, exec_lo, s4
	v_add_co_u32 v2, vcc_lo, v2, v13
	v_add_co_ci_u32_e32 v3, vcc_lo, 0, v3, vcc_lo
	s_delay_alu instid0(VALU_DEP_2) | instskip(NEXT) | instid1(VALU_DEP_2)
	v_sub_co_u32 v2, vcc_lo, v2, s2
	v_subrev_co_ci_u32_e32 v3, vcc_lo, s3, v3, vcc_lo
	s_delay_alu instid0(VALU_DEP_2) | instskip(NEXT) | instid1(VALU_DEP_2)
	v_add_co_u32 v2, vcc_lo, v2, 16
	v_add_co_ci_u32_e32 v3, vcc_lo, 0, v3, vcc_lo
	s_delay_alu instid0(VALU_DEP_2) | instskip(NEXT) | instid1(VALU_DEP_2)
	v_cndmask_b32_e64 v5, v2, v0, s1
	v_cndmask_b32_e64 v6, v3, v1, s1
	s_branch .LBB48_34
.LBB48_32:
                                        ; implicit-def: $vgpr5_vgpr6
	s_and_b32 vcc_lo, exec_lo, s4
	s_cbranch_vccz .LBB48_34
; %bb.33:
	flat_load_b128 v[5:8], v[0:1]
	s_lshl_b64 s[2:3], s[12:13], 7
	v_add_lshl_u32 v14, v12, v4, 4
	v_add_co_u32 v2, vcc_lo, v0, s2
	v_add_co_ci_u32_e32 v3, vcc_lo, s3, v1, vcc_lo
	s_delay_alu instid0(VALU_DEP_3)
	v_add_nc_u32_e32 v9, 0x1080, v14
	s_waitcnt vmcnt(0) lgkmcnt(0)
	ds_store_2addr_b64 v14, v[5:6], v[7:8] offset1:1
	flat_load_b128 v[5:8], v[2:3]
	v_add_co_u32 v2, vcc_lo, v2, s2
	v_add_co_ci_u32_e32 v3, vcc_lo, s3, v3, vcc_lo
	s_waitcnt vmcnt(0) lgkmcnt(0)
	ds_store_2addr_b64 v9, v[5:6], v[7:8] offset1:1
	flat_load_b128 v[5:8], v[2:3]
	v_mad_u64_u32 v[2:3], null, 0x180, s12, v[0:1]
	s_delay_alu instid0(VALU_DEP_1) | instskip(NEXT) | instid1(VALU_DEP_1)
	v_mad_u64_u32 v[9:10], null, 0x180, s13, v[3:4]
	v_dual_mov_b32 v3, v9 :: v_dual_add_nc_u32 v10, 0x2100, v14
	s_waitcnt vmcnt(0) lgkmcnt(0)
	ds_store_2addr_b64 v10, v[5:6], v[7:8] offset1:1
	flat_load_b128 v[7:10], v[2:3]
	v_mov_b32_e32 v6, v1
	v_dual_mov_b32 v5, v0 :: v_dual_add_nc_u32 v2, 0x3180, v14
	s_waitcnt vmcnt(0) lgkmcnt(0)
	ds_store_2addr_b64 v2, v[7:8], v[9:10] offset1:1
.LBB48_34:
	v_lshlrev_b32_e32 v18, 2, v11
	s_waitcnt lgkmcnt(0)
	s_waitcnt_vscnt null, 0x0
	s_barrier
	buffer_gl0_inv
	v_cmp_le_u32_e64 s2, v18, v4
	s_delay_alu instid0(VALU_DEP_1) | instskip(NEXT) | instid1(SALU_CYCLE_1)
	s_and_saveexec_b32 s1, s2
	s_xor_b32 s1, exec_lo, s1
	s_cbranch_execz .LBB48_38
; %bb.35:
	s_mov_b32 s3, exec_lo
	v_cmpx_eq_u32_e64 v18, v4
	s_cbranch_execz .LBB48_37
; %bb.36:
	v_mul_u32_u24_e32 v1, 34, v4
	v_mov_b32_e32 v0, 0
	s_delay_alu instid0(VALU_DEP_1)
	v_dual_mov_b32 v1, v0 :: v_dual_lshlrev_b32 v2, 4, v1
	ds_store_b64 v2, v[0:1] offset:8
.LBB48_37:
	s_or_b32 exec_lo, exec_lo, s3
.LBB48_38:
	s_or_saveexec_b32 s1, s1
	v_mul_u32_u24_e32 v14, 33, v4
	v_mul_u32_u24_e32 v1, 0x84, v11
	s_delay_alu instid0(VALU_DEP_2)
	v_add_lshl_u32 v16, v18, v14, 4
	s_xor_b32 exec_lo, exec_lo, s1
	s_cbranch_execz .LBB48_40
; %bb.39:
	s_delay_alu instid0(VALU_DEP_2)
	v_add_lshl_u32 v0, v1, v4, 4
	ds_load_b128 v[7:10], v0
	s_waitcnt lgkmcnt(0)
	v_xor_b32_e32 v10, 0x80000000, v10
	ds_store_b128 v16, v[7:10]
.LBB48_40:
	s_or_b32 exec_lo, exec_lo, s1
	v_or_b32_e32 v17, 1, v18
	v_cmp_ge_u32_e64 s3, v18, v4
	s_delay_alu instid0(VALU_DEP_2) | instskip(NEXT) | instid1(VALU_DEP_2)
	v_mul_u32_u24_e32 v0, 33, v17
	s_and_saveexec_b32 s1, s3
	s_delay_alu instid0(SALU_CYCLE_1)
	s_xor_b32 s1, exec_lo, s1
	s_cbranch_execz .LBB48_42
; %bb.41:
	s_delay_alu instid0(VALU_DEP_1)
	v_add_lshl_u32 v2, v0, v4, 4
	ds_load_b128 v[7:10], v2
	s_waitcnt lgkmcnt(0)
	v_xor_b32_e32 v10, 0x80000000, v10
	ds_store_b128 v16, v[7:10] offset:16
.LBB48_42:
	s_and_not1_saveexec_b32 s1, s1
	s_cbranch_execz .LBB48_46
; %bb.43:
	s_mov_b32 s4, exec_lo
	v_cmpx_eq_u32_e64 v17, v4
	s_cbranch_execz .LBB48_45
; %bb.44:
	v_mul_u32_u24_e32 v3, 34, v4
	s_delay_alu instid0(VALU_DEP_1) | instskip(NEXT) | instid1(VALU_DEP_1)
	v_dual_mov_b32 v2, 0 :: v_dual_lshlrev_b32 v7, 4, v3
	v_mov_b32_e32 v3, v2
	ds_store_b64 v7, v[2:3] offset:8
.LBB48_45:
	s_or_b32 exec_lo, exec_lo, s4
.LBB48_46:
	s_delay_alu instid0(SALU_CYCLE_1) | instskip(SKIP_1) | instid1(VALU_DEP_1)
	s_or_b32 exec_lo, exec_lo, s1
	v_or_b32_e32 v19, 2, v18
	v_cmp_le_u32_e64 s4, v19, v4
	s_delay_alu instid0(VALU_DEP_1) | instskip(NEXT) | instid1(SALU_CYCLE_1)
	s_and_saveexec_b32 s1, s4
	s_xor_b32 s1, exec_lo, s1
	s_cbranch_execz .LBB48_50
; %bb.47:
	s_mov_b32 s5, exec_lo
	v_cmpx_eq_u32_e64 v19, v4
	s_cbranch_execz .LBB48_49
; %bb.48:
	v_mul_u32_u24_e32 v3, 34, v4
	s_delay_alu instid0(VALU_DEP_1) | instskip(NEXT) | instid1(VALU_DEP_1)
	v_dual_mov_b32 v2, 0 :: v_dual_lshlrev_b32 v7, 4, v3
	v_mov_b32_e32 v3, v2
	ds_store_b64 v7, v[2:3] offset:8
.LBB48_49:
	s_or_b32 exec_lo, exec_lo, s5
.LBB48_50:
	s_and_not1_saveexec_b32 s1, s1
	s_cbranch_execz .LBB48_52
; %bb.51:
	v_mul_u32_u24_e32 v2, 33, v19
	s_delay_alu instid0(VALU_DEP_1)
	v_add_lshl_u32 v2, v2, v4, 4
	ds_load_b128 v[7:10], v2
	s_waitcnt lgkmcnt(0)
	v_xor_b32_e32 v10, 0x80000000, v10
	ds_store_b128 v16, v[7:10] offset:32
.LBB48_52:
	s_or_b32 exec_lo, exec_lo, s1
	v_or_b32_e32 v20, 3, v18
	s_delay_alu instid0(VALU_DEP_1) | instskip(NEXT) | instid1(VALU_DEP_1)
	v_cmp_le_u32_e64 s5, v20, v4
	s_and_saveexec_b32 s1, s5
	s_delay_alu instid0(SALU_CYCLE_1)
	s_xor_b32 s1, exec_lo, s1
	s_cbranch_execz .LBB48_56
; %bb.53:
	s_mov_b32 s6, exec_lo
	v_cmpx_eq_u32_e64 v20, v4
	s_cbranch_execz .LBB48_55
; %bb.54:
	v_mul_u32_u24_e32 v3, 34, v4
	s_delay_alu instid0(VALU_DEP_1) | instskip(NEXT) | instid1(VALU_DEP_1)
	v_dual_mov_b32 v2, 0 :: v_dual_lshlrev_b32 v7, 4, v3
	v_mov_b32_e32 v3, v2
	ds_store_b64 v7, v[2:3] offset:8
.LBB48_55:
	s_or_b32 exec_lo, exec_lo, s6
.LBB48_56:
	s_and_not1_saveexec_b32 s1, s1
	s_cbranch_execz .LBB48_58
; %bb.57:
	v_mul_u32_u24_e32 v2, 33, v20
	s_delay_alu instid0(VALU_DEP_1)
	v_add_lshl_u32 v2, v2, v4, 4
	ds_load_b128 v[7:10], v2
	s_waitcnt lgkmcnt(0)
	v_xor_b32_e32 v10, 0x80000000, v10
	ds_store_b128 v16, v[7:10] offset:48
.LBB48_58:
	s_or_b32 exec_lo, exec_lo, s1
	v_add_lshl_u32 v15, v1, v4, 4
	v_lshlrev_b32_e32 v21, 4, v18
	s_waitcnt lgkmcnt(0)
	s_barrier
	buffer_gl0_inv
	ds_load_b128 v[7:10], v15
	ds_load_b128 v[22:25], v21 offset:18176
	v_add_lshl_u32 v45, v0, v4, 4
	ds_load_b128 v[0:3], v21 offset:18192
	ds_load_b128 v[26:29], v45
	v_cmp_gt_u32_e64 s1, 32, v42
	s_waitcnt lgkmcnt(2)
	v_mul_f64 v[30:31], v[24:25], v[9:10]
	v_mul_f64 v[9:10], v[22:23], v[9:10]
	s_waitcnt lgkmcnt(0)
	v_mul_f64 v[40:41], v[2:3], v[28:29]
	v_mul_f64 v[43:44], v[0:1], v[28:29]
	s_delay_alu instid0(VALU_DEP_4) | instskip(NEXT) | instid1(VALU_DEP_4)
	v_fma_f64 v[46:47], v[22:23], v[7:8], -v[30:31]
	v_fma_f64 v[48:49], v[24:25], v[7:8], v[9:10]
	ds_load_b128 v[7:10], v45 offset:528
	ds_load_b128 v[22:25], v21 offset:18208
	;; [unrolled: 1-line block ×4, first 2 shown]
	s_waitcnt lgkmcnt(0)
	s_barrier
	v_fma_f64 v[0:1], v[0:1], v[26:27], -v[40:41]
	v_fma_f64 v[2:3], v[2:3], v[26:27], v[43:44]
	buffer_gl0_inv
	v_mul_f64 v[50:51], v[24:25], v[9:10]
	v_mul_f64 v[9:10], v[22:23], v[9:10]
	;; [unrolled: 1-line block ×4, first 2 shown]
	v_add_f64 v[26:27], v[46:47], 0
	v_add_f64 v[40:41], v[48:49], 0
	v_fma_f64 v[22:23], v[22:23], v[7:8], -v[50:51]
	v_fma_f64 v[7:8], v[24:25], v[7:8], v[9:10]
	v_fma_f64 v[9:10], v[28:29], v[32:33], -v[43:44]
	v_fma_f64 v[24:25], v[30:31], v[32:33], v[34:35]
	v_add_lshl_u32 v44, v11, v14, 4
	v_add_f64 v[0:1], v[26:27], v[0:1]
	v_add_f64 v[2:3], v[40:41], v[2:3]
	s_delay_alu instid0(VALU_DEP_2) | instskip(NEXT) | instid1(VALU_DEP_2)
	v_add_f64 v[0:1], v[0:1], v[22:23]
	v_add_f64 v[2:3], v[2:3], v[7:8]
	s_delay_alu instid0(VALU_DEP_2) | instskip(SKIP_1) | instid1(VALU_DEP_3)
	v_add_f64 v[7:8], v[0:1], v[9:10]
	v_mov_b32_e32 v0, 0
	v_add_f64 v[9:10], v[2:3], v[24:25]
	v_mov_b32_e32 v1, 0
	v_lshlrev_b32_e32 v43, 4, v14
	s_delay_alu instid0(VALU_DEP_2)
	v_dual_mov_b32 v3, v1 :: v_dual_mov_b32 v2, v0
	ds_store_b128 v44, v[7:10]
	s_waitcnt lgkmcnt(0)
	s_barrier
	buffer_gl0_inv
	s_and_saveexec_b32 s6, s1
	s_cbranch_execz .LBB48_60
; %bb.59:
	ds_load_b128 v[0:3], v43
	ds_load_b128 v[7:10], v43 offset:16
	s_waitcnt lgkmcnt(0)
	v_add_f64 v[22:23], v[7:8], v[0:1]
	v_add_f64 v[24:25], v[9:10], v[2:3]
	ds_load_b128 v[0:3], v43 offset:32
	ds_load_b128 v[7:10], v43 offset:48
	s_waitcnt lgkmcnt(1)
	v_add_f64 v[0:1], v[22:23], v[0:1]
	v_add_f64 v[2:3], v[24:25], v[2:3]
	s_waitcnt lgkmcnt(0)
	s_delay_alu instid0(VALU_DEP_2) | instskip(NEXT) | instid1(VALU_DEP_2)
	v_add_f64 v[22:23], v[0:1], v[7:8]
	v_add_f64 v[24:25], v[2:3], v[9:10]
	ds_load_b128 v[0:3], v43 offset:64
	ds_load_b128 v[7:10], v43 offset:80
	s_waitcnt lgkmcnt(1)
	v_add_f64 v[0:1], v[22:23], v[0:1]
	v_add_f64 v[2:3], v[24:25], v[2:3]
	s_waitcnt lgkmcnt(0)
	s_delay_alu instid0(VALU_DEP_2) | instskip(NEXT) | instid1(VALU_DEP_2)
	;; [unrolled: 9-line block ×3, first 2 shown]
	v_add_f64 v[0:1], v[0:1], v[7:8]
	v_add_f64 v[2:3], v[2:3], v[9:10]
.LBB48_60:
	s_or_b32 exec_lo, exec_lo, s6
	s_lshl_b64 s[22:23], s[12:13], 9
	s_delay_alu instid0(SALU_CYCLE_1) | instskip(SKIP_2) | instid1(VALU_DEP_2)
	v_add_co_u32 v9, vcc_lo, v5, s22
	v_add_co_ci_u32_e32 v10, vcc_lo, s23, v6, vcc_lo
	s_barrier
	v_add_co_u32 v7, vcc_lo, 0x200, v9
	s_delay_alu instid0(VALU_DEP_2)
	v_add_co_ci_u32_e32 v8, vcc_lo, 0, v10, vcc_lo
	s_and_b32 vcc_lo, exec_lo, s26
	buffer_gl0_inv
	s_cbranch_vccz .LBB48_78
; %bb.61:
	v_or_b32_e32 v5, 32, v4
	s_ashr_i32 s11, s10, 31
	s_delay_alu instid0(SALU_CYCLE_1) | instskip(SKIP_1) | instid1(VALU_DEP_1)
	s_lshl_b64 s[22:23], s[10:11], 4
	s_sub_i32 s11, s10, 32
	v_lshlrev_b32_e32 v6, 4, v5
	v_cmp_le_i32_e64 s6, s11, v11
	s_delay_alu instid0(VALU_DEP_2) | instskip(SKIP_1) | instid1(VALU_DEP_2)
	v_sub_co_u32 v6, vcc_lo, v7, v6
	v_subrev_co_ci_u32_e32 v22, vcc_lo, 0, v8, vcc_lo
	v_add_co_u32 v6, vcc_lo, v6, s22
	s_delay_alu instid0(VALU_DEP_2) | instskip(NEXT) | instid1(VALU_DEP_2)
	v_add_co_ci_u32_e32 v22, vcc_lo, s23, v22, vcc_lo
	v_add_co_u32 v23, vcc_lo, v6, -16
	s_delay_alu instid0(VALU_DEP_2) | instskip(SKIP_2) | instid1(VALU_DEP_3)
	v_add_co_ci_u32_e32 v6, vcc_lo, -1, v22, vcc_lo
	v_cmp_gt_i32_e32 vcc_lo, s10, v5
	v_add_lshl_u32 v22, v12, v4, 4
	v_dual_cndmask_b32 v5, v23, v7 :: v_dual_cndmask_b32 v6, v6, v8
	s_and_saveexec_b32 s27, s6
	s_delay_alu instid0(SALU_CYCLE_1)
	s_xor_b32 s6, exec_lo, s27
	s_cbranch_execz .LBB48_63
; %bb.62:
	v_mov_b32_e32 v23, 0
	s_delay_alu instid0(VALU_DEP_1)
	v_mov_b32_e32 v24, v23
	v_mov_b32_e32 v25, v23
	;; [unrolled: 1-line block ×3, first 2 shown]
	ds_store_b128 v22, v[23:26]
.LBB48_63:
	s_and_not1_saveexec_b32 s6, s6
	s_cbranch_execz .LBB48_65
; %bb.64:
	flat_load_b128 v[23:26], v[5:6]
	s_waitcnt vmcnt(0) lgkmcnt(0)
	ds_store_2addr_b64 v22, v[23:24], v[25:26] offset1:1
.LBB48_65:
	s_or_b32 exec_lo, exec_lo, s6
	v_add_nc_u32_e32 v23, 8, v11
	s_delay_alu instid0(VALU_DEP_1) | instskip(NEXT) | instid1(VALU_DEP_1)
	v_cmp_le_i32_e64 s6, s11, v23
	s_and_saveexec_b32 s27, s6
	s_delay_alu instid0(SALU_CYCLE_1)
	s_xor_b32 s6, exec_lo, s27
	s_cbranch_execz .LBB48_67
; %bb.66:
	v_mul_u32_u24_e32 v24, 33, v23
	v_mov_b32_e32 v23, 0
	s_delay_alu instid0(VALU_DEP_2) | instskip(NEXT) | instid1(VALU_DEP_2)
	v_add_lshl_u32 v27, v24, v4, 4
	v_mov_b32_e32 v24, v23
	v_mov_b32_e32 v25, v23
	v_mov_b32_e32 v26, v23
	ds_store_b128 v27, v[23:26]
.LBB48_67:
	s_and_not1_saveexec_b32 s27, s6
	s_cbranch_execz .LBB48_69
; %bb.68:
	s_lshl_b64 s[28:29], s[12:13], 7
	v_add_nc_u32_e32 v27, 0x1080, v22
	v_add_co_u32 v23, s6, v5, s28
	s_delay_alu instid0(VALU_DEP_1)
	v_add_co_ci_u32_e64 v24, s6, s29, v6, s6
	flat_load_b128 v[23:26], v[23:24]
	s_waitcnt vmcnt(0) lgkmcnt(0)
	ds_store_2addr_b64 v27, v[23:24], v[25:26] offset1:1
.LBB48_69:
	s_or_b32 exec_lo, exec_lo, s27
	v_add_nc_u32_e32 v23, 16, v11
	s_delay_alu instid0(VALU_DEP_1) | instskip(NEXT) | instid1(VALU_DEP_1)
	v_cmp_le_i32_e64 s6, s11, v23
	s_and_saveexec_b32 s27, s6
	s_delay_alu instid0(SALU_CYCLE_1)
	s_xor_b32 s6, exec_lo, s27
	s_cbranch_execz .LBB48_71
; %bb.70:
	v_mov_b32_e32 v23, 0
	s_delay_alu instid0(VALU_DEP_1)
	v_mov_b32_e32 v24, v23
	v_mov_b32_e32 v25, v23
	;; [unrolled: 1-line block ×3, first 2 shown]
	ds_store_b128 v22, v[23:26] offset:8448
.LBB48_71:
	s_and_not1_saveexec_b32 s27, s6
	s_cbranch_execz .LBB48_73
; %bb.72:
	s_lshl_b64 s[28:29], s[12:13], 8
	v_add_nc_u32_e32 v27, 0x2100, v22
	v_add_co_u32 v23, s6, v5, s28
	s_delay_alu instid0(VALU_DEP_1)
	v_add_co_ci_u32_e64 v24, s6, s29, v6, s6
	flat_load_b128 v[23:26], v[23:24]
	s_waitcnt vmcnt(0) lgkmcnt(0)
	ds_store_2addr_b64 v27, v[23:24], v[25:26] offset1:1
.LBB48_73:
	s_or_b32 exec_lo, exec_lo, s27
	v_add_nc_u32_e32 v23, 24, v11
	s_delay_alu instid0(VALU_DEP_1) | instskip(NEXT) | instid1(VALU_DEP_1)
	v_cmp_le_i32_e64 s6, s11, v23
	s_and_saveexec_b32 s11, s6
	s_delay_alu instid0(SALU_CYCLE_1)
	s_xor_b32 s6, exec_lo, s11
	s_cbranch_execz .LBB48_75
; %bb.74:
	v_mov_b32_e32 v23, 0
	s_delay_alu instid0(VALU_DEP_1)
	v_mov_b32_e32 v24, v23
	v_mov_b32_e32 v25, v23
	;; [unrolled: 1-line block ×3, first 2 shown]
	ds_store_b128 v22, v[23:26] offset:12672
                                        ; implicit-def: $vgpr22
.LBB48_75:
	s_and_not1_saveexec_b32 s6, s6
	s_cbranch_execz .LBB48_77
; %bb.76:
	v_mad_u64_u32 v[23:24], null, 0x180, s12, v[5:6]
	v_add_nc_u32_e32 v22, 0x3180, v22
	s_delay_alu instid0(VALU_DEP_2) | instskip(NEXT) | instid1(VALU_DEP_1)
	v_mad_u64_u32 v[25:26], null, 0x180, s13, v[24:25]
	v_mov_b32_e32 v24, v25
	flat_load_b128 v[23:26], v[23:24]
	s_waitcnt vmcnt(0) lgkmcnt(0)
	ds_store_2addr_b64 v22, v[23:24], v[25:26] offset1:1
.LBB48_77:
	s_or_b32 exec_lo, exec_lo, s6
	v_add_co_u32 v5, s6, v5, v13
	s_delay_alu instid0(VALU_DEP_1) | instskip(NEXT) | instid1(VALU_DEP_2)
	v_add_co_ci_u32_e64 v6, s6, 0, v6, s6
	v_sub_co_u32 v5, s6, v5, s22
	s_delay_alu instid0(VALU_DEP_1) | instskip(NEXT) | instid1(VALU_DEP_2)
	v_subrev_co_ci_u32_e64 v6, s6, s23, v6, s6
	v_add_co_u32 v5, s6, 0x210, v5
	s_delay_alu instid0(VALU_DEP_1) | instskip(NEXT) | instid1(VALU_DEP_1)
	v_add_co_ci_u32_e64 v6, s6, 0, v6, s6
	v_dual_cndmask_b32 v5, v5, v7 :: v_dual_cndmask_b32 v6, v6, v8
	s_branch .LBB48_80
.LBB48_78:
                                        ; implicit-def: $vgpr5_vgpr6
	s_cbranch_execz .LBB48_80
; %bb.79:
	flat_load_b128 v[22:25], v[7:8]
	s_lshl_b64 s[22:23], s[12:13], 7
	v_add_lshl_u32 v26, v12, v4, 4
	v_add_co_u32 v5, vcc_lo, v9, s22
	v_add_co_ci_u32_e32 v6, vcc_lo, s23, v10, vcc_lo
	s_delay_alu instid0(VALU_DEP_3)
	v_add_nc_u32_e32 v27, 0x1080, v26
	s_waitcnt vmcnt(0) lgkmcnt(0)
	ds_store_2addr_b64 v26, v[22:23], v[24:25] offset1:1
	flat_load_b128 v[22:25], v[5:6] offset:512
	v_add_co_u32 v5, vcc_lo, v5, s22
	v_add_co_ci_u32_e32 v6, vcc_lo, s23, v6, vcc_lo
	s_waitcnt vmcnt(0) lgkmcnt(0)
	ds_store_2addr_b64 v27, v[22:23], v[24:25] offset1:1
	flat_load_b128 v[22:25], v[5:6] offset:512
	v_mad_u64_u32 v[5:6], null, 0x180, s12, v[9:10]
	s_delay_alu instid0(VALU_DEP_1) | instskip(SKIP_1) | instid1(VALU_DEP_2)
	v_mad_u64_u32 v[9:10], null, 0x180, s13, v[6:7]
	v_add_nc_u32_e32 v10, 0x2100, v26
	v_dual_mov_b32 v6, v9 :: v_dual_add_nc_u32 v9, 0x3180, v26
	s_waitcnt vmcnt(0) lgkmcnt(0)
	ds_store_2addr_b64 v10, v[22:23], v[24:25] offset1:1
	flat_load_b128 v[22:25], v[5:6] offset:512
	v_dual_mov_b32 v5, v7 :: v_dual_mov_b32 v6, v8
	s_waitcnt vmcnt(0) lgkmcnt(0)
	ds_store_2addr_b64 v9, v[22:23], v[24:25] offset1:1
.LBB48_80:
	s_waitcnt lgkmcnt(0)
	s_barrier
	buffer_gl0_inv
	s_and_saveexec_b32 s6, s2
	s_delay_alu instid0(SALU_CYCLE_1)
	s_xor_b32 s2, exec_lo, s6
	s_cbranch_execnz .LBB48_109
; %bb.81:
	s_and_not1_saveexec_b32 s2, s2
	s_cbranch_execnz .LBB48_112
.LBB48_82:
	s_or_b32 exec_lo, exec_lo, s2
	s_and_saveexec_b32 s2, s3
	s_delay_alu instid0(SALU_CYCLE_1)
	s_xor_b32 s2, exec_lo, s2
	s_cbranch_execnz .LBB48_113
.LBB48_83:
	s_and_not1_saveexec_b32 s2, s2
	s_cbranch_execnz .LBB48_114
.LBB48_84:
	s_or_b32 exec_lo, exec_lo, s2
	s_and_saveexec_b32 s2, s4
	s_delay_alu instid0(SALU_CYCLE_1)
	s_xor_b32 s2, exec_lo, s2
	s_cbranch_execnz .LBB48_117
.LBB48_85:
	s_and_not1_saveexec_b32 s2, s2
	s_cbranch_execnz .LBB48_120
.LBB48_86:
	s_or_b32 exec_lo, exec_lo, s2
	s_and_saveexec_b32 s2, s5
	s_delay_alu instid0(SALU_CYCLE_1)
	s_xor_b32 s2, exec_lo, s2
	s_cbranch_execnz .LBB48_121
.LBB48_87:
	s_or_saveexec_b32 s2, s2
	v_add_nc_u32_e32 v17, 0x4700, v21
	s_xor_b32 exec_lo, exec_lo, s2
	s_cbranch_execz .LBB48_89
.LBB48_88:
	ds_load_b128 v[7:10], v45 offset:1056
	s_waitcnt lgkmcnt(0)
	v_xor_b32_e32 v10, 0x80000000, v10
	ds_store_b128 v16, v[7:10] offset:48
.LBB48_89:
	s_or_b32 exec_lo, exec_lo, s2
	s_waitcnt lgkmcnt(0)
	s_barrier
	buffer_gl0_inv
	ds_load_b128 v[7:10], v17 offset:512
	ds_load_b128 v[18:21], v15
	v_cmp_eq_u32_e64 s2, 1, v11
	s_waitcnt lgkmcnt(0)
	v_mul_f64 v[32:33], v[9:10], v[20:21]
	v_mul_f64 v[34:35], v[7:8], v[20:21]
	ds_load_b128 v[20:23], v45
	ds_load_b128 v[24:27], v17 offset:528
	ds_load_b128 v[28:31], v17 offset:544
	s_waitcnt lgkmcnt(1)
	v_mul_f64 v[40:41], v[26:27], v[22:23]
	v_mul_f64 v[22:23], v[24:25], v[22:23]
	v_fma_f64 v[46:47], v[7:8], v[18:19], -v[32:33]
	v_fma_f64 v[18:19], v[9:10], v[18:19], v[34:35]
	ds_load_b128 v[7:10], v45 offset:528
	ds_load_b128 v[32:35], v45 offset:1056
	s_waitcnt lgkmcnt(1)
	v_mul_f64 v[48:49], v[30:31], v[9:10]
	v_mul_f64 v[9:10], v[28:29], v[9:10]
	v_fma_f64 v[24:25], v[24:25], v[20:21], -v[40:41]
	v_fma_f64 v[22:23], v[26:27], v[20:21], v[22:23]
	v_add_f64 v[26:27], v[46:47], 0
	v_add_f64 v[40:41], v[18:19], 0
	ds_load_b128 v[18:21], v17 offset:560
	s_waitcnt lgkmcnt(0)
	s_barrier
	buffer_gl0_inv
	v_fma_f64 v[28:29], v[28:29], v[7:8], -v[48:49]
	v_mul_f64 v[46:47], v[20:21], v[34:35]
	v_mul_f64 v[34:35], v[18:19], v[34:35]
	v_fma_f64 v[7:8], v[30:31], v[7:8], v[9:10]
	v_add_f64 v[9:10], v[26:27], v[24:25]
	v_add_f64 v[22:23], v[40:41], v[22:23]
	v_fma_f64 v[18:19], v[18:19], v[32:33], -v[46:47]
	v_fma_f64 v[20:21], v[20:21], v[32:33], v[34:35]
	s_delay_alu instid0(VALU_DEP_4) | instskip(NEXT) | instid1(VALU_DEP_4)
	v_add_f64 v[9:10], v[9:10], v[28:29]
	v_add_f64 v[22:23], v[22:23], v[7:8]
	s_delay_alu instid0(VALU_DEP_2) | instskip(NEXT) | instid1(VALU_DEP_2)
	v_add_f64 v[7:8], v[9:10], v[18:19]
	v_add_f64 v[9:10], v[22:23], v[20:21]
	ds_store_b128 v44, v[7:10]
	s_waitcnt lgkmcnt(0)
	s_barrier
	buffer_gl0_inv
	s_and_saveexec_b32 s3, s2
	s_cbranch_execz .LBB48_91
; %bb.90:
	ds_load_b128 v[0:3], v43
	ds_load_b128 v[7:10], v43 offset:16
	s_waitcnt lgkmcnt(0)
	v_add_f64 v[18:19], v[7:8], v[0:1]
	v_add_f64 v[20:21], v[9:10], v[2:3]
	ds_load_b128 v[0:3], v43 offset:32
	ds_load_b128 v[7:10], v43 offset:48
	s_waitcnt lgkmcnt(1)
	v_add_f64 v[0:1], v[18:19], v[0:1]
	v_add_f64 v[2:3], v[20:21], v[2:3]
	s_waitcnt lgkmcnt(0)
	s_delay_alu instid0(VALU_DEP_2) | instskip(NEXT) | instid1(VALU_DEP_2)
	v_add_f64 v[18:19], v[0:1], v[7:8]
	v_add_f64 v[20:21], v[2:3], v[9:10]
	ds_load_b128 v[0:3], v43 offset:64
	ds_load_b128 v[7:10], v43 offset:80
	s_waitcnt lgkmcnt(1)
	v_add_f64 v[0:1], v[18:19], v[0:1]
	v_add_f64 v[2:3], v[20:21], v[2:3]
	s_waitcnt lgkmcnt(0)
	s_delay_alu instid0(VALU_DEP_2) | instskip(NEXT) | instid1(VALU_DEP_2)
	v_add_f64 v[18:19], v[0:1], v[7:8]
	v_add_f64 v[20:21], v[2:3], v[9:10]
	ds_load_b128 v[0:3], v43 offset:96
	ds_load_b128 v[7:10], v43 offset:112
	s_waitcnt lgkmcnt(1)
	v_add_f64 v[0:1], v[18:19], v[0:1]
	v_add_f64 v[2:3], v[20:21], v[2:3]
	s_waitcnt lgkmcnt(0)
	s_delay_alu instid0(VALU_DEP_2) | instskip(NEXT) | instid1(VALU_DEP_2)
	v_add_f64 v[0:1], v[0:1], v[7:8]
	v_add_f64 v[2:3], v[2:3], v[9:10]
.LBB48_91:
	s_or_b32 exec_lo, exec_lo, s3
	v_add_co_u32 v5, vcc_lo, 0xfffffe00, v5
	v_add_co_ci_u32_e32 v6, vcc_lo, -1, v6, vcc_lo
	s_and_b32 vcc_lo, exec_lo, s26
	s_barrier
	buffer_gl0_inv
	s_cbranch_vccz .LBB48_124
; %bb.92:
	v_sub_co_u32 v7, vcc_lo, v5, v13
	s_ashr_i32 s11, s10, 31
	v_subrev_co_ci_u32_e32 v8, vcc_lo, 0, v6, vcc_lo
	s_lshl_b64 s[4:5], s[10:11], 4
	s_sub_i32 s6, s10, 32
	v_add_co_u32 v7, vcc_lo, v7, s4
	s_delay_alu instid0(VALU_DEP_2) | instskip(SKIP_1) | instid1(VALU_DEP_3)
	v_add_co_ci_u32_e32 v8, vcc_lo, s5, v8, vcc_lo
	v_cmp_le_i32_e64 s3, s6, v11
	v_add_co_u32 v7, vcc_lo, v7, -16
	s_delay_alu instid0(VALU_DEP_3) | instskip(SKIP_2) | instid1(VALU_DEP_3)
	v_add_co_ci_u32_e32 v8, vcc_lo, -1, v8, vcc_lo
	v_cmp_gt_i32_e32 vcc_lo, s10, v4
	v_add_lshl_u32 v18, v12, v4, 4
	v_dual_cndmask_b32 v8, v8, v6 :: v_dual_cndmask_b32 v7, v7, v5
	s_and_saveexec_b32 s11, s3
	s_delay_alu instid0(SALU_CYCLE_1)
	s_xor_b32 s3, exec_lo, s11
	s_cbranch_execz .LBB48_94
; %bb.93:
	v_mov_b32_e32 v19, 0
	s_delay_alu instid0(VALU_DEP_1)
	v_mov_b32_e32 v20, v19
	v_mov_b32_e32 v21, v19
	v_mov_b32_e32 v22, v19
	ds_store_b128 v18, v[19:22]
.LBB48_94:
	s_and_not1_saveexec_b32 s3, s3
	s_cbranch_execz .LBB48_96
; %bb.95:
	flat_load_b128 v[19:22], v[7:8]
	s_waitcnt vmcnt(0) lgkmcnt(0)
	ds_store_2addr_b64 v18, v[19:20], v[21:22] offset1:1
.LBB48_96:
	s_or_b32 exec_lo, exec_lo, s3
	v_add_nc_u32_e32 v16, 8, v11
	s_delay_alu instid0(VALU_DEP_1) | instskip(NEXT) | instid1(VALU_DEP_1)
	v_cmp_le_i32_e64 s3, s6, v16
	s_and_saveexec_b32 s11, s3
	s_delay_alu instid0(SALU_CYCLE_1)
	s_xor_b32 s3, exec_lo, s11
	s_cbranch_execz .LBB48_98
; %bb.97:
	v_mul_u32_u24_e32 v9, 33, v16
	v_mov_b32_e32 v19, 0
	s_delay_alu instid0(VALU_DEP_2) | instskip(NEXT) | instid1(VALU_DEP_2)
	v_add_lshl_u32 v9, v9, v4, 4
	v_mov_b32_e32 v20, v19
	v_mov_b32_e32 v21, v19
	;; [unrolled: 1-line block ×3, first 2 shown]
	ds_store_b128 v9, v[19:22]
.LBB48_98:
	s_and_not1_saveexec_b32 s11, s3
	s_cbranch_execz .LBB48_100
; %bb.99:
	s_lshl_b64 s[22:23], s[12:13], 7
	s_delay_alu instid0(SALU_CYCLE_1) | instskip(NEXT) | instid1(VALU_DEP_1)
	v_add_co_u32 v9, s3, v7, s22
	v_add_co_ci_u32_e64 v10, s3, s23, v8, s3
	flat_load_b128 v[19:22], v[9:10]
	v_add_nc_u32_e32 v9, 0x1080, v18
	s_waitcnt vmcnt(0) lgkmcnt(0)
	ds_store_2addr_b64 v9, v[19:20], v[21:22] offset1:1
.LBB48_100:
	s_or_b32 exec_lo, exec_lo, s11
	v_add_nc_u32_e32 v9, 16, v11
	s_delay_alu instid0(VALU_DEP_1) | instskip(NEXT) | instid1(VALU_DEP_1)
	v_cmp_le_i32_e64 s3, s6, v9
	s_and_saveexec_b32 s11, s3
	s_delay_alu instid0(SALU_CYCLE_1)
	s_xor_b32 s3, exec_lo, s11
	s_cbranch_execz .LBB48_102
; %bb.101:
	v_mov_b32_e32 v19, 0
	s_delay_alu instid0(VALU_DEP_1)
	v_mov_b32_e32 v20, v19
	v_mov_b32_e32 v21, v19
	;; [unrolled: 1-line block ×3, first 2 shown]
	ds_store_b128 v18, v[19:22] offset:8448
.LBB48_102:
	s_and_not1_saveexec_b32 s11, s3
	s_cbranch_execz .LBB48_104
; %bb.103:
	s_lshl_b64 s[22:23], s[12:13], 8
	v_add_nc_u32_e32 v10, 0x2100, v18
	v_add_co_u32 v19, s3, v7, s22
	s_delay_alu instid0(VALU_DEP_1)
	v_add_co_ci_u32_e64 v20, s3, s23, v8, s3
	flat_load_b128 v[19:22], v[19:20]
	s_waitcnt vmcnt(0) lgkmcnt(0)
	ds_store_2addr_b64 v10, v[19:20], v[21:22] offset1:1
.LBB48_104:
	s_or_b32 exec_lo, exec_lo, s11
	v_add_nc_u32_e32 v10, 24, v11
	s_delay_alu instid0(VALU_DEP_1) | instskip(NEXT) | instid1(VALU_DEP_1)
	v_cmp_le_i32_e64 s3, s6, v10
	s_and_saveexec_b32 s6, s3
	s_delay_alu instid0(SALU_CYCLE_1)
	s_xor_b32 s3, exec_lo, s6
	s_cbranch_execz .LBB48_106
; %bb.105:
	v_mov_b32_e32 v19, 0
	s_delay_alu instid0(VALU_DEP_1)
	v_mov_b32_e32 v20, v19
	v_mov_b32_e32 v21, v19
	;; [unrolled: 1-line block ×3, first 2 shown]
	ds_store_b128 v18, v[19:22] offset:12672
                                        ; implicit-def: $vgpr18
.LBB48_106:
	s_and_not1_saveexec_b32 s3, s3
	s_cbranch_execz .LBB48_108
; %bb.107:
	v_mad_u64_u32 v[19:20], null, 0x180, s12, v[7:8]
	v_add_nc_u32_e32 v18, 0x3180, v18
	s_delay_alu instid0(VALU_DEP_2) | instskip(NEXT) | instid1(VALU_DEP_1)
	v_mad_u64_u32 v[21:22], null, 0x180, s13, v[20:21]
	v_mov_b32_e32 v20, v21
	flat_load_b128 v[19:22], v[19:20]
	s_waitcnt vmcnt(0) lgkmcnt(0)
	ds_store_2addr_b64 v18, v[19:20], v[21:22] offset1:1
.LBB48_108:
	s_or_b32 exec_lo, exec_lo, s3
	v_add_co_u32 v7, s3, v7, v13
	s_delay_alu instid0(VALU_DEP_1) | instskip(NEXT) | instid1(VALU_DEP_2)
	v_add_co_ci_u32_e64 v8, s3, 0, v8, s3
	v_sub_co_u32 v7, s3, v7, s4
	s_delay_alu instid0(VALU_DEP_1) | instskip(NEXT) | instid1(VALU_DEP_2)
	v_subrev_co_ci_u32_e64 v8, s3, s5, v8, s3
	v_add_co_u32 v7, s3, v7, 16
	s_delay_alu instid0(VALU_DEP_1) | instskip(NEXT) | instid1(VALU_DEP_1)
	v_add_co_ci_u32_e64 v8, s3, 0, v8, s3
	v_dual_cndmask_b32 v40, v7, v5 :: v_dual_cndmask_b32 v41, v8, v6
	s_branch .LBB48_126
.LBB48_109:
	s_mov_b32 s6, exec_lo
	v_cmpx_eq_u32_e64 v18, v4
	s_cbranch_execz .LBB48_111
; %bb.110:
	v_mul_u32_u24_e32 v8, 34, v4
	v_mov_b32_e32 v7, 0
	s_delay_alu instid0(VALU_DEP_1)
	v_dual_mov_b32 v8, v7 :: v_dual_lshlrev_b32 v9, 4, v8
	ds_store_b64 v9, v[7:8] offset:8
.LBB48_111:
	s_or_b32 exec_lo, exec_lo, s6
	s_and_not1_saveexec_b32 s2, s2
	s_cbranch_execz .LBB48_82
.LBB48_112:
	ds_load_b128 v[7:10], v15
	s_waitcnt lgkmcnt(0)
	v_xor_b32_e32 v10, 0x80000000, v10
	ds_store_b128 v16, v[7:10]
	s_or_b32 exec_lo, exec_lo, s2
	s_and_saveexec_b32 s2, s3
	s_delay_alu instid0(SALU_CYCLE_1)
	s_xor_b32 s2, exec_lo, s2
	s_cbranch_execz .LBB48_83
.LBB48_113:
	ds_load_b128 v[7:10], v45
                                        ; implicit-def: $vgpr17
	s_waitcnt lgkmcnt(0)
	v_xor_b32_e32 v10, 0x80000000, v10
	ds_store_b128 v16, v[7:10] offset:16
	s_and_not1_saveexec_b32 s2, s2
	s_cbranch_execz .LBB48_84
.LBB48_114:
	s_mov_b32 s3, exec_lo
	v_cmpx_eq_u32_e64 v17, v4
	s_cbranch_execz .LBB48_116
; %bb.115:
	v_mul_u32_u24_e32 v8, 34, v4
	v_mov_b32_e32 v7, 0
	s_delay_alu instid0(VALU_DEP_1)
	v_dual_mov_b32 v8, v7 :: v_dual_lshlrev_b32 v9, 4, v8
	ds_store_b64 v9, v[7:8] offset:8
.LBB48_116:
	s_or_b32 exec_lo, exec_lo, s3
	s_delay_alu instid0(SALU_CYCLE_1) | instskip(SKIP_1) | instid1(SALU_CYCLE_1)
	s_or_b32 exec_lo, exec_lo, s2
	s_and_saveexec_b32 s2, s4
	s_xor_b32 s2, exec_lo, s2
	s_cbranch_execz .LBB48_85
.LBB48_117:
	s_mov_b32 s3, exec_lo
	v_cmpx_eq_u32_e64 v19, v4
	s_cbranch_execz .LBB48_119
; %bb.118:
	v_mul_u32_u24_e32 v8, 34, v4
	v_mov_b32_e32 v7, 0
	s_delay_alu instid0(VALU_DEP_1)
	v_dual_mov_b32 v8, v7 :: v_dual_lshlrev_b32 v9, 4, v8
	ds_store_b64 v9, v[7:8] offset:8
.LBB48_119:
	s_or_b32 exec_lo, exec_lo, s3
	s_and_not1_saveexec_b32 s2, s2
	s_cbranch_execz .LBB48_86
.LBB48_120:
	ds_load_b128 v[7:10], v45 offset:528
	s_waitcnt lgkmcnt(0)
	v_xor_b32_e32 v10, 0x80000000, v10
	ds_store_b128 v16, v[7:10] offset:32
	s_or_b32 exec_lo, exec_lo, s2
	s_and_saveexec_b32 s2, s5
	s_delay_alu instid0(SALU_CYCLE_1)
	s_xor_b32 s2, exec_lo, s2
	s_cbranch_execz .LBB48_87
.LBB48_121:
	s_mov_b32 s3, exec_lo
	v_cmpx_eq_u32_e64 v20, v4
	s_cbranch_execz .LBB48_123
; %bb.122:
	v_mul_u32_u24_e32 v8, 34, v4
	v_mov_b32_e32 v7, 0
	s_delay_alu instid0(VALU_DEP_1)
	v_dual_mov_b32 v8, v7 :: v_dual_lshlrev_b32 v9, 4, v8
	ds_store_b64 v9, v[7:8] offset:8
.LBB48_123:
	s_or_b32 exec_lo, exec_lo, s3
                                        ; implicit-def: $vgpr16
	s_or_saveexec_b32 s2, s2
	v_add_nc_u32_e32 v17, 0x4700, v21
	s_xor_b32 exec_lo, exec_lo, s2
	s_cbranch_execnz .LBB48_88
	s_branch .LBB48_89
.LBB48_124:
                                        ; implicit-def: $vgpr40_vgpr41
                                        ; implicit-def: $vgpr16
                                        ; implicit-def: $vgpr9
                                        ; implicit-def: $vgpr10
	s_cbranch_execz .LBB48_126
; %bb.125:
	flat_load_b128 v[7:10], v[5:6]
	s_lshl_b64 s[4:5], s[12:13], 7
	v_add_lshl_u32 v22, v12, v4, 4
	v_add_co_u32 v12, vcc_lo, v5, s4
	v_add_co_ci_u32_e32 v13, vcc_lo, s5, v6, vcc_lo
	s_delay_alu instid0(VALU_DEP_3)
	v_add_nc_u32_e32 v4, 0x1080, v22
	v_dual_mov_b32 v41, v6 :: v_dual_add_nc_u32 v16, 8, v11
	v_mov_b32_e32 v40, v5
	s_waitcnt vmcnt(0) lgkmcnt(0)
	ds_store_2addr_b64 v22, v[7:8], v[9:10] offset1:1
	flat_load_b128 v[7:10], v[12:13]
	v_add_co_u32 v12, vcc_lo, v12, s4
	v_add_co_ci_u32_e32 v13, vcc_lo, s5, v13, vcc_lo
	s_waitcnt vmcnt(0) lgkmcnt(0)
	ds_store_2addr_b64 v4, v[7:8], v[9:10] offset1:1
	flat_load_b128 v[7:10], v[12:13]
	v_mad_u64_u32 v[12:13], null, 0x180, s12, v[5:6]
	s_delay_alu instid0(VALU_DEP_1) | instskip(NEXT) | instid1(VALU_DEP_1)
	v_mov_b32_e32 v4, v13
	v_mad_u64_u32 v[18:19], null, 0x180, s13, v[4:5]
	s_delay_alu instid0(VALU_DEP_1)
	v_dual_mov_b32 v13, v18 :: v_dual_add_nc_u32 v4, 0x2100, v22
	s_waitcnt vmcnt(0) lgkmcnt(0)
	ds_store_2addr_b64 v4, v[7:8], v[9:10] offset1:1
	flat_load_b128 v[18:21], v[12:13]
	v_add_nc_u32_e32 v9, 16, v11
	v_add_nc_u32_e32 v10, 24, v11
	;; [unrolled: 1-line block ×3, first 2 shown]
	s_waitcnt vmcnt(0) lgkmcnt(0)
	ds_store_2addr_b64 v4, v[18:19], v[20:21] offset1:1
.LBB48_126:
	v_lshlrev_b32_e32 v8, 4, v11
	s_waitcnt lgkmcnt(0)
	s_barrier
	buffer_gl0_inv
	ds_load_b128 v[4:7], v44
	ds_load_b128 v[18:21], v8 offset:18176
	v_add_lshl_u32 v8, v16, v14, 4
	v_lshlrev_b32_e32 v13, 4, v16
	ds_load_b128 v[22:25], v8
	ds_load_b128 v[26:29], v13 offset:18176
	v_lshlrev_b32_e32 v8, 4, v9
	s_waitcnt lgkmcnt(2)
	v_mul_f64 v[11:12], v[6:7], v[20:21]
	v_mul_f64 v[6:7], v[6:7], v[18:19]
	s_waitcnt lgkmcnt(0)
	v_mul_f64 v[30:31], v[24:25], v[28:29]
	v_mul_f64 v[24:25], v[24:25], v[26:27]
	s_delay_alu instid0(VALU_DEP_4) | instskip(NEXT) | instid1(VALU_DEP_4)
	v_fma_f64 v[11:12], v[4:5], v[18:19], v[11:12]
	v_fma_f64 v[32:33], v[4:5], v[20:21], -v[6:7]
	v_add_lshl_u32 v4, v9, v14, 4
	ds_load_b128 v[4:7], v4
	ds_load_b128 v[18:21], v8 offset:18176
	v_fma_f64 v[26:27], v[22:23], v[26:27], v[30:31]
	v_fma_f64 v[22:23], v[22:23], v[28:29], -v[24:25]
	s_waitcnt lgkmcnt(0)
	v_mul_f64 v[34:35], v[6:7], v[20:21]
	v_mul_f64 v[46:47], v[6:7], v[18:19]
	v_add_lshl_u32 v6, v10, v14, 4
	v_lshlrev_b32_e32 v10, 4, v10
	v_add_f64 v[24:25], v[11:12], 0
	v_add_f64 v[28:29], v[32:33], 0
	ds_load_b128 v[6:9], v6
	ds_load_b128 v[10:13], v10 offset:18176
	s_waitcnt lgkmcnt(0)
	v_mul_f64 v[30:31], v[8:9], v[12:13]
	v_mul_f64 v[8:9], v[8:9], v[10:11]
	v_fma_f64 v[18:19], v[4:5], v[18:19], v[34:35]
	v_fma_f64 v[4:5], v[4:5], v[20:21], -v[46:47]
	v_add_f64 v[20:21], v[24:25], v[26:27]
	v_add_f64 v[22:23], v[28:29], v[22:23]
	v_fma_f64 v[10:11], v[6:7], v[10:11], v[30:31]
	v_fma_f64 v[6:7], v[6:7], v[12:13], -v[8:9]
	s_delay_alu instid0(VALU_DEP_4) | instskip(NEXT) | instid1(VALU_DEP_4)
	v_add_f64 v[8:9], v[20:21], v[18:19]
	v_add_f64 v[4:5], v[22:23], v[4:5]
	s_delay_alu instid0(VALU_DEP_2) | instskip(NEXT) | instid1(VALU_DEP_2)
	v_add_f64 v[46:47], v[8:9], v[10:11]
	v_add_f64 v[48:49], v[4:5], v[6:7]
	ds_load_b128 v[20:23], v17 offset:528
	ds_load_b128 v[8:11], v17 offset:544
	;; [unrolled: 1-line block ×3, first 2 shown]
	ds_load_b128 v[32:35], v15
	ds_load_b128 v[4:7], v17 offset:560
	ds_load_b128 v[24:27], v45
	ds_load_b128 v[16:19], v45 offset:528
	ds_load_b128 v[12:15], v45 offset:1056
	s_waitcnt lgkmcnt(0)
	s_barrier
	buffer_gl0_inv
	ds_store_b128 v44, v[46:49]
	s_waitcnt lgkmcnt(0)
	s_barrier
	buffer_gl0_inv
	s_and_saveexec_b32 s3, s2
	s_cbranch_execz .LBB48_128
; %bb.127:
	ds_load_b128 v[45:48], v43
	ds_load_b128 v[49:52], v43 offset:16
	s_waitcnt lgkmcnt(1)
	v_add_f64 v[0:1], v[0:1], v[45:46]
	v_add_f64 v[2:3], v[2:3], v[47:48]
	s_waitcnt lgkmcnt(0)
	s_delay_alu instid0(VALU_DEP_2) | instskip(NEXT) | instid1(VALU_DEP_2)
	v_add_f64 v[49:50], v[0:1], v[49:50]
	v_add_f64 v[51:52], v[2:3], v[51:52]
	ds_load_b128 v[0:3], v43 offset:32
	ds_load_b128 v[45:48], v43 offset:48
	s_waitcnt lgkmcnt(1)
	v_add_f64 v[0:1], v[49:50], v[0:1]
	v_add_f64 v[2:3], v[51:52], v[2:3]
	s_waitcnt lgkmcnt(0)
	s_delay_alu instid0(VALU_DEP_2) | instskip(NEXT) | instid1(VALU_DEP_2)
	v_add_f64 v[49:50], v[0:1], v[45:46]
	v_add_f64 v[51:52], v[2:3], v[47:48]
	ds_load_b128 v[0:3], v43 offset:64
	;; [unrolled: 9-line block ×3, first 2 shown]
	ds_load_b128 v[45:48], v43 offset:112
	s_waitcnt lgkmcnt(1)
	v_add_f64 v[0:1], v[49:50], v[0:1]
	v_add_f64 v[2:3], v[51:52], v[2:3]
	s_waitcnt lgkmcnt(0)
	s_delay_alu instid0(VALU_DEP_2) | instskip(NEXT) | instid1(VALU_DEP_2)
	v_add_f64 v[0:1], v[0:1], v[45:46]
	v_add_f64 v[2:3], v[2:3], v[47:48]
.LBB48_128:
	s_or_b32 exec_lo, exec_lo, s3
	v_mul_f64 v[45:46], v[30:31], v[34:35]
	v_mul_f64 v[34:35], v[28:29], v[34:35]
	;; [unrolled: 1-line block ×4, first 2 shown]
	s_barrier
	buffer_gl0_inv
	v_fma_f64 v[28:29], v[28:29], v[32:33], -v[45:46]
	v_fma_f64 v[30:31], v[30:31], v[32:33], v[34:35]
	v_mul_f64 v[32:33], v[10:11], v[18:19]
	v_mul_f64 v[18:19], v[8:9], v[18:19]
	v_fma_f64 v[20:21], v[20:21], v[24:25], -v[47:48]
	v_fma_f64 v[22:23], v[22:23], v[24:25], v[26:27]
	v_add_f64 v[24:25], v[28:29], 0
	v_add_f64 v[26:27], v[30:31], 0
	v_mul_f64 v[28:29], v[6:7], v[14:15]
	v_mul_f64 v[14:15], v[4:5], v[14:15]
	v_fma_f64 v[8:9], v[8:9], v[16:17], -v[32:33]
	v_fma_f64 v[10:11], v[10:11], v[16:17], v[18:19]
	v_add_f64 v[16:17], v[24:25], v[20:21]
	v_add_f64 v[18:19], v[26:27], v[22:23]
	v_fma_f64 v[4:5], v[4:5], v[12:13], -v[28:29]
	v_fma_f64 v[6:7], v[6:7], v[12:13], v[14:15]
	s_delay_alu instid0(VALU_DEP_4) | instskip(NEXT) | instid1(VALU_DEP_4)
	v_add_f64 v[8:9], v[16:17], v[8:9]
	v_add_f64 v[10:11], v[18:19], v[10:11]
	s_delay_alu instid0(VALU_DEP_2) | instskip(NEXT) | instid1(VALU_DEP_2)
	v_add_f64 v[4:5], v[8:9], v[4:5]
	v_add_f64 v[6:7], v[10:11], v[6:7]
	ds_store_b128 v44, v[4:7]
	s_waitcnt lgkmcnt(0)
	s_barrier
	buffer_gl0_inv
	s_and_saveexec_b32 s2, s1
	s_cbranch_execz .LBB48_130
; %bb.129:
	ds_load_b128 v[4:7], v43
	ds_load_b128 v[8:11], v43 offset:16
	s_waitcnt lgkmcnt(1)
	v_add_f64 v[0:1], v[0:1], v[4:5]
	v_add_f64 v[2:3], v[2:3], v[6:7]
	s_waitcnt lgkmcnt(0)
	s_delay_alu instid0(VALU_DEP_2) | instskip(NEXT) | instid1(VALU_DEP_2)
	v_add_f64 v[8:9], v[0:1], v[8:9]
	v_add_f64 v[10:11], v[2:3], v[10:11]
	ds_load_b128 v[0:3], v43 offset:32
	ds_load_b128 v[4:7], v43 offset:48
	s_waitcnt lgkmcnt(1)
	v_add_f64 v[0:1], v[8:9], v[0:1]
	v_add_f64 v[2:3], v[10:11], v[2:3]
	s_waitcnt lgkmcnt(0)
	s_delay_alu instid0(VALU_DEP_2) | instskip(NEXT) | instid1(VALU_DEP_2)
	v_add_f64 v[8:9], v[0:1], v[4:5]
	v_add_f64 v[10:11], v[2:3], v[6:7]
	ds_load_b128 v[0:3], v43 offset:64
	;; [unrolled: 9-line block ×3, first 2 shown]
	ds_load_b128 v[4:7], v43 offset:112
	s_waitcnt lgkmcnt(1)
	v_add_f64 v[0:1], v[8:9], v[0:1]
	v_add_f64 v[2:3], v[10:11], v[2:3]
	s_waitcnt lgkmcnt(0)
	s_delay_alu instid0(VALU_DEP_2) | instskip(NEXT) | instid1(VALU_DEP_2)
	v_add_f64 v[0:1], v[0:1], v[4:5]
	v_add_f64 v[2:3], v[2:3], v[6:7]
.LBB48_130:
	s_or_b32 exec_lo, exec_lo, s2
	s_mul_hi_u32 s1, s24, s18
	s_mul_i32 s25, s25, s18
	s_mul_i32 s2, s24, s18
	s_add_i32 s1, s1, s25
	s_mul_hi_u32 s3, s2, s7
	s_mul_i32 s1, s1, s7
	s_mul_i32 s2, s2, s7
	s_add_i32 s3, s3, s1
	s_mul_hi_i32 s5, s24, s14
	s_lshl_b64 s[2:3], s[2:3], 4
	s_mul_i32 s4, s24, s14
	s_add_u32 s1, s20, s2
	s_addc_u32 s11, s21, s3
	s_lshl_b64 s[2:3], s[4:5], 4
	v_lshlrev_b32_e32 v185, 4, v183
	s_add_u32 s6, s1, s2
	s_addc_u32 s11, s11, s3
	s_add_i32 s1, s14, 1
	s_delay_alu instid0(SALU_CYCLE_1)
	s_cmp_ge_u32 s1, s7
	s_barrier
	buffer_gl0_inv
	s_cbranch_scc1 .LBB48_188
; %bb.131:
	scratch_load_b32 v7, off, off offset:4  ; 4-byte Folded Reload
	v_and_b32_e32 v10, 48, v183
	v_lshrrev_b32_e32 v12, 4, v42
	v_and_b32_e32 v11, 15, v183
	v_or_b32_e32 v5, 0xf0, v185
	s_mul_i32 s1, s16, s9
	v_lshlrev_b32_e32 v4, 4, v10
	v_lshlrev_b32_e32 v6, 6, v12
	s_mul_hi_u32 s2, s16, s8
	s_mul_i32 s3, s17, s8
	s_add_i32 s1, s2, s1
	v_mad_u32_u24 v191, 0x430, v11, v4
	v_mad_u32_u24 v4, 0x430, v11, v5
	;; [unrolled: 1-line block ×3, first 2 shown]
	s_add_i32 s3, s1, s3
	s_mul_i32 s2, s16, s8
	v_mul_i32_i24_e32 v16, 0xffffffd0, v12
	scratch_store_b32 off, v4, off          ; 4-byte Folded Spill
	s_lshl_b64 s[2:3], s[2:3], 4
	v_cmp_gt_u32_e64 s1, 64, v42
	v_sub_co_u32 v187, vcc_lo, v38, s2
	v_subrev_co_ci_u32_e32 v188, vcc_lo, s3, v39, vcc_lo
	v_add_nc_u32_e32 v244, v193, v16
	s_add_i32 s17, s7, -2
	s_add_i32 s16, s16, 64
	s_lshl_b64 s[4:5], s[12:13], 10
	s_waitcnt vmcnt(0)
	v_lshlrev_b32_e32 v15, 6, v7
	v_mad_u32_u24 v198, 0x10c0, v7, v185
	s_delay_alu instid0(VALU_DEP_2) | instskip(NEXT) | instid1(VALU_DEP_1)
	v_add_nc_u32_e32 v13, 0x220, v15
	v_mad_u64_u32 v[5:6], null, s12, v13, 0
	s_delay_alu instid0(VALU_DEP_1) | instskip(SKIP_1) | instid1(VALU_DEP_2)
	v_mov_b32_e32 v4, v6
	v_or_b32_e32 v211, v10, v11
	v_mad_u64_u32 v[8:9], null, s13, v13, v[4:5]
	v_mov_b32_e32 v4, 0
	v_add_nc_u32_e32 v14, 0x530, v15
	v_add_nc_u32_e32 v13, 0x210, v15
	;; [unrolled: 1-line block ×5, first 2 shown]
	s_delay_alu instid0(VALU_DEP_4) | instskip(SKIP_2) | instid1(VALU_DEP_1)
	v_mad_u64_u32 v[9:10], null, s12, v13, 0
	v_lshlrev_b32_e32 v186, 2, v7
	v_mad_u64_u32 v[6:7], null, s12, v14, 0
	v_mad_u64_u32 v[11:12], null, s13, v14, v[7:8]
	v_sub_co_u32 v7, vcc_lo, v5, v36
	v_mov_b32_e32 v5, v10
	v_sub_co_ci_u32_e32 v8, vcc_lo, v8, v37, vcc_lo
	s_delay_alu instid0(VALU_DEP_4) | instskip(NEXT) | instid1(VALU_DEP_4)
	v_dual_mov_b32 v14, v11 :: v_dual_add_nc_u32 v197, 0x4300, v15
	v_add_co_u32 v212, vcc_lo, v40, v7
	v_add_nc_u32_e32 v12, 0x500, v15
	s_delay_alu instid0(VALU_DEP_4) | instskip(SKIP_2) | instid1(VALU_DEP_4)
	v_add_co_ci_u32_e32 v213, vcc_lo, v41, v8, vcc_lo
	v_mad_u64_u32 v[7:8], null, s13, v13, v[5:6]
	v_sub_co_u32 v5, vcc_lo, v6, v36
	v_mad_u64_u32 v[10:11], null, s12, v12, 0
	v_sub_co_ci_u32_e32 v6, vcc_lo, v14, v37, vcc_lo
	s_delay_alu instid0(VALU_DEP_3) | instskip(SKIP_1) | instid1(VALU_DEP_3)
	v_add_co_u32 v214, vcc_lo, v40, v5
	v_dual_mov_b32 v8, v7 :: v_dual_add_nc_u32 v253, 16, v186
	v_add_co_ci_u32_e32 v215, vcc_lo, v41, v6, vcc_lo
	v_mad_u64_u32 v[6:7], null, s12, v17, 0
	v_mov_b32_e32 v5, v11
	v_sub_co_u32 v13, vcc_lo, v9, v36
	v_sub_co_ci_u32_e32 v14, vcc_lo, v8, v37, vcc_lo
	v_or_b32_e32 v189, 1, v186
	s_delay_alu instid0(VALU_DEP_4) | instskip(SKIP_3) | instid1(VALU_DEP_4)
	v_mad_u64_u32 v[8:9], null, s13, v12, v[5:6]
	v_mad_u64_u32 v[11:12], null, s12, v18, 0
	v_mov_b32_e32 v5, v7
	v_add_co_u32 v216, vcc_lo, v40, v13
	v_dual_mov_b32 v7, v8 :: v_dual_add_nc_u32 v190, 0x4700, v185
	v_add_co_ci_u32_e32 v217, vcc_lo, v41, v14, vcc_lo
	s_delay_alu instid0(VALU_DEP_4) | instskip(SKIP_3) | instid1(VALU_DEP_3)
	v_mad_u64_u32 v[13:14], null, s13, v17, v[5:6]
	v_dual_mov_b32 v5, v12 :: v_dual_add_nc_u32 v14, 0x230, v15
	v_sub_co_u32 v10, vcc_lo, v10, v36
	v_sub_co_ci_u32_e32 v12, vcc_lo, v7, v37, vcc_lo
	v_mad_u64_u32 v[7:8], null, s13, v18, v[5:6]
	s_delay_alu instid0(VALU_DEP_4) | instskip(NEXT) | instid1(VALU_DEP_4)
	v_mad_u64_u32 v[8:9], null, s12, v14, 0
	v_add_co_u32 v218, vcc_lo, v40, v10
	s_delay_alu instid0(VALU_DEP_4)
	v_add_co_ci_u32_e32 v219, vcc_lo, v41, v12, vcc_lo
	v_sub_co_u32 v12, vcc_lo, v6, v36
	v_mov_b32_e32 v6, v7
	v_dual_mov_b32 v5, v9 :: v_dual_add_nc_u32 v254, 17, v186
	v_sub_co_ci_u32_e32 v13, vcc_lo, v13, v37, vcc_lo
	v_sub_co_u32 v11, vcc_lo, v11, v36
	v_add_nc_u32_e32 v17, 0x320, v15
	v_sub_co_ci_u32_e32 v18, vcc_lo, v6, v37, vcc_lo
	v_mad_u64_u32 v[6:7], null, s13, v14, v[5:6]
	v_add_co_u32 v220, vcc_lo, v40, v12
	v_add_co_ci_u32_e32 v221, vcc_lo, v41, v13, vcc_lo
	v_mad_u64_u32 v[9:10], null, s12, v17, 0
	v_add_co_u32 v222, vcc_lo, v40, v11
	v_add_nc_u32_e32 v12, 0x520, v15
	v_add_co_ci_u32_e32 v223, vcc_lo, v41, v18, vcc_lo
	v_sub_co_u32 v8, vcc_lo, v8, v36
	v_sub_co_ci_u32_e32 v13, vcc_lo, v6, v37, vcc_lo
	s_delay_alu instid0(VALU_DEP_4) | instskip(SKIP_4) | instid1(VALU_DEP_4)
	v_mad_u64_u32 v[6:7], null, s12, v12, 0
	v_dual_mov_b32 v5, v10 :: v_dual_add_nc_u32 v184, 19, v186
	v_add_nc_u32_e32 v14, 0x430, v15
	v_add_nc_u32_e32 v204, 33, v186
	v_add_co_u32 v224, vcc_lo, v40, v8
	v_mad_u64_u32 v[10:11], null, s13, v17, v[5:6]
	v_mov_b32_e32 v5, v7
	v_mad_u64_u32 v[7:8], null, s12, v14, 0
	v_add_nc_u32_e32 v206, 35, v186
	v_add_co_ci_u32_e32 v225, vcc_lo, v41, v13, vcc_lo
	v_mov_b32_e32 v13, v10
	v_mad_u64_u32 v[10:11], null, s13, v12, v[5:6]
	v_sub_co_u32 v9, vcc_lo, v9, v36
	s_delay_alu instid0(VALU_DEP_3) | instskip(SKIP_1) | instid1(VALU_DEP_3)
	v_sub_co_ci_u32_e32 v11, vcc_lo, v13, v37, vcc_lo
	v_dual_mov_b32 v5, v8 :: v_dual_add_nc_u32 v12, 0x310, v15
	v_add_co_u32 v226, vcc_lo, v40, v9
	v_add_nc_u32_e32 v208, 49, v186
	s_delay_alu instid0(VALU_DEP_4) | instskip(SKIP_4) | instid1(VALU_DEP_4)
	v_add_co_ci_u32_e32 v227, vcc_lo, v41, v11, vcc_lo
	v_mov_b32_e32 v11, v10
	v_mad_u64_u32 v[8:9], null, s13, v14, v[5:6]
	v_mad_u64_u32 v[9:10], null, s12, v12, 0
	v_sub_co_u32 v5, vcc_lo, v6, v36
	v_sub_co_ci_u32_e32 v6, vcc_lo, v11, v37, vcc_lo
	v_add_nc_u32_e32 v13, 0x400, v15
	s_delay_alu instid0(VALU_DEP_3)
	v_add_co_u32 v228, vcc_lo, v40, v5
	v_add_nc_u32_e32 v255, 18, v186
	v_dual_mov_b32 v5, v10 :: v_dual_add_nc_u32 v210, 51, v186
	v_add_co_ci_u32_e32 v229, vcc_lo, v41, v6, vcc_lo
	v_mov_b32_e32 v6, v8
	v_mad_u64_u32 v[10:11], null, s12, v13, 0
	v_add_nc_u32_e32 v18, 0x300, v15
	v_sub_co_u32 v14, vcc_lo, v7, v36
	s_delay_alu instid0(VALU_DEP_4) | instskip(SKIP_1) | instid1(VALU_DEP_4)
	v_sub_co_ci_u32_e32 v17, vcc_lo, v6, v37, vcc_lo
	v_mad_u64_u32 v[6:7], null, s13, v12, v[5:6]
	v_mad_u64_u32 v[7:8], null, s12, v18, 0
	v_mov_b32_e32 v5, v11
	v_add_co_u32 v230, vcc_lo, v40, v14
	v_add_nc_u32_e32 v14, 0x410, v15
	v_add_co_ci_u32_e32 v231, vcc_lo, v41, v17, vcc_lo
	s_delay_alu instid0(VALU_DEP_4) | instskip(SKIP_3) | instid1(VALU_DEP_3)
	v_mad_u64_u32 v[11:12], null, s13, v13, v[5:6]
	v_mov_b32_e32 v5, v8
	v_sub_co_u32 v12, vcc_lo, v9, v36
	v_sub_co_ci_u32_e32 v13, vcc_lo, v6, v37, vcc_lo
	v_mad_u64_u32 v[8:9], null, s13, v18, v[5:6]
	v_mad_u64_u32 v[5:6], null, s12, v14, 0
	s_delay_alu instid0(VALU_DEP_4)
	v_add_co_u32 v232, vcc_lo, v40, v12
	v_add_nc_u32_e32 v15, 0x420, v15
	v_add_co_ci_u32_e32 v233, vcc_lo, v41, v13, vcc_lo
	v_sub_co_u32 v13, vcc_lo, v10, v36
	v_dual_mov_b32 v18, v8 :: v_dual_add_nc_u32 v203, 32, v186
	v_mad_u64_u32 v[8:9], null, s13, v14, v[6:7]
	v_sub_co_ci_u32_e32 v17, vcc_lo, v11, v37, vcc_lo
	v_mad_u64_u32 v[9:10], null, s12, v19, 0
	v_mad_u64_u32 v[11:12], null, s12, v15, 0
	v_add_co_u32 v234, vcc_lo, v40, v13
	s_delay_alu instid0(VALU_DEP_4) | instskip(NEXT) | instid1(VALU_DEP_4)
	v_add_co_ci_u32_e32 v235, vcc_lo, v41, v17, vcc_lo
	v_dual_mov_b32 v6, v10 :: v_dual_add_nc_u32 v205, 34, v186
	v_sub_co_u32 v14, vcc_lo, v7, v36
	v_mov_b32_e32 v7, v12
	v_sub_co_ci_u32_e32 v17, vcc_lo, v18, v37, vcc_lo
	v_sub_co_u32 v10, vcc_lo, v5, v36
	s_delay_alu instid0(VALU_DEP_3) | instskip(SKIP_3) | instid1(VALU_DEP_3)
	v_mad_u64_u32 v[12:13], null, s13, v19, v[6:7]
	v_sub_co_ci_u32_e32 v8, vcc_lo, v8, v37, vcc_lo
	v_add_co_u32 v236, vcc_lo, v40, v14
	v_add_co_ci_u32_e32 v237, vcc_lo, v41, v17, vcc_lo
	v_mad_u64_u32 v[5:6], null, s13, v15, v[7:8]
	v_dual_mov_b32 v6, v12 :: v_dual_add_nc_u32 v207, 48, v186
	v_add_co_u32 v238, vcc_lo, v40, v10
	v_add_co_ci_u32_e32 v239, vcc_lo, v41, v8, vcc_lo
	v_sub_co_u32 v7, vcc_lo, v9, v36
	s_delay_alu instid0(VALU_DEP_4) | instskip(SKIP_2) | instid1(VALU_DEP_4)
	v_sub_co_ci_u32_e32 v6, vcc_lo, v6, v37, vcc_lo
	v_sub_co_u32 v8, vcc_lo, v11, v36
	v_sub_co_ci_u32_e32 v5, vcc_lo, v5, v37, vcc_lo
	v_add_co_u32 v240, vcc_lo, v40, v7
	s_delay_alu instid0(VALU_DEP_4) | instskip(NEXT) | instid1(VALU_DEP_4)
	v_add_co_ci_u32_e32 v241, vcc_lo, v41, v6, vcc_lo
	v_add_co_u32 v242, vcc_lo, v40, v8
	v_or_b32_e32 v192, 2, v186
	v_or_b32_e32 v196, 3, v186
	v_add_nc_u32_e32 v209, 50, v186
	v_add_co_ci_u32_e32 v243, vcc_lo, v41, v5, vcc_lo
	s_cmp_eq_u32 s17, s14
	s_cselect_b32 s12, s15, 0
	s_and_saveexec_b32 s2, s0
	s_cbranch_execz .LBB48_136
.LBB48_132:
	v_cmp_le_i32_e32 vcc_lo, s12, v183
	s_cmp_lg_u32 s12, 0
	s_cselect_b32 s3, -1, 0
	s_delay_alu instid0(SALU_CYCLE_1) | instskip(NEXT) | instid1(SALU_CYCLE_1)
	s_and_b32 s3, s3, vcc_lo
	s_and_saveexec_b32 s13, s3
	s_delay_alu instid0(SALU_CYCLE_1)
	s_xor_b32 s3, exec_lo, s13
	s_cbranch_execz .LBB48_134
; %bb.133:
	v_dual_mov_b32 v5, v4 :: v_dual_add_nc_u32 v8, 0x4300, v185
	v_mov_b32_e32 v6, v4
	v_mov_b32_e32 v7, v4
	ds_store_b128 v8, v[4:7]
.LBB48_134:
	s_and_not1_saveexec_b32 s3, s3
	s_cbranch_execz .LBB48_136
; %bb.135:
	s_mul_i32 s3, s16, s9
	s_mul_hi_u32 s13, s16, s8
	s_ashr_i32 s18, s16, 31
	s_add_i32 s3, s13, s3
	s_mul_i32 s18, s18, s8
	s_mul_i32 s20, s16, s8
	s_add_i32 s21, s3, s18
	v_add_nc_u32_e32 v9, 0x4300, v185
	s_lshl_b64 s[20:21], s[20:21], 4
	s_delay_alu instid0(SALU_CYCLE_1)
	v_add_co_u32 v5, vcc_lo, v187, s20
	v_add_co_ci_u32_e32 v6, vcc_lo, s21, v188, vcc_lo
	flat_load_b128 v[5:8], v[5:6]
	s_waitcnt vmcnt(0) lgkmcnt(0)
	ds_store_2addr_b64 v9, v[5:6], v[7:8] offset1:1
.LBB48_136:                             ; =>This Inner Loop Header: Depth=1
	s_or_b32 exec_lo, exec_lo, s2
	s_cmp_eq_u32 s12, 0
	v_add_co_u32 v17, vcc_lo, v220, v185
	s_cselect_b32 s13, -1, 0
	s_cmp_lg_u32 s12, 0
	v_add_co_ci_u32_e32 v18, vcc_lo, 0, v221, vcc_lo
	s_cselect_b32 s18, -1, 0
	s_waitcnt lgkmcnt(0)
	s_waitcnt_vscnt null, 0x0
	s_and_b32 vcc_lo, exec_lo, s18
	s_barrier
	buffer_gl0_inv
	s_cbranch_vccz .LBB48_144
; %bb.137:                              ;   in Loop: Header=BB48_136 Depth=1
	v_mov_b32_e32 v5, 0
	v_mov_b32_e32 v6, 0
	s_mov_b32 s2, exec_lo
	s_delay_alu instid0(VALU_DEP_1)
	v_dual_mov_b32 v10, v6 :: v_dual_mov_b32 v9, v5
	v_dual_mov_b32 v12, v6 :: v_dual_mov_b32 v11, v5
	v_cmpx_gt_i32_e64 s12, v186
	s_cbranch_execz .LBB48_139
; %bb.138:                              ;   in Loop: Header=BB48_136 Depth=1
	flat_load_b128 v[9:12], v[17:18]
.LBB48_139:                             ;   in Loop: Header=BB48_136 Depth=1
	s_or_b32 exec_lo, exec_lo, s2
	v_dual_mov_b32 v8, v6 :: v_dual_mov_b32 v7, v5
	s_mov_b32 s2, exec_lo
	v_cmpx_gt_i32_e64 s12, v189
	s_cbranch_execz .LBB48_141
; %bb.140:                              ;   in Loop: Header=BB48_136 Depth=1
	v_add_co_u32 v5, vcc_lo, v216, v185
	v_add_co_ci_u32_e32 v6, vcc_lo, 0, v217, vcc_lo
	flat_load_b128 v[5:8], v[5:6]
.LBB48_141:                             ;   in Loop: Header=BB48_136 Depth=1
	s_or_b32 exec_lo, exec_lo, s2
	v_mov_b32_e32 v13, 0
	v_mov_b32_e32 v14, 0
	s_mov_b64 s[2:3], 0
	s_mov_b32 s20, exec_lo
	s_delay_alu instid0(VALU_DEP_1)
	v_dual_mov_b32 v16, v14 :: v_dual_mov_b32 v15, v13
	v_cmpx_gt_i32_e64 s12, v192
	s_cbranch_execz .LBB48_143
; %bb.142:                              ;   in Loop: Header=BB48_136 Depth=1
	v_add_co_u32 v13, vcc_lo, v212, v185
	v_add_co_ci_u32_e32 v14, vcc_lo, 0, v213, vcc_lo
	flat_load_b128 v[13:16], v[13:14]
.LBB48_143:                             ;   in Loop: Header=BB48_136 Depth=1
	s_or_b32 exec_lo, exec_lo, s20
	v_cmp_gt_i32_e64 s20, s12, v196
	s_branch .LBB48_146
.LBB48_144:                             ;   in Loop: Header=BB48_136 Depth=1
	s_mov_b32 s20, 0
                                        ; implicit-def: $sgpr2_sgpr3
                                        ; implicit-def: $vgpr15_vgpr16
                                        ; implicit-def: $vgpr7_vgpr8
                                        ; implicit-def: $vgpr11_vgpr12
	s_cbranch_execz .LBB48_146
; %bb.145:                              ;   in Loop: Header=BB48_136 Depth=1
	s_waitcnt vmcnt(0) lgkmcnt(0)
	v_add_co_u32 v5, vcc_lo, v216, v185
	v_add_co_ci_u32_e32 v6, vcc_lo, 0, v217, vcc_lo
	v_add_co_u32 v13, vcc_lo, v212, v185
	v_add_co_ci_u32_e32 v14, vcc_lo, 0, v213, vcc_lo
	flat_load_b128 v[9:12], v[17:18]
	flat_load_b128 v[5:8], v[5:6]
	;; [unrolled: 1-line block ×3, first 2 shown]
	s_or_b32 s20, s20, exec_lo
                                        ; implicit-def: $sgpr2_sgpr3
.LBB48_146:                             ;   in Loop: Header=BB48_136 Depth=1
	v_dual_mov_b32 v18, s3 :: v_dual_mov_b32 v17, s2
	v_dual_mov_b32 v20, s3 :: v_dual_mov_b32 v19, s2
	s_delay_alu instid0(VALU_DEP_3)
	s_and_saveexec_b32 s2, s20
	s_cbranch_execz .LBB48_148
; %bb.147:                              ;   in Loop: Header=BB48_136 Depth=1
	v_add_co_u32 v17, vcc_lo, v224, v185
	v_add_co_ci_u32_e32 v18, vcc_lo, 0, v225, vcc_lo
	flat_load_b128 v[17:20], v[17:18]
.LBB48_148:                             ;   in Loop: Header=BB48_136 Depth=1
	s_or_b32 exec_lo, exec_lo, s2
	ds_load_b128 v[25:28], v190
	ds_load_b128 v[21:24], v197
	v_add_co_u32 v49, vcc_lo, v236, v185
	v_cndmask_b32_e64 v117, 0, 1, s18
	v_add_co_ci_u32_e32 v50, vcc_lo, 0, v237, vcc_lo
	s_and_not1_b32 vcc_lo, exec_lo, s18
	s_waitcnt vmcnt(0) lgkmcnt(1)
	v_mul_f64 v[29:30], v[11:12], v[27:28]
	v_mul_f64 v[31:32], v[11:12], v[25:26]
	;; [unrolled: 1-line block ×8, first 2 shown]
	v_fma_f64 v[29:30], v[9:10], v[25:26], v[29:30]
	v_fma_f64 v[31:32], v[9:10], v[27:28], -v[31:32]
	v_fma_f64 v[37:38], v[5:6], v[25:26], v[33:34]
	v_fma_f64 v[39:40], v[5:6], v[27:28], -v[35:36]
	;; [unrolled: 2-line block ×4, first 2 shown]
	ds_store_b128 v198, v[29:32]
	ds_load_b128 v[33:36], v197 offset:16
	ds_store_b128 v198, v[37:40] offset:1072
	ds_load_b128 v[29:32], v197 offset:32
	ds_store_b128 v198, v[41:44] offset:2144
	;; [unrolled: 2-line block ×3, first 2 shown]
	s_waitcnt lgkmcnt(0)
	s_barrier
	buffer_gl0_inv
	ds_load_b128 v[93:96], v193
	ds_load_b128 v[89:92], v193 offset:16
	ds_load_b128 v[81:84], v193 offset:32
	;; [unrolled: 1-line block ×3, first 2 shown]
	s_waitcnt lgkmcnt(0)
	s_barrier
	buffer_gl0_inv
	s_cbranch_vccnz .LBB48_156
; %bb.149:                              ;   in Loop: Header=BB48_136 Depth=1
	v_mov_b32_e32 v37, 0
	v_mov_b32_e32 v38, 0
	s_mov_b32 s2, exec_lo
	s_delay_alu instid0(VALU_DEP_1)
	v_dual_mov_b32 v42, v38 :: v_dual_mov_b32 v41, v37
	v_dual_mov_b32 v44, v38 :: v_dual_mov_b32 v43, v37
	v_cmpx_gt_i32_e64 s12, v253
	s_cbranch_execz .LBB48_151
; %bb.150:                              ;   in Loop: Header=BB48_136 Depth=1
	flat_load_b128 v[41:44], v[49:50]
.LBB48_151:                             ;   in Loop: Header=BB48_136 Depth=1
	s_or_b32 exec_lo, exec_lo, s2
	v_dual_mov_b32 v40, v38 :: v_dual_mov_b32 v39, v37
	s_mov_b32 s2, exec_lo
	v_cmpx_gt_i32_e64 s12, v254
	s_cbranch_execz .LBB48_153
; %bb.152:                              ;   in Loop: Header=BB48_136 Depth=1
	v_add_co_u32 v37, vcc_lo, v232, v185
	v_add_co_ci_u32_e32 v38, vcc_lo, 0, v233, vcc_lo
	flat_load_b128 v[37:40], v[37:38]
.LBB48_153:                             ;   in Loop: Header=BB48_136 Depth=1
	s_or_b32 exec_lo, exec_lo, s2
	v_mov_b32_e32 v45, 0
	v_mov_b32_e32 v46, 0
	s_mov_b64 s[2:3], 0
	s_mov_b32 s18, exec_lo
	s_delay_alu instid0(VALU_DEP_1)
	v_dual_mov_b32 v48, v46 :: v_dual_mov_b32 v47, v45
	v_cmpx_gt_i32_e64 s12, v255
	s_cbranch_execz .LBB48_155
; %bb.154:                              ;   in Loop: Header=BB48_136 Depth=1
	v_add_co_u32 v45, vcc_lo, v226, v185
	v_add_co_ci_u32_e32 v46, vcc_lo, 0, v227, vcc_lo
	flat_load_b128 v[45:48], v[45:46]
.LBB48_155:                             ;   in Loop: Header=BB48_136 Depth=1
	s_or_b32 exec_lo, exec_lo, s18
	v_cmp_gt_i32_e64 s18, s12, v184
	s_branch .LBB48_158
.LBB48_156:                             ;   in Loop: Header=BB48_136 Depth=1
	s_mov_b32 s18, 0
                                        ; implicit-def: $sgpr2_sgpr3
                                        ; implicit-def: $vgpr47_vgpr48
                                        ; implicit-def: $vgpr39_vgpr40
                                        ; implicit-def: $vgpr43_vgpr44
	s_cbranch_execz .LBB48_158
; %bb.157:                              ;   in Loop: Header=BB48_136 Depth=1
	s_waitcnt vmcnt(0) lgkmcnt(0)
	v_add_co_u32 v37, vcc_lo, v232, v185
	v_add_co_ci_u32_e32 v38, vcc_lo, 0, v233, vcc_lo
	v_add_co_u32 v45, vcc_lo, v226, v185
	v_add_co_ci_u32_e32 v46, vcc_lo, 0, v227, vcc_lo
	flat_load_b128 v[41:44], v[49:50]
	flat_load_b128 v[37:40], v[37:38]
	flat_load_b128 v[45:48], v[45:46]
	s_or_b32 s18, s18, exec_lo
                                        ; implicit-def: $sgpr2_sgpr3
.LBB48_158:                             ;   in Loop: Header=BB48_136 Depth=1
	v_dual_mov_b32 v50, s3 :: v_dual_mov_b32 v49, s2
	v_dual_mov_b32 v52, s3 :: v_dual_mov_b32 v51, s2
	s_delay_alu instid0(VALU_DEP_3)
	s_and_saveexec_b32 s2, s18
	s_cbranch_execz .LBB48_160
; %bb.159:                              ;   in Loop: Header=BB48_136 Depth=1
	v_add_co_u32 v49, vcc_lo, v240, v185
	v_add_co_ci_u32_e32 v50, vcc_lo, 0, v241, vcc_lo
	flat_load_b128 v[49:52], v[49:50]
.LBB48_160:                             ;   in Loop: Header=BB48_136 Depth=1
	s_or_b32 exec_lo, exec_lo, s2
	ds_load_b128 v[57:60], v190
	ds_load_b128 v[53:56], v197 offset:256
	v_cmp_ne_u32_e32 vcc_lo, 1, v117
	v_add_co_u32 v97, s2, v234, v185
	s_delay_alu instid0(VALU_DEP_1)
	v_add_co_ci_u32_e64 v98, s2, 0, v235, s2
	s_and_b32 vcc_lo, exec_lo, vcc_lo
	s_waitcnt vmcnt(0) lgkmcnt(1)
	v_mul_f64 v[61:62], v[43:44], v[59:60]
	v_mul_f64 v[63:64], v[43:44], v[57:58]
	;; [unrolled: 1-line block ×8, first 2 shown]
	v_fma_f64 v[61:62], v[41:42], v[57:58], v[61:62]
	v_fma_f64 v[63:64], v[41:42], v[59:60], -v[63:64]
	v_fma_f64 v[69:70], v[37:38], v[57:58], v[65:66]
	v_fma_f64 v[71:72], v[37:38], v[59:60], -v[67:68]
	;; [unrolled: 2-line block ×4, first 2 shown]
	ds_store_b128 v198, v[61:64]
	ds_load_b128 v[65:68], v197 offset:272
	ds_store_b128 v198, v[69:72] offset:1072
	ds_load_b128 v[61:64], v197 offset:288
	ds_store_b128 v198, v[73:76] offset:2144
	;; [unrolled: 2-line block ×3, first 2 shown]
	s_waitcnt lgkmcnt(0)
	s_barrier
	buffer_gl0_inv
	ds_load_b128 v[141:144], v193
	ds_load_b128 v[137:140], v193 offset:16
	ds_load_b128 v[133:136], v193 offset:32
	;; [unrolled: 1-line block ×3, first 2 shown]
	s_waitcnt lgkmcnt(0)
	s_barrier
	buffer_gl0_inv
	s_cbranch_vccnz .LBB48_168
; %bb.161:                              ;   in Loop: Header=BB48_136 Depth=1
	v_mov_b32_e32 v69, 0
	v_mov_b32_e32 v70, 0
	s_mov_b32 s2, exec_lo
	s_delay_alu instid0(VALU_DEP_1)
	v_dual_mov_b32 v74, v70 :: v_dual_mov_b32 v73, v69
	v_dual_mov_b32 v76, v70 :: v_dual_mov_b32 v75, v69
	v_cmpx_gt_i32_e64 s12, v203
	s_cbranch_execz .LBB48_163
; %bb.162:                              ;   in Loop: Header=BB48_136 Depth=1
	flat_load_b128 v[73:76], v[97:98]
.LBB48_163:                             ;   in Loop: Header=BB48_136 Depth=1
	s_or_b32 exec_lo, exec_lo, s2
	v_dual_mov_b32 v72, v70 :: v_dual_mov_b32 v71, v69
	s_mov_b32 s2, exec_lo
	v_cmpx_gt_i32_e64 s12, v204
	s_cbranch_execz .LBB48_165
; %bb.164:                              ;   in Loop: Header=BB48_136 Depth=1
	v_add_co_u32 v69, vcc_lo, v238, v185
	v_add_co_ci_u32_e32 v70, vcc_lo, 0, v239, vcc_lo
	flat_load_b128 v[69:72], v[69:70]
.LBB48_165:                             ;   in Loop: Header=BB48_136 Depth=1
	s_or_b32 exec_lo, exec_lo, s2
	v_mov_b32_e32 v85, 0
	v_mov_b32_e32 v86, 0
	s_mov_b64 s[2:3], 0
	s_mov_b32 s18, exec_lo
	s_delay_alu instid0(VALU_DEP_1)
	v_dual_mov_b32 v88, v86 :: v_dual_mov_b32 v87, v85
	v_cmpx_gt_i32_e64 s12, v205
	s_cbranch_execz .LBB48_167
; %bb.166:                              ;   in Loop: Header=BB48_136 Depth=1
	v_add_co_u32 v85, vcc_lo, v242, v185
	v_add_co_ci_u32_e32 v86, vcc_lo, 0, v243, vcc_lo
	flat_load_b128 v[85:88], v[85:86]
.LBB48_167:                             ;   in Loop: Header=BB48_136 Depth=1
	s_or_b32 exec_lo, exec_lo, s18
	v_cmp_gt_i32_e64 s18, s12, v206
	s_branch .LBB48_170
.LBB48_168:                             ;   in Loop: Header=BB48_136 Depth=1
	s_mov_b32 s18, 0
                                        ; implicit-def: $sgpr2_sgpr3
                                        ; implicit-def: $vgpr87_vgpr88
                                        ; implicit-def: $vgpr71_vgpr72
                                        ; implicit-def: $vgpr75_vgpr76
	s_cbranch_execz .LBB48_170
; %bb.169:                              ;   in Loop: Header=BB48_136 Depth=1
	s_waitcnt vmcnt(0) lgkmcnt(0)
	v_add_co_u32 v69, vcc_lo, v238, v185
	v_add_co_ci_u32_e32 v70, vcc_lo, 0, v239, vcc_lo
	v_add_co_u32 v85, vcc_lo, v242, v185
	v_add_co_ci_u32_e32 v86, vcc_lo, 0, v243, vcc_lo
	flat_load_b128 v[73:76], v[97:98]
	flat_load_b128 v[69:72], v[69:70]
	;; [unrolled: 1-line block ×3, first 2 shown]
	s_or_b32 s18, s18, exec_lo
                                        ; implicit-def: $sgpr2_sgpr3
.LBB48_170:                             ;   in Loop: Header=BB48_136 Depth=1
	v_dual_mov_b32 v98, s3 :: v_dual_mov_b32 v97, s2
	v_dual_mov_b32 v100, s3 :: v_dual_mov_b32 v99, s2
	s_delay_alu instid0(VALU_DEP_3)
	s_and_saveexec_b32 s2, s18
	s_cbranch_execz .LBB48_172
; %bb.171:                              ;   in Loop: Header=BB48_136 Depth=1
	v_add_co_u32 v97, vcc_lo, v230, v185
	v_add_co_ci_u32_e32 v98, vcc_lo, 0, v231, vcc_lo
	flat_load_b128 v[97:100], v[97:98]
.LBB48_172:                             ;   in Loop: Header=BB48_136 Depth=1
	s_or_b32 exec_lo, exec_lo, s2
	ds_load_b128 v[105:108], v190
	ds_load_b128 v[101:104], v197 offset:512
	v_cmp_ne_u32_e32 vcc_lo, 1, v117
	s_and_b32 vcc_lo, exec_lo, vcc_lo
	s_waitcnt vmcnt(0) lgkmcnt(1)
	v_mul_f64 v[109:110], v[75:76], v[107:108]
	v_mul_f64 v[111:112], v[75:76], v[105:106]
	;; [unrolled: 1-line block ×8, first 2 shown]
	v_fma_f64 v[109:110], v[73:74], v[105:106], v[109:110]
	v_fma_f64 v[111:112], v[73:74], v[107:108], -v[111:112]
	v_fma_f64 v[118:119], v[69:70], v[105:106], v[113:114]
	v_fma_f64 v[120:121], v[69:70], v[107:108], -v[115:116]
	;; [unrolled: 2-line block ×4, first 2 shown]
	ds_store_b128 v198, v[109:112]
	ds_load_b128 v[113:116], v197 offset:528
	ds_store_b128 v198, v[118:121] offset:1072
	ds_load_b128 v[109:112], v197 offset:544
	ds_store_b128 v198, v[122:125] offset:2144
	;; [unrolled: 2-line block ×3, first 2 shown]
	s_waitcnt lgkmcnt(0)
	s_barrier
	buffer_gl0_inv
	ds_load_b128 v[177:180], v193
	ds_load_b128 v[173:176], v193 offset:16
	ds_load_b128 v[169:172], v193 offset:32
	;; [unrolled: 1-line block ×3, first 2 shown]
	v_add_co_u32 v145, s2, v218, v185
	s_delay_alu instid0(VALU_DEP_1)
	v_add_co_ci_u32_e64 v146, s2, 0, v219, s2
	s_waitcnt lgkmcnt(0)
	s_barrier
	buffer_gl0_inv
	s_cbranch_vccnz .LBB48_180
; %bb.173:                              ;   in Loop: Header=BB48_136 Depth=1
	v_mov_b32_e32 v117, 0
	v_mov_b32_e32 v118, 0
	s_mov_b32 s2, exec_lo
	s_delay_alu instid0(VALU_DEP_1)
	v_dual_mov_b32 v122, v118 :: v_dual_mov_b32 v121, v117
	v_dual_mov_b32 v124, v118 :: v_dual_mov_b32 v123, v117
	v_cmpx_gt_i32_e64 s12, v207
	s_cbranch_execz .LBB48_175
; %bb.174:                              ;   in Loop: Header=BB48_136 Depth=1
	flat_load_b128 v[121:124], v[145:146]
.LBB48_175:                             ;   in Loop: Header=BB48_136 Depth=1
	s_or_b32 exec_lo, exec_lo, s2
	v_dual_mov_b32 v120, v118 :: v_dual_mov_b32 v119, v117
	s_mov_b32 s2, exec_lo
	v_cmpx_gt_i32_e64 s12, v208
	s_cbranch_execz .LBB48_177
; %bb.176:                              ;   in Loop: Header=BB48_136 Depth=1
	v_add_co_u32 v117, vcc_lo, v222, v185
	v_add_co_ci_u32_e32 v118, vcc_lo, 0, v223, vcc_lo
	flat_load_b128 v[117:120], v[117:118]
.LBB48_177:                             ;   in Loop: Header=BB48_136 Depth=1
	s_or_b32 exec_lo, exec_lo, s2
	v_mov_b32_e32 v125, 0
	v_mov_b32_e32 v126, 0
	s_mov_b64 s[2:3], 0
	s_mov_b32 s18, exec_lo
	s_delay_alu instid0(VALU_DEP_1)
	v_dual_mov_b32 v128, v126 :: v_dual_mov_b32 v127, v125
	v_cmpx_gt_i32_e64 s12, v209
	s_cbranch_execz .LBB48_179
; %bb.178:                              ;   in Loop: Header=BB48_136 Depth=1
	v_add_co_u32 v125, vcc_lo, v228, v185
	v_add_co_ci_u32_e32 v126, vcc_lo, 0, v229, vcc_lo
	flat_load_b128 v[125:128], v[125:126]
.LBB48_179:                             ;   in Loop: Header=BB48_136 Depth=1
	s_or_b32 exec_lo, exec_lo, s18
	v_cmp_gt_i32_e64 s18, s12, v210
	s_branch .LBB48_182
.LBB48_180:                             ;   in Loop: Header=BB48_136 Depth=1
	s_mov_b32 s18, 0
                                        ; implicit-def: $sgpr2_sgpr3
                                        ; implicit-def: $vgpr127_vgpr128
                                        ; implicit-def: $vgpr119_vgpr120
                                        ; implicit-def: $vgpr123_vgpr124
	s_cbranch_execz .LBB48_182
; %bb.181:                              ;   in Loop: Header=BB48_136 Depth=1
	s_waitcnt vmcnt(0) lgkmcnt(0)
	v_add_co_u32 v117, vcc_lo, v222, v185
	v_add_co_ci_u32_e32 v118, vcc_lo, 0, v223, vcc_lo
	v_add_co_u32 v125, vcc_lo, v228, v185
	v_add_co_ci_u32_e32 v126, vcc_lo, 0, v229, vcc_lo
	flat_load_b128 v[121:124], v[145:146]
	flat_load_b128 v[117:120], v[117:118]
	;; [unrolled: 1-line block ×3, first 2 shown]
	s_or_b32 s18, s18, exec_lo
                                        ; implicit-def: $sgpr2_sgpr3
.LBB48_182:                             ;   in Loop: Header=BB48_136 Depth=1
	v_dual_mov_b32 v146, s3 :: v_dual_mov_b32 v145, s2
	v_dual_mov_b32 v148, s3 :: v_dual_mov_b32 v147, s2
	s_delay_alu instid0(VALU_DEP_3)
	s_and_saveexec_b32 s2, s18
	s_cbranch_execz .LBB48_184
; %bb.183:                              ;   in Loop: Header=BB48_136 Depth=1
	v_add_co_u32 v145, vcc_lo, v214, v185
	v_add_co_ci_u32_e32 v146, vcc_lo, 0, v215, vcc_lo
	flat_load_b128 v[145:148], v[145:146]
.LBB48_184:                             ;   in Loop: Header=BB48_136 Depth=1
	s_or_b32 exec_lo, exec_lo, s2
	ds_load_b128 v[153:156], v190
	ds_load_b128 v[149:152], v197 offset:768
	v_add_f64 v[141:142], v[141:142], 0
	v_add_f64 v[143:144], v[143:144], 0
	;; [unrolled: 1-line block ×4, first 2 shown]
	v_cmp_gt_i32_e32 vcc_lo, s12, v183
	s_or_b32 s2, s13, vcc_lo
	s_delay_alu instid0(SALU_CYCLE_1)
	s_and_b32 s3, s1, s2
	s_waitcnt vmcnt(0) lgkmcnt(1)
	v_mul_f64 v[157:158], v[123:124], v[155:156]
	v_mul_f64 v[159:160], v[123:124], v[153:154]
	;; [unrolled: 1-line block ×8, first 2 shown]
	v_add_f64 v[137:138], v[141:142], v[137:138]
	v_add_f64 v[139:140], v[143:144], v[139:140]
	;; [unrolled: 1-line block ×4, first 2 shown]
	v_fma_f64 v[157:158], v[121:122], v[153:154], v[157:158]
	v_fma_f64 v[159:160], v[121:122], v[155:156], -v[159:160]
	v_fma_f64 v[245:246], v[117:118], v[153:154], v[161:162]
	v_fma_f64 v[247:248], v[117:118], v[155:156], -v[163:164]
	;; [unrolled: 2-line block ×4, first 2 shown]
	v_add_f64 v[181:182], v[93:94], 0
	v_add_f64 v[194:195], v[95:96], 0
	;; [unrolled: 1-line block ×6, first 2 shown]
	ds_store_b128 v198, v[157:160]
	ds_load_b128 v[161:164], v197 offset:784
	ds_store_b128 v198, v[245:248] offset:1072
	ds_load_b128 v[157:160], v197 offset:800
	ds_store_b128 v198, v[249:252] offset:2144
	;; [unrolled: 2-line block ×3, first 2 shown]
	s_waitcnt lgkmcnt(0)
	s_barrier
	buffer_gl0_inv
	ds_load_b128 v[199:202], v193
	ds_load_b128 v[93:96], v193 offset:16
	v_add_f64 v[141:142], v[181:182], v[89:90]
	v_add_f64 v[143:144], v[194:195], v[91:92]
	ds_load_b128 v[89:92], v193 offset:32
	s_waitcnt lgkmcnt(2)
	v_add_f64 v[199:200], v[199:200], 0
	v_add_f64 v[201:202], v[201:202], 0
	;; [unrolled: 1-line block ×4, first 2 shown]
	ds_load_b128 v[81:84], v193 offset:48
	s_waitcnt lgkmcnt(0)
	s_barrier
	buffer_gl0_inv
	v_add_f64 v[93:94], v[199:200], v[93:94]
	v_add_f64 v[95:96], v[201:202], v[95:96]
	;; [unrolled: 1-line block ×4, first 2 shown]
	s_delay_alu instid0(VALU_DEP_4) | instskip(NEXT) | instid1(VALU_DEP_4)
	v_add_f64 v[141:142], v[93:94], v[89:90]
	v_add_f64 v[143:144], v[95:96], v[91:92]
	;; [unrolled: 1-line block ×8, first 2 shown]
	ds_store_b128 v244, v[77:80]
	ds_store_b128 v244, v[93:96] offset:256
	ds_store_b128 v244, v[89:92] offset:512
	;; [unrolled: 1-line block ×3, first 2 shown]
	s_waitcnt lgkmcnt(0)
	s_barrier
	buffer_gl0_inv
	s_and_saveexec_b32 s2, s3
	s_cbranch_execz .LBB48_186
; %bb.185:                              ;   in Loop: Header=BB48_136 Depth=1
	ds_load_b128 v[77:80], v191
	ds_load_b128 v[81:84], v191 offset:16
	s_waitcnt lgkmcnt(0)
	v_add_f64 v[89:90], v[81:82], v[77:78]
	v_add_f64 v[91:92], v[83:84], v[79:80]
	ds_load_b128 v[77:80], v191 offset:32
	ds_load_b128 v[81:84], v191 offset:48
	s_waitcnt lgkmcnt(1)
	v_add_f64 v[77:78], v[89:90], v[77:78]
	v_add_f64 v[79:80], v[91:92], v[79:80]
	s_waitcnt lgkmcnt(0)
	s_delay_alu instid0(VALU_DEP_2) | instskip(NEXT) | instid1(VALU_DEP_2)
	v_add_f64 v[89:90], v[77:78], v[81:82]
	v_add_f64 v[91:92], v[79:80], v[83:84]
	ds_load_b128 v[77:80], v191 offset:64
	ds_load_b128 v[81:84], v191 offset:80
	s_waitcnt lgkmcnt(1)
	v_add_f64 v[77:78], v[89:90], v[77:78]
	v_add_f64 v[79:80], v[91:92], v[79:80]
	s_waitcnt lgkmcnt(0)
	s_delay_alu instid0(VALU_DEP_2) | instskip(NEXT) | instid1(VALU_DEP_2)
	;; [unrolled: 9-line block ×5, first 2 shown]
	v_add_f64 v[89:90], v[77:78], v[81:82]
	v_add_f64 v[91:92], v[79:80], v[83:84]
	ds_load_b128 v[77:80], v191 offset:192
	ds_load_b128 v[81:84], v191 offset:208
	s_waitcnt lgkmcnt(1)
	v_add_f64 v[77:78], v[89:90], v[77:78]
	v_add_f64 v[79:80], v[91:92], v[79:80]
	s_waitcnt lgkmcnt(0)
	s_delay_alu instid0(VALU_DEP_2)
	v_add_f64 v[89:90], v[77:78], v[81:82]
	scratch_load_b32 v81, off, off          ; 4-byte Folded Reload
	v_add_f64 v[91:92], v[79:80], v[83:84]
	ds_load_b128 v[77:80], v191 offset:224
	s_waitcnt vmcnt(0)
	ds_load_b128 v[81:84], v81
	s_waitcnt lgkmcnt(1)
	v_add_f64 v[77:78], v[89:90], v[77:78]
	v_add_f64 v[79:80], v[91:92], v[79:80]
	s_waitcnt lgkmcnt(0)
	s_delay_alu instid0(VALU_DEP_2) | instskip(NEXT) | instid1(VALU_DEP_2)
	v_add_f64 v[77:78], v[77:78], v[81:82]
	v_add_f64 v[79:80], v[79:80], v[83:84]
	v_add_nc_u32_e32 v81, s16, v211
	s_delay_alu instid0(VALU_DEP_1) | instskip(NEXT) | instid1(VALU_DEP_1)
	v_ashrrev_i32_e32 v82, 31, v81
	v_lshlrev_b64 v[81:82], 4, v[81:82]
	s_delay_alu instid0(VALU_DEP_1) | instskip(NEXT) | instid1(VALU_DEP_2)
	v_add_co_u32 v81, vcc_lo, s6, v81
	v_add_co_ci_u32_e32 v82, vcc_lo, s11, v82, vcc_lo
	global_store_b128 v[81:82], v[77:80], off
.LBB48_186:                             ;   in Loop: Header=BB48_136 Depth=1
	s_or_b32 exec_lo, exec_lo, s2
	v_mul_f64 v[77:78], v[11:12], v[23:24]
	v_mul_f64 v[23:24], v[9:10], v[23:24]
	v_mul_f64 v[79:80], v[7:8], v[35:36]
	v_mul_f64 v[35:36], v[5:6], v[35:36]
	v_add_co_u32 v212, vcc_lo, v212, s4
	v_add_co_ci_u32_e32 v213, vcc_lo, s5, v213, vcc_lo
	v_add_co_u32 v214, vcc_lo, v214, s4
	v_add_co_ci_u32_e32 v215, vcc_lo, s5, v215, vcc_lo
	;; [unrolled: 2-line block ×8, first 2 shown]
	v_add_co_u32 v228, vcc_lo, v228, s4
	v_fma_f64 v[9:10], v[9:10], v[21:22], -v[77:78]
	v_fma_f64 v[11:12], v[11:12], v[21:22], v[23:24]
	v_mul_f64 v[21:22], v[15:16], v[31:32]
	v_mul_f64 v[23:24], v[13:14], v[31:32]
	v_fma_f64 v[5:6], v[5:6], v[33:34], -v[79:80]
	v_fma_f64 v[7:8], v[7:8], v[33:34], v[35:36]
	v_add_co_ci_u32_e32 v229, vcc_lo, s5, v229, vcc_lo
	v_add_co_u32 v230, vcc_lo, v230, s4
	v_add_co_ci_u32_e32 v231, vcc_lo, s5, v231, vcc_lo
	v_add_co_u32 v232, vcc_lo, v232, s4
	;; [unrolled: 2-line block ×7, first 2 shown]
	v_add_co_ci_u32_e32 v243, vcc_lo, s5, v243, vcc_lo
	s_add_i32 s3, s14, 2
	s_add_i32 s2, s14, 1
	v_add_f64 v[0:1], v[0:1], v[9:10]
	v_add_f64 v[2:3], v[2:3], v[11:12]
	v_mul_f64 v[9:10], v[19:20], v[27:28]
	v_mul_f64 v[11:12], v[17:18], v[27:28]
	v_fma_f64 v[13:14], v[13:14], v[29:30], -v[21:22]
	v_fma_f64 v[15:16], v[15:16], v[29:30], v[23:24]
	s_add_i32 s16, s16, 64
	s_cmp_ge_u32 s3, s7
	s_waitcnt_vscnt null, 0x0
	s_barrier
	buffer_gl0_inv
	v_add_f64 v[0:1], v[0:1], v[5:6]
	v_add_f64 v[2:3], v[2:3], v[7:8]
	v_mul_f64 v[5:6], v[43:44], v[55:56]
	v_mul_f64 v[7:8], v[41:42], v[55:56]
	v_fma_f64 v[9:10], v[17:18], v[25:26], -v[9:10]
	v_fma_f64 v[11:12], v[19:20], v[25:26], v[11:12]
	v_add_f64 v[0:1], v[0:1], v[13:14]
	v_add_f64 v[2:3], v[2:3], v[15:16]
	v_mul_f64 v[13:14], v[39:40], v[67:68]
	v_mul_f64 v[15:16], v[37:38], v[67:68]
	v_fma_f64 v[5:6], v[41:42], v[53:54], -v[5:6]
	v_fma_f64 v[7:8], v[43:44], v[53:54], v[7:8]
	;; [unrolled: 6-line block ×12, first 2 shown]
	v_add_f64 v[0:1], v[0:1], v[5:6]
	v_add_f64 v[2:3], v[2:3], v[7:8]
	v_fma_f64 v[5:6], v[145:146], v[153:154], -v[9:10]
	v_fma_f64 v[7:8], v[147:148], v[153:154], v[11:12]
	s_delay_alu instid0(VALU_DEP_4) | instskip(NEXT) | instid1(VALU_DEP_4)
	v_add_f64 v[0:1], v[0:1], v[13:14]
	v_add_f64 v[2:3], v[2:3], v[15:16]
	s_delay_alu instid0(VALU_DEP_2) | instskip(NEXT) | instid1(VALU_DEP_2)
	v_add_f64 v[0:1], v[0:1], v[5:6]
	v_add_f64 v[2:3], v[2:3], v[7:8]
	s_cbranch_scc1 .LBB48_188
; %bb.187:                              ;   in Loop: Header=BB48_136 Depth=1
	s_mov_b32 s14, s2
	s_delay_alu instid0(SALU_CYCLE_1)
	s_cmp_eq_u32 s17, s14
	s_cselect_b32 s12, s15, 0
	s_and_saveexec_b32 s2, s0
	s_cbranch_execnz .LBB48_132
	s_branch .LBB48_136
.LBB48_188:
	scratch_load_b32 v4, off, off offset:4  ; 4-byte Folded Reload
	v_cmp_gt_i32_e32 vcc_lo, s10, v183
	s_or_b32 s1, s19, vcc_lo
	s_delay_alu instid0(SALU_CYCLE_1)
	s_and_b32 s0, s0, s1
	s_waitcnt vmcnt(0)
	v_mad_u32_u24 v4, 0x430, v4, v185
	ds_store_b128 v4, v[0:3]
	s_waitcnt lgkmcnt(0)
	s_barrier
	buffer_gl0_inv
	s_and_saveexec_b32 s1, s0
	s_cbranch_execz .LBB48_190
; %bb.189:
	ds_load_b128 v[0:3], v185 offset:1072
	ds_load_b128 v[4:7], v185
	s_waitcnt lgkmcnt(0)
	v_add_f64 v[8:9], v[0:1], v[4:5]
	v_add_f64 v[10:11], v[2:3], v[6:7]
	ds_load_b128 v[0:3], v185 offset:2144
	ds_load_b128 v[4:7], v185 offset:3216
	s_waitcnt lgkmcnt(1)
	v_add_f64 v[0:1], v[8:9], v[0:1]
	v_add_f64 v[2:3], v[10:11], v[2:3]
	s_waitcnt lgkmcnt(0)
	s_delay_alu instid0(VALU_DEP_2) | instskip(SKIP_4) | instid1(VALU_DEP_1)
	v_add_f64 v[0:1], v[0:1], v[4:5]
	scratch_load_b64 v[4:5], off, off offset:8 ; 8-byte Folded Reload
	v_add_f64 v[2:3], v[2:3], v[6:7]
	s_waitcnt vmcnt(0)
	v_lshlrev_b64 v[4:5], 4, v[4:5]
	v_add_co_u32 v4, vcc_lo, s6, v4
	s_delay_alu instid0(VALU_DEP_2)
	v_add_co_ci_u32_e32 v5, vcc_lo, s11, v5, vcc_lo
	global_store_b128 v[4:5], v[0:3], off
.LBB48_190:
	s_nop 0
	s_sendmsg sendmsg(MSG_DEALLOC_VGPRS)
	s_endpgm
	.section	.rodata,"a",@progbits
	.p2align	6, 0x0
	.amdhsa_kernel _ZL26rocblas_hemvn_kernel_upperILb1ELi64ELi4ELi33ELi32ELi16ElPK19rocblas_complex_numIdEPKS3_PS1_EviT6_lT7_lT5_lS8_lS9_lS7_lT8_i
		.amdhsa_group_segment_fixed_size 19200
		.amdhsa_private_segment_fixed_size 20
		.amdhsa_kernarg_size 376
		.amdhsa_user_sgpr_count 14
		.amdhsa_user_sgpr_dispatch_ptr 0
		.amdhsa_user_sgpr_queue_ptr 0
		.amdhsa_user_sgpr_kernarg_segment_ptr 1
		.amdhsa_user_sgpr_dispatch_id 0
		.amdhsa_user_sgpr_private_segment_size 0
		.amdhsa_wavefront_size32 1
		.amdhsa_uses_dynamic_stack 0
		.amdhsa_enable_private_segment 1
		.amdhsa_system_sgpr_workgroup_id_x 1
		.amdhsa_system_sgpr_workgroup_id_y 0
		.amdhsa_system_sgpr_workgroup_id_z 1
		.amdhsa_system_sgpr_workgroup_info 0
		.amdhsa_system_vgpr_workitem_id 1
		.amdhsa_next_free_vgpr 256
		.amdhsa_next_free_sgpr 30
		.amdhsa_reserve_vcc 1
		.amdhsa_float_round_mode_32 0
		.amdhsa_float_round_mode_16_64 0
		.amdhsa_float_denorm_mode_32 3
		.amdhsa_float_denorm_mode_16_64 3
		.amdhsa_dx10_clamp 1
		.amdhsa_ieee_mode 1
		.amdhsa_fp16_overflow 0
		.amdhsa_workgroup_processor_mode 1
		.amdhsa_memory_ordered 1
		.amdhsa_forward_progress 0
		.amdhsa_shared_vgpr_count 0
		.amdhsa_exception_fp_ieee_invalid_op 0
		.amdhsa_exception_fp_denorm_src 0
		.amdhsa_exception_fp_ieee_div_zero 0
		.amdhsa_exception_fp_ieee_overflow 0
		.amdhsa_exception_fp_ieee_underflow 0
		.amdhsa_exception_fp_ieee_inexact 0
		.amdhsa_exception_int_div_zero 0
	.end_amdhsa_kernel
	.section	.text._ZL26rocblas_hemvn_kernel_upperILb1ELi64ELi4ELi33ELi32ELi16ElPK19rocblas_complex_numIdEPKS3_PS1_EviT6_lT7_lT5_lS8_lS9_lS7_lT8_i,"axG",@progbits,_ZL26rocblas_hemvn_kernel_upperILb1ELi64ELi4ELi33ELi32ELi16ElPK19rocblas_complex_numIdEPKS3_PS1_EviT6_lT7_lT5_lS8_lS9_lS7_lT8_i,comdat
.Lfunc_end48:
	.size	_ZL26rocblas_hemvn_kernel_upperILb1ELi64ELi4ELi33ELi32ELi16ElPK19rocblas_complex_numIdEPKS3_PS1_EviT6_lT7_lT5_lS8_lS9_lS7_lT8_i, .Lfunc_end48-_ZL26rocblas_hemvn_kernel_upperILb1ELi64ELi4ELi33ELi32ELi16ElPK19rocblas_complex_numIdEPKS3_PS1_EviT6_lT7_lT5_lS8_lS9_lS7_lT8_i
                                        ; -- End function
	.section	.AMDGPU.csdata,"",@progbits
; Kernel info:
; codeLenInByte = 12940
; NumSgprs: 32
; NumVgprs: 256
; ScratchSize: 20
; MemoryBound: 1
; FloatMode: 240
; IeeeMode: 1
; LDSByteSize: 19200 bytes/workgroup (compile time only)
; SGPRBlocks: 3
; VGPRBlocks: 31
; NumSGPRsForWavesPerEU: 32
; NumVGPRsForWavesPerEU: 256
; Occupancy: 5
; WaveLimiterHint : 1
; COMPUTE_PGM_RSRC2:SCRATCH_EN: 1
; COMPUTE_PGM_RSRC2:USER_SGPR: 14
; COMPUTE_PGM_RSRC2:TRAP_HANDLER: 0
; COMPUTE_PGM_RSRC2:TGID_X_EN: 1
; COMPUTE_PGM_RSRC2:TGID_Y_EN: 0
; COMPUTE_PGM_RSRC2:TGID_Z_EN: 1
; COMPUTE_PGM_RSRC2:TIDIG_COMP_CNT: 1
	.section	.text._ZL36rocblas_hemvn_kernel_upper_block_sumILi64ElPK19rocblas_complex_numIdEPKPS1_S1_EviT1_lS7_lT2_lT0_lPT3_i,"axG",@progbits,_ZL36rocblas_hemvn_kernel_upper_block_sumILi64ElPK19rocblas_complex_numIdEPKPS1_S1_EviT1_lS7_lT2_lT0_lPT3_i,comdat
	.globl	_ZL36rocblas_hemvn_kernel_upper_block_sumILi64ElPK19rocblas_complex_numIdEPKPS1_S1_EviT1_lS7_lT2_lT0_lPT3_i ; -- Begin function _ZL36rocblas_hemvn_kernel_upper_block_sumILi64ElPK19rocblas_complex_numIdEPKPS1_S1_EviT1_lS7_lT2_lT0_lPT3_i
	.p2align	8
	.type	_ZL36rocblas_hemvn_kernel_upper_block_sumILi64ElPK19rocblas_complex_numIdEPKPS1_S1_EviT1_lS7_lT2_lT0_lPT3_i,@function
_ZL36rocblas_hemvn_kernel_upper_block_sumILi64ElPK19rocblas_complex_numIdEPKPS1_S1_EviT1_lS7_lT2_lT0_lPT3_i: ; @_ZL36rocblas_hemvn_kernel_upper_block_sumILi64ElPK19rocblas_complex_numIdEPKPS1_S1_EviT1_lS7_lT2_lT0_lPT3_i
; %bb.0:
	s_load_b256 s[4:11], s[0:1], 0x8
	s_mov_b32 s12, s15
	s_waitcnt lgkmcnt(0)
	s_mul_i32 s3, s15, s7
	s_mul_hi_u32 s7, s15, s6
	s_mul_i32 s2, s15, s6
	s_add_i32 s3, s7, s3
	s_delay_alu instid0(SALU_CYCLE_1) | instskip(NEXT) | instid1(SALU_CYCLE_1)
	s_lshl_b64 s[2:3], s[2:3], 4
	s_add_u32 s2, s4, s2
	s_addc_u32 s3, s5, s3
	s_load_b128 s[16:19], s[2:3], 0x0
	s_mul_i32 s2, s12, s11
	s_mul_hi_u32 s3, s12, s10
	s_delay_alu instid0(SALU_CYCLE_1) | instskip(SKIP_1) | instid1(SALU_CYCLE_1)
	s_add_i32 s3, s3, s2
	s_mul_i32 s2, s12, s10
	s_lshl_b64 s[2:3], s[2:3], 4
	s_delay_alu instid0(SALU_CYCLE_1)
	s_add_u32 s2, s8, s2
	s_addc_u32 s3, s9, s3
	s_load_b128 s[4:7], s[2:3], 0x0
	s_mov_b32 s3, -1
	s_waitcnt lgkmcnt(0)
	v_cmp_neq_f64_e64 s13, s[16:17], 0
	v_cmp_neq_f64_e64 s15, s[18:19], 0
	s_delay_alu instid0(VALU_DEP_1) | instskip(NEXT) | instid1(SALU_CYCLE_1)
	s_or_b32 s2, s13, s15
	s_and_b32 vcc_lo, exec_lo, s2
	s_cbranch_vccnz .LBB49_2
; %bb.1:
	v_cmp_neq_f64_e64 s3, s[4:5], 1.0
	v_cmp_neq_f64_e64 s8, s[6:7], 0
	s_delay_alu instid0(VALU_DEP_1)
	s_or_b32 s3, s3, s8
.LBB49_2:
	s_delay_alu instid0(SALU_CYCLE_1)
	s_and_not1_b32 vcc_lo, exec_lo, s3
	s_cbranch_vccnz .LBB49_22
; %bb.3:
	s_load_b64 s[22:23], s[0:1], 0x28
	s_mov_b32 s13, 0
	s_xor_b32 s15, s2, -1
	s_lshl_b64 s[24:25], s[12:13], 3
	s_clause 0x1
	s_load_b32 s20, s[0:1], 0x0
	s_load_b128 s[8:11], s[0:1], 0x30
	v_lshl_or_b32 v4, s14, 6, v0
	s_waitcnt lgkmcnt(0)
	s_add_u32 s2, s22, s24
	s_addc_u32 s3, s23, s25
	s_load_b64 s[22:23], s[2:3], 0x0
	s_lshl_b64 s[8:9], s[8:9], 4
	v_cmp_gt_i32_e64 s2, s20, v4
	s_waitcnt lgkmcnt(0)
	s_add_u32 s3, s22, s8
	s_addc_u32 s8, s23, s9
	s_and_not1_b32 vcc_lo, exec_lo, s15
	s_cbranch_vccnz .LBB49_8
; %bb.4:
	s_mov_b32 s9, 0
                                        ; implicit-def: $vgpr2_vgpr3
                                        ; implicit-def: $vgpr5_vgpr6
	s_and_saveexec_b32 s15, s2
	s_cbranch_execz .LBB49_9
; %bb.5:
	v_cmp_neq_f64_e64 s2, s[4:5], 0
	v_cmp_neq_f64_e64 s13, s[6:7], 0
	v_ashrrev_i32_e32 v0, 31, v4
	v_mul_lo_u32 v1, v4, s11
	v_mad_u64_u32 v[5:6], null, v4, s10, 0
	v_mov_b32_e32 v2, 0
	s_delay_alu instid0(VALU_DEP_4) | instskip(SKIP_1) | instid1(VALU_DEP_2)
	v_mul_lo_u32 v0, v0, s10
	v_mov_b32_e32 v3, 0
	v_add3_u32 v6, v6, v1, v0
	s_delay_alu instid0(VALU_DEP_2) | instskip(SKIP_1) | instid1(SALU_CYCLE_1)
	v_dual_mov_b32 v0, v2 :: v_dual_mov_b32 v1, v3
	s_or_b32 s2, s2, s13
	s_and_not1_b32 vcc_lo, exec_lo, s2
	s_cbranch_vccnz .LBB49_7
; %bb.6:
	v_lshlrev_b64 v[0:1], 4, v[5:6]
	s_delay_alu instid0(VALU_DEP_1) | instskip(NEXT) | instid1(VALU_DEP_2)
	v_add_co_u32 v0, vcc_lo, s3, v0
	v_add_co_ci_u32_e32 v1, vcc_lo, s8, v1, vcc_lo
	global_load_b128 v[7:10], v[0:1], off
	s_waitcnt vmcnt(0)
	v_mul_f64 v[0:1], s[6:7], v[9:10]
	v_mul_f64 v[2:3], s[4:5], v[9:10]
	s_delay_alu instid0(VALU_DEP_2) | instskip(NEXT) | instid1(VALU_DEP_2)
	v_fma_f64 v[0:1], s[4:5], v[7:8], -v[0:1]
	v_fma_f64 v[2:3], s[6:7], v[7:8], v[2:3]
.LBB49_7:
	s_mov_b32 s13, exec_lo
	s_or_b32 exec_lo, exec_lo, s15
	s_delay_alu instid0(SALU_CYCLE_1)
	s_and_b32 vcc_lo, exec_lo, s9
	s_cbranch_vccnz .LBB49_10
	s_branch .LBB49_20
.LBB49_8:
                                        ; implicit-def: $vgpr2_vgpr3
                                        ; implicit-def: $vgpr5_vgpr6
	s_cbranch_execnz .LBB49_10
	s_branch .LBB49_20
.LBB49_9:
	s_or_b32 exec_lo, exec_lo, s15
	s_delay_alu instid0(SALU_CYCLE_1)
	s_and_b32 vcc_lo, exec_lo, s9
	s_cbranch_vccz .LBB49_20
.LBB49_10:
	s_mov_b32 s2, exec_lo
                                        ; implicit-def: $vgpr2_vgpr3
                                        ; implicit-def: $vgpr5_vgpr6
	v_cmpx_gt_i32_e64 s20, v4
	s_cbranch_execz .LBB49_19
; %bb.11:
	v_mov_b32_e32 v0, 0
	v_mov_b32_e32 v1, 0
	v_ashrrev_i32_e32 v5, 31, v4
	s_cmp_lt_i32 s14, 0
	s_delay_alu instid0(VALU_DEP_2)
	v_dual_mov_b32 v3, v1 :: v_dual_mov_b32 v2, v0
	s_cbranch_scc1 .LBB49_14
; %bb.12:
	s_clause 0x1
	s_load_b32 s15, s[0:1], 0x58
	s_load_b64 s[0:1], s[0:1], 0x48
	s_ashr_i32 s21, s20, 31
	s_mul_hi_u32 s22, s20, s12
	s_mul_i32 s23, s21, s12
	s_add_i32 s9, s14, 1
	s_add_i32 s14, s22, s23
	s_mul_i32 s12, s20, s12
	v_lshlrev_b64 v[2:3], 4, v[4:5]
	v_mov_b32_e32 v0, 0
	v_mov_b32_e32 v1, 0
	s_waitcnt lgkmcnt(0)
	s_mul_i32 s22, s14, s15
	s_mul_hi_u32 s23, s12, s15
	s_mul_i32 s14, s12, s15
	s_add_i32 s15, s23, s22
	s_delay_alu instid0(SALU_CYCLE_1) | instskip(NEXT) | instid1(SALU_CYCLE_1)
	s_lshl_b64 s[14:15], s[14:15], 4
	s_add_u32 s0, s0, s14
	s_addc_u32 s1, s1, s15
	v_add_co_u32 v2, vcc_lo, s0, v2
	v_add_co_ci_u32_e32 v3, vcc_lo, s1, v3, vcc_lo
	s_lshl_b64 s[0:1], s[20:21], 4
	s_delay_alu instid0(VALU_DEP_2) | instskip(NEXT) | instid1(VALU_DEP_2)
	v_add_co_u32 v6, vcc_lo, v2, 8
	v_add_co_ci_u32_e32 v7, vcc_lo, 0, v3, vcc_lo
	v_dual_mov_b32 v3, v1 :: v_dual_mov_b32 v2, v0
.LBB49_13:                              ; =>This Inner Loop Header: Depth=1
	global_load_b128 v[8:11], v[6:7], off offset:-8
	v_add_co_u32 v6, vcc_lo, v6, s0
	v_add_co_ci_u32_e32 v7, vcc_lo, s1, v7, vcc_lo
	s_add_i32 s9, s9, -1
	s_delay_alu instid0(SALU_CYCLE_1)
	s_cmp_eq_u32 s9, 0
	s_waitcnt vmcnt(0)
	v_add_f64 v[2:3], v[2:3], v[8:9]
	v_add_f64 v[0:1], v[0:1], v[10:11]
	s_cbranch_scc0 .LBB49_13
.LBB49_14:
	s_delay_alu instid0(VALU_DEP_1) | instskip(SKIP_3) | instid1(VALU_DEP_4)
	v_mul_f64 v[6:7], s[18:19], v[0:1]
	v_mul_f64 v[8:9], s[16:17], v[0:1]
	v_cmp_neq_f64_e64 s0, s[4:5], 0
	v_cmp_neq_f64_e64 s1, s[6:7], 0
	v_fma_f64 v[0:1], s[16:17], v[2:3], -v[6:7]
	s_delay_alu instid0(VALU_DEP_4) | instskip(SKIP_3) | instid1(SALU_CYCLE_1)
	v_fma_f64 v[2:3], s[18:19], v[2:3], v[8:9]
	v_mul_lo_u32 v7, v5, s10
	v_mul_lo_u32 v8, v4, s11
	s_or_b32 s0, s0, s1
	s_and_not1_b32 vcc_lo, exec_lo, s0
	s_cbranch_vccz .LBB49_16
; %bb.15:
	v_mad_u64_u32 v[5:6], null, v4, s10, 0
	s_delay_alu instid0(VALU_DEP_1)
	v_add3_u32 v6, v6, v8, v7
	s_cbranch_execz .LBB49_17
	s_branch .LBB49_18
.LBB49_16:
                                        ; implicit-def: $vgpr5_vgpr6
.LBB49_17:
	v_mad_u64_u32 v[5:6], null, v4, s10, 0
	s_delay_alu instid0(VALU_DEP_1) | instskip(NEXT) | instid1(VALU_DEP_1)
	v_add3_u32 v6, v6, v8, v7
	v_lshlrev_b64 v[7:8], 4, v[5:6]
	s_delay_alu instid0(VALU_DEP_1) | instskip(NEXT) | instid1(VALU_DEP_2)
	v_add_co_u32 v7, vcc_lo, s3, v7
	v_add_co_ci_u32_e32 v8, vcc_lo, s8, v8, vcc_lo
	global_load_b128 v[7:10], v[7:8], off
	s_waitcnt vmcnt(0)
	v_mul_f64 v[11:12], s[6:7], v[9:10]
	v_mul_f64 v[9:10], s[4:5], v[9:10]
	s_delay_alu instid0(VALU_DEP_2) | instskip(NEXT) | instid1(VALU_DEP_2)
	v_fma_f64 v[11:12], s[4:5], v[7:8], -v[11:12]
	v_fma_f64 v[7:8], s[6:7], v[7:8], v[9:10]
	s_delay_alu instid0(VALU_DEP_2) | instskip(NEXT) | instid1(VALU_DEP_2)
	v_add_f64 v[0:1], v[0:1], v[11:12]
	v_add_f64 v[2:3], v[2:3], v[7:8]
.LBB49_18:
	s_or_b32 s13, s13, exec_lo
.LBB49_19:
	s_or_b32 exec_lo, exec_lo, s2
.LBB49_20:
	s_and_saveexec_b32 s0, s13
	s_cbranch_execz .LBB49_22
; %bb.21:
	v_lshlrev_b64 v[4:5], 4, v[5:6]
	s_delay_alu instid0(VALU_DEP_1) | instskip(NEXT) | instid1(VALU_DEP_2)
	v_add_co_u32 v4, vcc_lo, s3, v4
	v_add_co_ci_u32_e32 v5, vcc_lo, s8, v5, vcc_lo
	global_store_b128 v[4:5], v[0:3], off
.LBB49_22:
	s_nop 0
	s_sendmsg sendmsg(MSG_DEALLOC_VGPRS)
	s_endpgm
	.section	.rodata,"a",@progbits
	.p2align	6, 0x0
	.amdhsa_kernel _ZL36rocblas_hemvn_kernel_upper_block_sumILi64ElPK19rocblas_complex_numIdEPKPS1_S1_EviT1_lS7_lT2_lT0_lPT3_i
		.amdhsa_group_segment_fixed_size 0
		.amdhsa_private_segment_fixed_size 0
		.amdhsa_kernarg_size 344
		.amdhsa_user_sgpr_count 14
		.amdhsa_user_sgpr_dispatch_ptr 0
		.amdhsa_user_sgpr_queue_ptr 0
		.amdhsa_user_sgpr_kernarg_segment_ptr 1
		.amdhsa_user_sgpr_dispatch_id 0
		.amdhsa_user_sgpr_private_segment_size 0
		.amdhsa_wavefront_size32 1
		.amdhsa_uses_dynamic_stack 0
		.amdhsa_enable_private_segment 0
		.amdhsa_system_sgpr_workgroup_id_x 1
		.amdhsa_system_sgpr_workgroup_id_y 0
		.amdhsa_system_sgpr_workgroup_id_z 1
		.amdhsa_system_sgpr_workgroup_info 0
		.amdhsa_system_vgpr_workitem_id 0
		.amdhsa_next_free_vgpr 13
		.amdhsa_next_free_sgpr 26
		.amdhsa_reserve_vcc 1
		.amdhsa_float_round_mode_32 0
		.amdhsa_float_round_mode_16_64 0
		.amdhsa_float_denorm_mode_32 3
		.amdhsa_float_denorm_mode_16_64 3
		.amdhsa_dx10_clamp 1
		.amdhsa_ieee_mode 1
		.amdhsa_fp16_overflow 0
		.amdhsa_workgroup_processor_mode 1
		.amdhsa_memory_ordered 1
		.amdhsa_forward_progress 0
		.amdhsa_shared_vgpr_count 0
		.amdhsa_exception_fp_ieee_invalid_op 0
		.amdhsa_exception_fp_denorm_src 0
		.amdhsa_exception_fp_ieee_div_zero 0
		.amdhsa_exception_fp_ieee_overflow 0
		.amdhsa_exception_fp_ieee_underflow 0
		.amdhsa_exception_fp_ieee_inexact 0
		.amdhsa_exception_int_div_zero 0
	.end_amdhsa_kernel
	.section	.text._ZL36rocblas_hemvn_kernel_upper_block_sumILi64ElPK19rocblas_complex_numIdEPKPS1_S1_EviT1_lS7_lT2_lT0_lPT3_i,"axG",@progbits,_ZL36rocblas_hemvn_kernel_upper_block_sumILi64ElPK19rocblas_complex_numIdEPKPS1_S1_EviT1_lS7_lT2_lT0_lPT3_i,comdat
.Lfunc_end49:
	.size	_ZL36rocblas_hemvn_kernel_upper_block_sumILi64ElPK19rocblas_complex_numIdEPKPS1_S1_EviT1_lS7_lT2_lT0_lPT3_i, .Lfunc_end49-_ZL36rocblas_hemvn_kernel_upper_block_sumILi64ElPK19rocblas_complex_numIdEPKPS1_S1_EviT1_lS7_lT2_lT0_lPT3_i
                                        ; -- End function
	.section	.AMDGPU.csdata,"",@progbits
; Kernel info:
; codeLenInByte = 1020
; NumSgprs: 28
; NumVgprs: 13
; ScratchSize: 0
; MemoryBound: 0
; FloatMode: 240
; IeeeMode: 1
; LDSByteSize: 0 bytes/workgroup (compile time only)
; SGPRBlocks: 3
; VGPRBlocks: 1
; NumSGPRsForWavesPerEU: 28
; NumVGPRsForWavesPerEU: 13
; Occupancy: 16
; WaveLimiterHint : 1
; COMPUTE_PGM_RSRC2:SCRATCH_EN: 0
; COMPUTE_PGM_RSRC2:USER_SGPR: 14
; COMPUTE_PGM_RSRC2:TRAP_HANDLER: 0
; COMPUTE_PGM_RSRC2:TGID_X_EN: 1
; COMPUTE_PGM_RSRC2:TGID_Y_EN: 0
; COMPUTE_PGM_RSRC2:TGID_Z_EN: 1
; COMPUTE_PGM_RSRC2:TIDIG_COMP_CNT: 0
	.section	.text._ZL26rocblas_hemvn_kernel_upperILb1ELi64ELi4ELi33ELi32ELi16EiPK19rocblas_complex_numIdEPKS3_PS1_EviT6_lT7_lT5_lS8_lS9_lS7_lT8_i,"axG",@progbits,_ZL26rocblas_hemvn_kernel_upperILb1ELi64ELi4ELi33ELi32ELi16EiPK19rocblas_complex_numIdEPKS3_PS1_EviT6_lT7_lT5_lS8_lS9_lS7_lT8_i,comdat
	.globl	_ZL26rocblas_hemvn_kernel_upperILb1ELi64ELi4ELi33ELi32ELi16EiPK19rocblas_complex_numIdEPKS3_PS1_EviT6_lT7_lT5_lS8_lS9_lS7_lT8_i ; -- Begin function _ZL26rocblas_hemvn_kernel_upperILb1ELi64ELi4ELi33ELi32ELi16EiPK19rocblas_complex_numIdEPKS3_PS1_EviT6_lT7_lT5_lS8_lS9_lS7_lT8_i
	.p2align	8
	.type	_ZL26rocblas_hemvn_kernel_upperILb1ELi64ELi4ELi33ELi32ELi16EiPK19rocblas_complex_numIdEPKS3_PS1_EviT6_lT7_lT5_lS8_lS9_lS7_lT8_i,@function
_ZL26rocblas_hemvn_kernel_upperILb1ELi64ELi4ELi33ELi32ELi16EiPK19rocblas_complex_numIdEPKS3_PS1_EviT6_lT7_lT5_lS8_lS9_lS7_lT8_i: ; @_ZL26rocblas_hemvn_kernel_upperILb1ELi64ELi4ELi33ELi32ELi16EiPK19rocblas_complex_numIdEPKS3_PS1_EviT6_lT7_lT5_lS8_lS9_lS7_lT8_i
; %bb.0:
	s_load_b64 s[4:5], s[0:1], 0x84
	s_add_u32 s2, s0, 0x78
	s_addc_u32 s3, s1, 0
	s_waitcnt lgkmcnt(0)
	s_lshr_b32 s6, s4, 16
	s_and_b32 s4, s4, 0xffff
	s_and_b32 s5, s5, 0xffff
	s_mul_i32 s4, s6, s4
	s_delay_alu instid0(SALU_CYCLE_1) | instskip(NEXT) | instid1(SALU_CYCLE_1)
	s_mul_i32 s4, s4, s5
	s_cmpk_lg_i32 s4, 0x100
	s_cbranch_scc1 .LBB50_190
; %bb.1:
	s_load_b256 s[4:11], s[0:1], 0x8
	s_mov_b32 s12, s15
	s_mov_b64 s[20:21], 0
	s_waitcnt lgkmcnt(0)
	s_mul_i32 s7, s15, s7
	s_mul_hi_u32 s13, s15, s6
	s_mul_i32 s6, s15, s6
	s_add_i32 s7, s13, s7
	s_delay_alu instid0(SALU_CYCLE_1) | instskip(NEXT) | instid1(SALU_CYCLE_1)
	s_lshl_b64 s[6:7], s[6:7], 4
	s_add_u32 s4, s4, s6
	s_addc_u32 s5, s5, s7
	s_load_b128 s[4:7], s[4:5], 0x0
	s_waitcnt lgkmcnt(0)
	v_cmp_neq_f64_e64 s13, s[4:5], 0
	v_cmp_neq_f64_e64 s15, s[6:7], 0
	s_clause 0x1
	s_load_b64 s[16:17], s[0:1], 0x68
	s_load_b128 s[4:7], s[0:1], 0x58
	s_delay_alu instid0(VALU_DEP_1)
	s_or_b32 s15, s13, s15
	s_mov_b32 s13, 0
	s_and_b32 vcc_lo, exec_lo, s15
	s_cbranch_vccnz .LBB50_3
; %bb.2:
	s_waitcnt lgkmcnt(0)
	s_mul_i32 s7, s12, s7
	s_mul_hi_u32 s18, s12, s6
	s_mul_i32 s6, s12, s6
	s_add_i32 s7, s18, s7
	s_delay_alu instid0(SALU_CYCLE_1) | instskip(NEXT) | instid1(SALU_CYCLE_1)
	s_lshl_b64 s[6:7], s[6:7], 4
	s_add_u32 s4, s4, s6
	s_addc_u32 s5, s5, s7
	s_load_b128 s[4:7], s[4:5], 0x0
	s_waitcnt lgkmcnt(0)
	v_cmp_neq_f64_e64 s4, s[4:5], 1.0
	v_cmp_neq_f64_e64 s5, s[6:7], 0
	s_delay_alu instid0(VALU_DEP_1)
	s_or_b32 s4, s4, s5
	s_cbranch_execz .LBB50_4
	s_branch .LBB50_5
.LBB50_3:
	s_waitcnt lgkmcnt(0)
	s_mov_b32 s4, s13
                                        ; implicit-def: $sgpr20_sgpr21
.LBB50_4:
	s_lshl_b64 s[4:5], s[12:13], 3
	s_delay_alu instid0(SALU_CYCLE_1)
	s_add_u32 s4, s8, s4
	s_addc_u32 s5, s9, s5
	s_lshl_b64 s[6:7], s[10:11], 4
	s_load_b64 s[4:5], s[4:5], 0x0
	s_waitcnt lgkmcnt(0)
	s_add_u32 s20, s4, s6
	s_addc_u32 s21, s5, s7
	s_mov_b32 s4, -1
.LBB50_5:
	s_delay_alu instid0(SALU_CYCLE_1)
	s_and_not1_b32 vcc_lo, exec_lo, s4
	s_cbranch_vccnz .LBB50_190
; %bb.6:
	v_cndmask_b32_e64 v1, 0, 1, s15
	s_and_not1_b32 vcc_lo, exec_lo, s15
	s_mov_b64 s[4:5], 0
	s_cbranch_vccnz .LBB50_8
; %bb.7:
	s_load_b128 s[4:7], s[0:1], 0x38
	s_lshl_b64 s[8:9], s[12:13], 3
	s_waitcnt lgkmcnt(0)
	s_add_u32 s4, s4, s8
	s_addc_u32 s5, s5, s9
	s_lshl_b64 s[6:7], s[6:7], 4
	s_load_b64 s[4:5], s[4:5], 0x0
	s_waitcnt lgkmcnt(0)
	s_add_u32 s4, s4, s6
	s_addc_u32 s5, s5, s7
.LBB50_8:
	s_delay_alu instid0(VALU_DEP_1)
	v_cmp_ne_u32_e32 vcc_lo, 1, v1
	s_cbranch_vccnz .LBB50_190
; %bb.9:
	s_clause 0x1
	s_load_b32 s7, s[0:1], 0x48
	s_load_b32 s13, s[0:1], 0x0
	v_and_b32_e32 v170, 0x3ff, v0
	s_lshl_b32 s10, s14, 6
	s_load_b32 s15, s[2:3], 0x0
	v_bfe_u32 v0, v0, 10, 10
	s_delay_alu instid0(VALU_DEP_2)
	v_add_nc_u32_e32 v2, s10, v170
	scratch_store_b32 off, v0, off offset:8 ; 4-byte Folded Spill
	v_mov_b32_e32 v1, v2
	scratch_store_b64 off, v[1:2], off offset:12 ; 8-byte Folded Spill
	s_waitcnt lgkmcnt(0)
	v_mul_lo_u32 v1, v2, s7
	s_ashr_i32 s28, s13, 31
	s_delay_alu instid0(SALU_CYCLE_1) | instskip(SKIP_2) | instid1(SALU_CYCLE_1)
	s_lshr_b32 s2, s28, 26
	s_add_i32 s3, s15, -1
	s_add_i32 s2, s13, s2
	s_and_not1_b32 s2, s2, 63
	s_delay_alu instid0(VALU_DEP_1)
	v_ashrrev_i32_e32 v2, 31, v1
	s_sub_i32 s26, s13, s2
	v_cmp_eq_u32_e64 s2, 0, v0
	s_cmp_eq_u32 s14, s3
	s_mov_b32 s3, -1
	v_lshlrev_b64 v[1:2], 4, v[1:2]
	s_cselect_b32 s8, s26, 0
	s_delay_alu instid0(VALU_DEP_1) | instskip(NEXT) | instid1(VALU_DEP_2)
	v_add_co_u32 v36, vcc_lo, s4, v1
	v_add_co_ci_u32_e32 v37, vcc_lo, s5, v2, vcc_lo
	s_and_saveexec_b32 s4, s2
	s_cbranch_execz .LBB50_14
; %bb.10:
	v_cmp_le_i32_e32 vcc_lo, s8, v170
	s_cmp_lg_u32 s8, 0
	v_lshl_add_u32 v0, v170, 4, 0x4700
	s_cselect_b32 s5, -1, 0
	s_delay_alu instid0(SALU_CYCLE_1) | instskip(NEXT) | instid1(SALU_CYCLE_1)
	s_and_b32 s5, s5, vcc_lo
	s_and_saveexec_b32 s6, s5
	s_delay_alu instid0(SALU_CYCLE_1)
	s_xor_b32 s5, exec_lo, s6
	s_cbranch_execz .LBB50_12
; %bb.11:
	v_mov_b32_e32 v1, 0
	s_delay_alu instid0(VALU_DEP_1)
	v_mov_b32_e32 v2, v1
	v_mov_b32_e32 v3, v1
	v_mov_b32_e32 v4, v1
	ds_store_b128 v0, v[1:4]
                                        ; implicit-def: $vgpr0
.LBB50_12:
	s_and_not1_saveexec_b32 s5, s5
	s_cbranch_execz .LBB50_14
; %bb.13:
	flat_load_b128 v[1:4], v[36:37]
	s_waitcnt vmcnt(0) lgkmcnt(0)
	ds_store_2addr_b64 v0, v[1:2], v[3:4] offset1:1
.LBB50_14:
	s_or_b32 exec_lo, exec_lo, s4
	scratch_load_b32 v0, off, off offset:8  ; 4-byte Folded Reload
	s_load_b32 s18, s[0:1], 0x28
	v_and_b32_e32 v4, 31, v170
	s_ashr_i32 s11, s10, 31
	s_delay_alu instid0(SALU_CYCLE_1) | instskip(NEXT) | instid1(SALU_CYCLE_1)
	s_lshl_b64 s[0:1], s[10:11], 4
	s_add_u32 s4, s20, s0
	s_addc_u32 s5, s21, s1
	v_lshlrev_b32_e32 v11, 4, v4
	s_waitcnt lgkmcnt(0)
	s_mul_i32 s0, s10, s18
	s_delay_alu instid0(SALU_CYCLE_1) | instskip(NEXT) | instid1(SALU_CYCLE_1)
	s_ashr_i32 s1, s0, 31
	s_lshl_b64 s[0:1], s[0:1], 4
	s_delay_alu instid0(SALU_CYCLE_1)
	s_add_u32 s4, s0, s4
	s_addc_u32 s5, s1, s5
	s_cmp_eq_u32 s8, 0
	v_cmp_gt_i32_e64 s0, s8, v4
	s_cselect_b32 s27, -1, 0
	s_cmp_lg_u32 s8, 0
	s_cselect_b32 s11, -1, 0
	s_delay_alu instid0(SALU_CYCLE_1) | instskip(SKIP_2) | instid1(VALU_DEP_1)
	s_and_b32 vcc_lo, exec_lo, s11
	s_waitcnt vmcnt(0)
	v_lshl_add_u32 v42, v0, 6, v170
	v_lshrrev_b32_e32 v9, 5, v42
	s_delay_alu instid0(VALU_DEP_1) | instskip(SKIP_1) | instid1(VALU_DEP_2)
	v_mad_u64_u32 v[0:1], null, v9, s18, v[4:5]
	v_mul_u32_u24_e32 v10, 33, v9
	v_ashrrev_i32_e32 v1, 31, v0
	s_delay_alu instid0(VALU_DEP_1) | instskip(NEXT) | instid1(VALU_DEP_1)
	v_lshlrev_b64 v[38:39], 4, v[0:1]
	v_add_co_u32 v0, s1, s4, v38
	s_delay_alu instid0(VALU_DEP_1)
	v_add_co_ci_u32_e64 v1, s1, s5, v39, s1
	s_cbranch_vccz .LBB50_32
; %bb.15:
	s_delay_alu instid0(VALU_DEP_2) | instskip(SKIP_1) | instid1(VALU_DEP_2)
	v_sub_co_u32 v2, vcc_lo, v0, v11
	s_ashr_i32 s9, s8, 31
	v_subrev_co_ci_u32_e32 v3, vcc_lo, 0, v1, vcc_lo
	s_lshl_b64 s[4:5], s[8:9], 4
	v_add_lshl_u32 v5, v10, v4, 4
	v_add_co_u32 v2, vcc_lo, v2, s4
	s_delay_alu instid0(VALU_DEP_3) | instskip(SKIP_1) | instid1(VALU_DEP_2)
	v_add_co_ci_u32_e32 v3, vcc_lo, s5, v3, vcc_lo
	s_mov_b32 s1, exec_lo
	v_add_co_u32 v2, vcc_lo, v2, -16
	s_delay_alu instid0(VALU_DEP_2) | instskip(NEXT) | instid1(VALU_DEP_2)
	v_add_co_ci_u32_e32 v3, vcc_lo, -1, v3, vcc_lo
	v_cndmask_b32_e64 v2, v2, v0, s0
	s_delay_alu instid0(VALU_DEP_2)
	v_cndmask_b32_e64 v3, v3, v1, s0
	v_cmpx_le_i32_e64 s8, v9
	s_xor_b32 s1, exec_lo, s1
	s_cbranch_execz .LBB50_17
; %bb.16:
	v_mov_b32_e32 v12, 0
	s_delay_alu instid0(VALU_DEP_1)
	v_mov_b32_e32 v13, v12
	v_mov_b32_e32 v14, v12
	;; [unrolled: 1-line block ×3, first 2 shown]
	ds_store_b128 v5, v[12:15]
.LBB50_17:
	s_and_not1_saveexec_b32 s1, s1
	s_cbranch_execz .LBB50_19
; %bb.18:
	flat_load_b128 v[12:15], v[2:3]
	s_waitcnt vmcnt(0) lgkmcnt(0)
	ds_store_2addr_b64 v5, v[12:13], v[14:15] offset1:1
.LBB50_19:
	s_or_b32 exec_lo, exec_lo, s1
	v_add_nc_u32_e32 v6, 8, v9
	s_mov_b32 s1, exec_lo
	s_delay_alu instid0(VALU_DEP_1)
	v_cmpx_le_i32_e64 s8, v6
	s_xor_b32 s1, exec_lo, s1
	s_cbranch_execz .LBB50_21
; %bb.20:
	v_mul_u32_u24_e32 v6, 33, v6
	v_mov_b32_e32 v12, 0
	s_delay_alu instid0(VALU_DEP_2) | instskip(NEXT) | instid1(VALU_DEP_2)
	v_add_lshl_u32 v6, v6, v4, 4
	v_mov_b32_e32 v13, v12
	v_mov_b32_e32 v14, v12
	;; [unrolled: 1-line block ×3, first 2 shown]
	ds_store_b128 v6, v[12:15]
.LBB50_21:
	s_and_not1_saveexec_b32 s1, s1
	s_cbranch_execz .LBB50_23
; %bb.22:
	s_lshl_b32 s20, s18, 3
	s_delay_alu instid0(SALU_CYCLE_1) | instskip(NEXT) | instid1(SALU_CYCLE_1)
	s_ashr_i32 s21, s20, 31
	s_lshl_b64 s[20:21], s[20:21], 4
	s_delay_alu instid0(SALU_CYCLE_1)
	v_add_co_u32 v6, vcc_lo, v2, s20
	v_add_co_ci_u32_e32 v7, vcc_lo, s21, v3, vcc_lo
	flat_load_b128 v[12:15], v[6:7]
	v_add_nc_u32_e32 v6, 0x1080, v5
	s_waitcnt vmcnt(0) lgkmcnt(0)
	ds_store_2addr_b64 v6, v[12:13], v[14:15] offset1:1
.LBB50_23:
	s_or_b32 exec_lo, exec_lo, s1
	v_add_nc_u32_e32 v6, 16, v9
	s_mov_b32 s1, exec_lo
	s_delay_alu instid0(VALU_DEP_1)
	v_cmpx_le_i32_e64 s8, v6
	s_xor_b32 s1, exec_lo, s1
	s_cbranch_execz .LBB50_25
; %bb.24:
	v_mul_u32_u24_e32 v6, 33, v6
	v_mov_b32_e32 v12, 0
	s_delay_alu instid0(VALU_DEP_2) | instskip(NEXT) | instid1(VALU_DEP_2)
	v_add_lshl_u32 v6, v6, v4, 4
	v_mov_b32_e32 v13, v12
	v_mov_b32_e32 v14, v12
	;; [unrolled: 1-line block ×3, first 2 shown]
	ds_store_b128 v6, v[12:15]
.LBB50_25:
	s_and_not1_saveexec_b32 s1, s1
	s_cbranch_execz .LBB50_27
; %bb.26:
	s_lshl_b32 s20, s18, 4
	s_delay_alu instid0(SALU_CYCLE_1) | instskip(NEXT) | instid1(SALU_CYCLE_1)
	s_ashr_i32 s21, s20, 31
	s_lshl_b64 s[20:21], s[20:21], 4
	s_delay_alu instid0(SALU_CYCLE_1)
	v_add_co_u32 v6, vcc_lo, v2, s20
	v_add_co_ci_u32_e32 v7, vcc_lo, s21, v3, vcc_lo
	flat_load_b128 v[12:15], v[6:7]
	v_add_nc_u32_e32 v6, 0x2100, v5
	s_waitcnt vmcnt(0) lgkmcnt(0)
	ds_store_2addr_b64 v6, v[12:13], v[14:15] offset1:1
.LBB50_27:
	s_or_b32 exec_lo, exec_lo, s1
	v_add_nc_u32_e32 v6, 24, v9
	s_mov_b32 s1, exec_lo
	s_delay_alu instid0(VALU_DEP_1)
	v_cmpx_le_i32_e64 s8, v6
	s_xor_b32 s1, exec_lo, s1
	s_cbranch_execz .LBB50_29
; %bb.28:
	v_mov_b32_e32 v12, 0
	s_delay_alu instid0(VALU_DEP_1)
	v_mov_b32_e32 v13, v12
	v_mov_b32_e32 v14, v12
	;; [unrolled: 1-line block ×3, first 2 shown]
	ds_store_b128 v5, v[12:15] offset:12672
                                        ; implicit-def: $vgpr5
.LBB50_29:
	s_and_not1_saveexec_b32 s1, s1
	s_cbranch_execz .LBB50_31
; %bb.30:
	s_mul_i32 s20, s18, 24
	v_add_nc_u32_e32 v5, 0x3180, v5
	s_ashr_i32 s21, s20, 31
	s_delay_alu instid0(SALU_CYCLE_1) | instskip(NEXT) | instid1(SALU_CYCLE_1)
	s_lshl_b64 s[20:21], s[20:21], 4
	v_add_co_u32 v6, vcc_lo, v2, s20
	v_add_co_ci_u32_e32 v7, vcc_lo, s21, v3, vcc_lo
	flat_load_b128 v[12:15], v[6:7]
	s_waitcnt vmcnt(0) lgkmcnt(0)
	ds_store_2addr_b64 v5, v[12:13], v[14:15] offset1:1
.LBB50_31:
	s_or_b32 exec_lo, exec_lo, s1
	v_add_co_u32 v2, vcc_lo, v2, v11
	v_add_co_ci_u32_e32 v3, vcc_lo, 0, v3, vcc_lo
	s_delay_alu instid0(VALU_DEP_2) | instskip(NEXT) | instid1(VALU_DEP_2)
	v_sub_co_u32 v2, vcc_lo, v2, s4
	v_subrev_co_ci_u32_e32 v3, vcc_lo, s5, v3, vcc_lo
	s_delay_alu instid0(VALU_DEP_2) | instskip(NEXT) | instid1(VALU_DEP_2)
	v_add_co_u32 v2, vcc_lo, v2, 16
	v_add_co_ci_u32_e32 v3, vcc_lo, 0, v3, vcc_lo
	s_delay_alu instid0(VALU_DEP_2) | instskip(NEXT) | instid1(VALU_DEP_2)
	v_cndmask_b32_e64 v5, v2, v0, s0
	v_cndmask_b32_e64 v6, v3, v1, s0
	s_branch .LBB50_34
.LBB50_32:
                                        ; implicit-def: $vgpr5_vgpr6
	s_and_b32 vcc_lo, exec_lo, s3
	s_cbranch_vccz .LBB50_34
; %bb.33:
	flat_load_b128 v[5:8], v[0:1]
	s_lshl_b32 s0, s18, 3
	v_add_lshl_u32 v16, v10, v4, 4
	s_ashr_i32 s1, s0, 31
	s_ashr_i32 s19, s18, 31
	s_lshl_b64 s[0:1], s[0:1], 4
	s_delay_alu instid0(SALU_CYCLE_1)
	v_add_co_u32 v2, vcc_lo, v0, s0
	v_add_co_ci_u32_e32 v3, vcc_lo, s1, v1, vcc_lo
	s_lshl_b64 s[0:1], s[18:19], 7
	v_add_nc_u32_e32 v12, 0x1080, v16
	s_waitcnt vmcnt(0) lgkmcnt(0)
	ds_store_2addr_b64 v16, v[5:6], v[7:8] offset1:1
	flat_load_b128 v[5:8], v[2:3]
	v_add_co_u32 v2, vcc_lo, v2, s0
	v_add_co_ci_u32_e32 v3, vcc_lo, s1, v3, vcc_lo
	s_waitcnt vmcnt(0) lgkmcnt(0)
	ds_store_2addr_b64 v12, v[5:6], v[7:8] offset1:1
	flat_load_b128 v[5:8], v[2:3]
	v_add_co_u32 v2, vcc_lo, v2, s0
	v_add_nc_u32_e32 v12, 0x2100, v16
	v_add_co_ci_u32_e32 v3, vcc_lo, s1, v3, vcc_lo
	s_waitcnt vmcnt(0) lgkmcnt(0)
	ds_store_2addr_b64 v12, v[5:6], v[7:8] offset1:1
	flat_load_b128 v[12:15], v[2:3]
	v_dual_mov_b32 v6, v1 :: v_dual_mov_b32 v5, v0
	v_add_nc_u32_e32 v2, 0x3180, v16
	s_waitcnt vmcnt(0) lgkmcnt(0)
	ds_store_2addr_b64 v2, v[12:13], v[14:15] offset1:1
.LBB50_34:
	v_lshlrev_b32_e32 v17, 2, v9
	s_waitcnt lgkmcnt(0)
	s_waitcnt_vscnt null, 0x0
	s_barrier
	buffer_gl0_inv
	v_cmp_le_u32_e64 s1, v17, v4
	s_delay_alu instid0(VALU_DEP_1) | instskip(NEXT) | instid1(SALU_CYCLE_1)
	s_and_saveexec_b32 s0, s1
	s_xor_b32 s0, exec_lo, s0
	s_cbranch_execz .LBB50_38
; %bb.35:
	s_mov_b32 s3, exec_lo
	v_cmpx_eq_u32_e64 v17, v4
	s_cbranch_execz .LBB50_37
; %bb.36:
	v_mul_u32_u24_e32 v1, 34, v4
	v_mov_b32_e32 v0, 0
	s_delay_alu instid0(VALU_DEP_1)
	v_dual_mov_b32 v1, v0 :: v_dual_lshlrev_b32 v2, 4, v1
	ds_store_b64 v2, v[0:1] offset:8
.LBB50_37:
	s_or_b32 exec_lo, exec_lo, s3
.LBB50_38:
	s_or_saveexec_b32 s0, s0
	v_mul_u32_u24_e32 v12, 33, v4
	v_mul_u32_u24_e32 v1, 0x84, v9
	s_delay_alu instid0(VALU_DEP_2)
	v_add_lshl_u32 v15, v17, v12, 4
	s_xor_b32 exec_lo, exec_lo, s0
	s_cbranch_execz .LBB50_40
; %bb.39:
	s_delay_alu instid0(VALU_DEP_2)
	v_add_lshl_u32 v0, v1, v4, 4
	ds_load_b128 v[18:21], v0
	s_waitcnt lgkmcnt(0)
	v_xor_b32_e32 v21, 0x80000000, v21
	ds_store_b128 v15, v[18:21]
.LBB50_40:
	s_or_b32 exec_lo, exec_lo, s0
	v_or_b32_e32 v16, 1, v17
	v_cmp_ge_u32_e64 s3, v17, v4
	s_delay_alu instid0(VALU_DEP_2) | instskip(NEXT) | instid1(VALU_DEP_2)
	v_mul_u32_u24_e32 v0, 33, v16
	s_and_saveexec_b32 s0, s3
	s_delay_alu instid0(SALU_CYCLE_1)
	s_xor_b32 s0, exec_lo, s0
	s_cbranch_execz .LBB50_42
; %bb.41:
	s_delay_alu instid0(VALU_DEP_1)
	v_add_lshl_u32 v2, v0, v4, 4
	ds_load_b128 v[18:21], v2
	s_waitcnt lgkmcnt(0)
	v_xor_b32_e32 v21, 0x80000000, v21
	ds_store_b128 v15, v[18:21] offset:16
.LBB50_42:
	s_and_not1_saveexec_b32 s0, s0
	s_cbranch_execz .LBB50_46
; %bb.43:
	s_mov_b32 s4, exec_lo
	v_cmpx_eq_u32_e64 v16, v4
	s_cbranch_execz .LBB50_45
; %bb.44:
	v_mul_u32_u24_e32 v3, 34, v4
	s_delay_alu instid0(VALU_DEP_1) | instskip(NEXT) | instid1(VALU_DEP_1)
	v_dual_mov_b32 v2, 0 :: v_dual_lshlrev_b32 v7, 4, v3
	v_mov_b32_e32 v3, v2
	ds_store_b64 v7, v[2:3] offset:8
.LBB50_45:
	s_or_b32 exec_lo, exec_lo, s4
.LBB50_46:
	s_delay_alu instid0(SALU_CYCLE_1) | instskip(SKIP_1) | instid1(VALU_DEP_1)
	s_or_b32 exec_lo, exec_lo, s0
	v_or_b32_e32 v18, 2, v17
	v_cmp_le_u32_e64 s4, v18, v4
	s_delay_alu instid0(VALU_DEP_1) | instskip(NEXT) | instid1(SALU_CYCLE_1)
	s_and_saveexec_b32 s0, s4
	s_xor_b32 s0, exec_lo, s0
	s_cbranch_execz .LBB50_50
; %bb.47:
	s_mov_b32 s5, exec_lo
	v_cmpx_eq_u32_e64 v18, v4
	s_cbranch_execz .LBB50_49
; %bb.48:
	v_mul_u32_u24_e32 v3, 34, v4
	s_delay_alu instid0(VALU_DEP_1) | instskip(NEXT) | instid1(VALU_DEP_1)
	v_dual_mov_b32 v2, 0 :: v_dual_lshlrev_b32 v7, 4, v3
	v_mov_b32_e32 v3, v2
	ds_store_b64 v7, v[2:3] offset:8
.LBB50_49:
	s_or_b32 exec_lo, exec_lo, s5
.LBB50_50:
	s_and_not1_saveexec_b32 s0, s0
	s_cbranch_execz .LBB50_52
; %bb.51:
	v_mul_u32_u24_e32 v2, 33, v18
	s_delay_alu instid0(VALU_DEP_1)
	v_add_lshl_u32 v2, v2, v4, 4
	ds_load_b128 v[19:22], v2
	s_waitcnt lgkmcnt(0)
	v_xor_b32_e32 v22, 0x80000000, v22
	ds_store_b128 v15, v[19:22] offset:32
.LBB50_52:
	s_or_b32 exec_lo, exec_lo, s0
	v_or_b32_e32 v19, 3, v17
	s_delay_alu instid0(VALU_DEP_1) | instskip(NEXT) | instid1(VALU_DEP_1)
	v_cmp_le_u32_e64 s5, v19, v4
	s_and_saveexec_b32 s0, s5
	s_delay_alu instid0(SALU_CYCLE_1)
	s_xor_b32 s0, exec_lo, s0
	s_cbranch_execz .LBB50_56
; %bb.53:
	s_mov_b32 s6, exec_lo
	v_cmpx_eq_u32_e64 v19, v4
	s_cbranch_execz .LBB50_55
; %bb.54:
	v_mul_u32_u24_e32 v3, 34, v4
	s_delay_alu instid0(VALU_DEP_1) | instskip(NEXT) | instid1(VALU_DEP_1)
	v_dual_mov_b32 v2, 0 :: v_dual_lshlrev_b32 v7, 4, v3
	v_mov_b32_e32 v3, v2
	ds_store_b64 v7, v[2:3] offset:8
.LBB50_55:
	s_or_b32 exec_lo, exec_lo, s6
.LBB50_56:
	s_and_not1_saveexec_b32 s0, s0
	s_cbranch_execz .LBB50_58
; %bb.57:
	v_mul_u32_u24_e32 v2, 33, v19
	s_delay_alu instid0(VALU_DEP_1)
	v_add_lshl_u32 v2, v2, v4, 4
	ds_load_b128 v[20:23], v2
	s_waitcnt lgkmcnt(0)
	v_xor_b32_e32 v23, 0x80000000, v23
	ds_store_b128 v15, v[20:23] offset:48
.LBB50_58:
	s_or_b32 exec_lo, exec_lo, s0
	v_add_lshl_u32 v13, v1, v4, 4
	v_lshlrev_b32_e32 v20, 4, v17
	s_waitcnt lgkmcnt(0)
	s_barrier
	buffer_gl0_inv
	ds_load_b128 v[21:24], v13
	ds_load_b128 v[25:28], v20 offset:18176
	v_add_lshl_u32 v14, v0, v4, 4
	ds_load_b128 v[0:3], v20 offset:18192
	ds_load_b128 v[29:32], v14
	v_cmp_gt_u32_e64 s0, 32, v42
	s_waitcnt lgkmcnt(2)
	v_mul_f64 v[7:8], v[27:28], v[23:24]
	v_mul_f64 v[23:24], v[25:26], v[23:24]
	s_waitcnt lgkmcnt(0)
	v_mul_f64 v[40:41], v[2:3], v[31:32]
	v_mul_f64 v[47:48], v[0:1], v[31:32]
	s_delay_alu instid0(VALU_DEP_4) | instskip(NEXT) | instid1(VALU_DEP_4)
	v_fma_f64 v[7:8], v[25:26], v[21:22], -v[7:8]
	v_fma_f64 v[49:50], v[27:28], v[21:22], v[23:24]
	ds_load_b128 v[21:24], v14 offset:528
	ds_load_b128 v[25:28], v20 offset:18208
	;; [unrolled: 1-line block ×4, first 2 shown]
	s_waitcnt lgkmcnt(0)
	s_barrier
	v_fma_f64 v[0:1], v[0:1], v[29:30], -v[40:41]
	v_fma_f64 v[2:3], v[2:3], v[29:30], v[47:48]
	buffer_gl0_inv
	v_mul_f64 v[51:52], v[27:28], v[23:24]
	v_mul_f64 v[23:24], v[25:26], v[23:24]
	;; [unrolled: 1-line block ×4, first 2 shown]
	v_add_f64 v[7:8], v[7:8], 0
	v_add_f64 v[29:30], v[49:50], 0
	v_fma_f64 v[25:26], v[25:26], v[21:22], -v[51:52]
	v_fma_f64 v[21:22], v[27:28], v[21:22], v[23:24]
	v_fma_f64 v[23:24], v[33:34], v[43:44], v[45:46]
	v_add_f64 v[0:1], v[7:8], v[0:1]
	v_add_f64 v[2:3], v[29:30], v[2:3]
	v_fma_f64 v[7:8], v[31:32], v[43:44], -v[40:41]
	v_add_lshl_u32 v44, v9, v12, 4
	v_lshlrev_b32_e32 v43, 4, v12
	v_add_f64 v[0:1], v[0:1], v[25:26]
	v_add_f64 v[2:3], v[2:3], v[21:22]
	s_delay_alu instid0(VALU_DEP_2) | instskip(NEXT) | instid1(VALU_DEP_2)
	v_add_f64 v[21:22], v[0:1], v[7:8]
	v_add_f64 v[23:24], v[2:3], v[23:24]
	v_mov_b32_e32 v0, 0
	v_mov_b32_e32 v1, 0
	s_delay_alu instid0(VALU_DEP_1)
	v_dual_mov_b32 v3, v1 :: v_dual_mov_b32 v2, v0
	ds_store_b128 v44, v[21:24]
	s_waitcnt lgkmcnt(0)
	s_barrier
	buffer_gl0_inv
	s_and_saveexec_b32 s6, s0
	s_cbranch_execz .LBB50_60
; %bb.59:
	ds_load_b128 v[0:3], v43
	ds_load_b128 v[21:24], v43 offset:16
	s_waitcnt lgkmcnt(0)
	v_add_f64 v[7:8], v[21:22], v[0:1]
	v_add_f64 v[25:26], v[23:24], v[2:3]
	ds_load_b128 v[0:3], v43 offset:32
	ds_load_b128 v[21:24], v43 offset:48
	s_waitcnt lgkmcnt(1)
	v_add_f64 v[0:1], v[7:8], v[0:1]
	v_add_f64 v[2:3], v[25:26], v[2:3]
	s_waitcnt lgkmcnt(0)
	s_delay_alu instid0(VALU_DEP_2) | instskip(NEXT) | instid1(VALU_DEP_2)
	v_add_f64 v[7:8], v[0:1], v[21:22]
	v_add_f64 v[25:26], v[2:3], v[23:24]
	ds_load_b128 v[0:3], v43 offset:64
	ds_load_b128 v[21:24], v43 offset:80
	s_waitcnt lgkmcnt(1)
	v_add_f64 v[0:1], v[7:8], v[0:1]
	v_add_f64 v[2:3], v[25:26], v[2:3]
	s_waitcnt lgkmcnt(0)
	s_delay_alu instid0(VALU_DEP_2) | instskip(NEXT) | instid1(VALU_DEP_2)
	;; [unrolled: 9-line block ×3, first 2 shown]
	v_add_f64 v[0:1], v[0:1], v[21:22]
	v_add_f64 v[2:3], v[2:3], v[23:24]
.LBB50_60:
	s_or_b32 exec_lo, exec_lo, s6
	s_lshl_b32 s22, s18, 5
	s_delay_alu instid0(SALU_CYCLE_1)
	s_ashr_i32 s23, s22, 31
	s_barrier
	s_lshl_b64 s[20:21], s[22:23], 4
	buffer_gl0_inv
	v_add_co_u32 v21, vcc_lo, v5, s20
	v_add_co_ci_u32_e32 v22, vcc_lo, s21, v6, vcc_lo
	s_delay_alu instid0(VALU_DEP_2) | instskip(NEXT) | instid1(VALU_DEP_2)
	v_add_co_u32 v7, vcc_lo, 0x200, v21
	v_add_co_ci_u32_e32 v8, vcc_lo, 0, v22, vcc_lo
	s_and_b32 vcc_lo, exec_lo, s11
	s_cbranch_vccz .LBB50_78
; %bb.61:
	v_or_b32_e32 v5, 32, v4
	s_ashr_i32 s9, s8, 31
	s_delay_alu instid0(SALU_CYCLE_1) | instskip(SKIP_1) | instid1(VALU_DEP_1)
	s_lshl_b64 s[24:25], s[8:9], 4
	s_sub_i32 s9, s8, 32
	v_lshlrev_b32_e32 v6, 4, v5
	v_cmp_le_i32_e64 s6, s9, v9
	s_delay_alu instid0(VALU_DEP_2) | instskip(SKIP_1) | instid1(VALU_DEP_2)
	v_sub_co_u32 v6, vcc_lo, v7, v6
	v_subrev_co_ci_u32_e32 v23, vcc_lo, 0, v8, vcc_lo
	v_add_co_u32 v6, vcc_lo, v6, s24
	s_delay_alu instid0(VALU_DEP_2) | instskip(NEXT) | instid1(VALU_DEP_2)
	v_add_co_ci_u32_e32 v23, vcc_lo, s25, v23, vcc_lo
	v_add_co_u32 v24, vcc_lo, v6, -16
	s_delay_alu instid0(VALU_DEP_2) | instskip(SKIP_2) | instid1(VALU_DEP_3)
	v_add_co_ci_u32_e32 v6, vcc_lo, -1, v23, vcc_lo
	v_cmp_gt_i32_e32 vcc_lo, s8, v5
	v_add_lshl_u32 v23, v10, v4, 4
	v_dual_cndmask_b32 v5, v24, v7 :: v_dual_cndmask_b32 v6, v6, v8
	s_and_saveexec_b32 s19, s6
	s_delay_alu instid0(SALU_CYCLE_1)
	s_xor_b32 s6, exec_lo, s19
	s_cbranch_execz .LBB50_63
; %bb.62:
	v_mov_b32_e32 v24, 0
	s_delay_alu instid0(VALU_DEP_1)
	v_mov_b32_e32 v25, v24
	v_mov_b32_e32 v26, v24
	;; [unrolled: 1-line block ×3, first 2 shown]
	ds_store_b128 v23, v[24:27]
.LBB50_63:
	s_and_not1_saveexec_b32 s6, s6
	s_cbranch_execz .LBB50_65
; %bb.64:
	flat_load_b128 v[24:27], v[5:6]
	s_waitcnt vmcnt(0) lgkmcnt(0)
	ds_store_2addr_b64 v23, v[24:25], v[26:27] offset1:1
.LBB50_65:
	s_or_b32 exec_lo, exec_lo, s6
	v_add_nc_u32_e32 v24, 8, v9
	s_delay_alu instid0(VALU_DEP_1) | instskip(NEXT) | instid1(VALU_DEP_1)
	v_cmp_le_i32_e64 s6, s9, v24
	s_and_saveexec_b32 s19, s6
	s_delay_alu instid0(SALU_CYCLE_1)
	s_xor_b32 s6, exec_lo, s19
	s_cbranch_execz .LBB50_67
; %bb.66:
	v_mul_u32_u24_e32 v25, 33, v24
	v_mov_b32_e32 v24, 0
	s_delay_alu instid0(VALU_DEP_2) | instskip(NEXT) | instid1(VALU_DEP_2)
	v_add_lshl_u32 v28, v25, v4, 4
	v_mov_b32_e32 v25, v24
	v_mov_b32_e32 v26, v24
	;; [unrolled: 1-line block ×3, first 2 shown]
	ds_store_b128 v28, v[24:27]
.LBB50_67:
	s_and_not1_saveexec_b32 s19, s6
	s_cbranch_execz .LBB50_69
; %bb.68:
	s_lshl_b32 s30, s18, 3
	v_add_nc_u32_e32 v28, 0x1080, v23
	s_ashr_i32 s31, s30, 31
	s_delay_alu instid0(SALU_CYCLE_1) | instskip(NEXT) | instid1(SALU_CYCLE_1)
	s_lshl_b64 s[30:31], s[30:31], 4
	v_add_co_u32 v24, s6, v5, s30
	s_delay_alu instid0(VALU_DEP_1)
	v_add_co_ci_u32_e64 v25, s6, s31, v6, s6
	flat_load_b128 v[24:27], v[24:25]
	s_waitcnt vmcnt(0) lgkmcnt(0)
	ds_store_2addr_b64 v28, v[24:25], v[26:27] offset1:1
.LBB50_69:
	s_or_b32 exec_lo, exec_lo, s19
	v_add_nc_u32_e32 v24, 16, v9
	s_delay_alu instid0(VALU_DEP_1) | instskip(NEXT) | instid1(VALU_DEP_1)
	v_cmp_le_i32_e64 s6, s9, v24
	s_and_saveexec_b32 s19, s6
	s_delay_alu instid0(SALU_CYCLE_1)
	s_xor_b32 s6, exec_lo, s19
	s_cbranch_execz .LBB50_71
; %bb.70:
	v_mul_u32_u24_e32 v25, 33, v24
	v_mov_b32_e32 v24, 0
	s_delay_alu instid0(VALU_DEP_2) | instskip(NEXT) | instid1(VALU_DEP_2)
	v_add_lshl_u32 v28, v25, v4, 4
	v_mov_b32_e32 v25, v24
	v_mov_b32_e32 v26, v24
	;; [unrolled: 1-line block ×3, first 2 shown]
	ds_store_b128 v28, v[24:27]
.LBB50_71:
	s_and_not1_saveexec_b32 s19, s6
	s_cbranch_execz .LBB50_73
; %bb.72:
	s_lshl_b32 s30, s18, 4
	v_add_nc_u32_e32 v28, 0x2100, v23
	s_ashr_i32 s31, s30, 31
	s_delay_alu instid0(SALU_CYCLE_1) | instskip(NEXT) | instid1(SALU_CYCLE_1)
	s_lshl_b64 s[30:31], s[30:31], 4
	v_add_co_u32 v24, s6, v5, s30
	s_delay_alu instid0(VALU_DEP_1)
	v_add_co_ci_u32_e64 v25, s6, s31, v6, s6
	flat_load_b128 v[24:27], v[24:25]
	s_waitcnt vmcnt(0) lgkmcnt(0)
	ds_store_2addr_b64 v28, v[24:25], v[26:27] offset1:1
.LBB50_73:
	s_or_b32 exec_lo, exec_lo, s19
	v_add_nc_u32_e32 v24, 24, v9
	s_delay_alu instid0(VALU_DEP_1) | instskip(NEXT) | instid1(VALU_DEP_1)
	v_cmp_le_i32_e64 s6, s9, v24
	s_and_saveexec_b32 s9, s6
	s_delay_alu instid0(SALU_CYCLE_1)
	s_xor_b32 s6, exec_lo, s9
	s_cbranch_execz .LBB50_75
; %bb.74:
	v_mov_b32_e32 v24, 0
	s_delay_alu instid0(VALU_DEP_1)
	v_mov_b32_e32 v25, v24
	v_mov_b32_e32 v26, v24
	;; [unrolled: 1-line block ×3, first 2 shown]
	ds_store_b128 v23, v[24:27] offset:12672
                                        ; implicit-def: $vgpr23
.LBB50_75:
	s_and_not1_saveexec_b32 s9, s6
	s_cbranch_execz .LBB50_77
; %bb.76:
	s_mul_i32 s30, s18, 24
	v_add_nc_u32_e32 v23, 0x3180, v23
	s_ashr_i32 s31, s30, 31
	s_delay_alu instid0(SALU_CYCLE_1) | instskip(NEXT) | instid1(SALU_CYCLE_1)
	s_lshl_b64 s[30:31], s[30:31], 4
	v_add_co_u32 v24, s6, v5, s30
	s_delay_alu instid0(VALU_DEP_1)
	v_add_co_ci_u32_e64 v25, s6, s31, v6, s6
	flat_load_b128 v[24:27], v[24:25]
	s_waitcnt vmcnt(0) lgkmcnt(0)
	ds_store_2addr_b64 v23, v[24:25], v[26:27] offset1:1
.LBB50_77:
	s_or_b32 exec_lo, exec_lo, s9
	v_add_co_u32 v5, s6, v5, v11
	s_delay_alu instid0(VALU_DEP_1) | instskip(NEXT) | instid1(VALU_DEP_2)
	v_add_co_ci_u32_e64 v6, s6, 0, v6, s6
	v_sub_co_u32 v5, s6, v5, s24
	s_delay_alu instid0(VALU_DEP_1) | instskip(NEXT) | instid1(VALU_DEP_2)
	v_subrev_co_ci_u32_e64 v6, s6, s25, v6, s6
	v_add_co_u32 v5, s6, 0x210, v5
	s_delay_alu instid0(VALU_DEP_1) | instskip(NEXT) | instid1(VALU_DEP_1)
	v_add_co_ci_u32_e64 v6, s6, 0, v6, s6
	v_dual_cndmask_b32 v5, v5, v7 :: v_dual_cndmask_b32 v6, v6, v8
	s_branch .LBB50_80
.LBB50_78:
                                        ; implicit-def: $vgpr5_vgpr6
	s_cbranch_execz .LBB50_80
; %bb.79:
	flat_load_b128 v[23:26], v[7:8]
	s_lshl_b32 s24, s18, 3
	v_add_lshl_u32 v27, v10, v4, 4
	s_ashr_i32 s25, s24, 31
	s_ashr_i32 s19, s18, 31
	s_lshl_b64 s[24:25], s[24:25], 4
	s_delay_alu instid0(SALU_CYCLE_1)
	v_add_co_u32 v5, vcc_lo, v21, s24
	v_add_co_ci_u32_e32 v6, vcc_lo, s25, v22, vcc_lo
	s_lshl_b64 s[24:25], s[18:19], 7
	s_waitcnt vmcnt(0) lgkmcnt(0)
	ds_store_2addr_b64 v27, v[23:24], v[25:26] offset1:1
	flat_load_b128 v[21:24], v[5:6] offset:512
	v_add_co_u32 v5, vcc_lo, v5, s24
	v_add_nc_u32_e32 v25, 0x1080, v27
	v_add_co_ci_u32_e32 v6, vcc_lo, s25, v6, vcc_lo
	s_waitcnt vmcnt(0) lgkmcnt(0)
	ds_store_2addr_b64 v25, v[21:22], v[23:24] offset1:1
	flat_load_b128 v[21:24], v[5:6] offset:512
	v_add_co_u32 v5, vcc_lo, v5, s24
	v_add_nc_u32_e32 v25, 0x2100, v27
	v_add_co_ci_u32_e32 v6, vcc_lo, s25, v6, vcc_lo
	s_waitcnt vmcnt(0) lgkmcnt(0)
	ds_store_2addr_b64 v25, v[21:22], v[23:24] offset1:1
	flat_load_b128 v[21:24], v[5:6] offset:512
	v_dual_mov_b32 v5, v7 :: v_dual_mov_b32 v6, v8
	v_add_nc_u32_e32 v25, 0x3180, v27
	s_waitcnt vmcnt(0) lgkmcnt(0)
	ds_store_2addr_b64 v25, v[21:22], v[23:24] offset1:1
.LBB50_80:
	s_waitcnt lgkmcnt(0)
	s_barrier
	buffer_gl0_inv
	s_and_saveexec_b32 s6, s1
	s_delay_alu instid0(SALU_CYCLE_1)
	s_xor_b32 s1, exec_lo, s6
	s_cbranch_execnz .LBB50_109
; %bb.81:
	s_and_not1_saveexec_b32 s1, s1
	s_cbranch_execnz .LBB50_112
.LBB50_82:
	s_or_b32 exec_lo, exec_lo, s1
	s_and_saveexec_b32 s1, s3
	s_delay_alu instid0(SALU_CYCLE_1)
	s_xor_b32 s1, exec_lo, s1
	s_cbranch_execnz .LBB50_113
.LBB50_83:
	s_and_not1_saveexec_b32 s1, s1
	s_cbranch_execnz .LBB50_114
.LBB50_84:
	s_or_b32 exec_lo, exec_lo, s1
	s_and_saveexec_b32 s1, s4
	s_delay_alu instid0(SALU_CYCLE_1)
	s_xor_b32 s1, exec_lo, s1
	s_cbranch_execnz .LBB50_117
.LBB50_85:
	s_and_not1_saveexec_b32 s1, s1
	s_cbranch_execnz .LBB50_120
.LBB50_86:
	s_or_b32 exec_lo, exec_lo, s1
	s_and_saveexec_b32 s1, s5
	s_delay_alu instid0(SALU_CYCLE_1)
	s_xor_b32 s1, exec_lo, s1
	s_cbranch_execnz .LBB50_121
.LBB50_87:
	s_or_saveexec_b32 s1, s1
	v_add_nc_u32_e32 v16, 0x4700, v20
	s_xor_b32 exec_lo, exec_lo, s1
	s_cbranch_execz .LBB50_89
.LBB50_88:
	ds_load_b128 v[17:20], v14 offset:1056
	s_waitcnt lgkmcnt(0)
	v_xor_b32_e32 v20, 0x80000000, v20
	ds_store_b128 v15, v[17:20] offset:48
.LBB50_89:
	s_or_b32 exec_lo, exec_lo, s1
	s_waitcnt lgkmcnt(0)
	s_barrier
	buffer_gl0_inv
	ds_load_b128 v[17:20], v16 offset:512
	ds_load_b128 v[21:24], v13
	v_cmp_eq_u32_e64 s1, 1, v9
	s_waitcnt lgkmcnt(0)
	v_mul_f64 v[7:8], v[19:20], v[23:24]
	v_mul_f64 v[40:41], v[17:18], v[23:24]
	ds_load_b128 v[23:26], v14
	ds_load_b128 v[27:30], v16 offset:528
	ds_load_b128 v[31:34], v16 offset:544
	s_waitcnt lgkmcnt(1)
	v_mul_f64 v[49:50], v[29:30], v[25:26]
	v_mul_f64 v[25:26], v[27:28], v[25:26]
	v_fma_f64 v[7:8], v[17:18], v[21:22], -v[7:8]
	v_fma_f64 v[21:22], v[19:20], v[21:22], v[40:41]
	ds_load_b128 v[17:20], v14 offset:528
	ds_load_b128 v[45:48], v14 offset:1056
	s_waitcnt lgkmcnt(1)
	v_mul_f64 v[40:41], v[33:34], v[19:20]
	v_mul_f64 v[51:52], v[31:32], v[19:20]
	v_fma_f64 v[27:28], v[27:28], v[23:24], -v[49:50]
	v_fma_f64 v[23:24], v[29:30], v[23:24], v[25:26]
	v_add_f64 v[7:8], v[7:8], 0
	v_add_f64 v[25:26], v[21:22], 0
	ds_load_b128 v[19:22], v16 offset:560
	s_waitcnt lgkmcnt(0)
	s_barrier
	buffer_gl0_inv
	v_fma_f64 v[31:32], v[31:32], v[17:18], -v[40:41]
	v_mul_f64 v[29:30], v[21:22], v[47:48]
	v_mul_f64 v[47:48], v[19:20], v[47:48]
	v_fma_f64 v[17:18], v[33:34], v[17:18], v[51:52]
	v_add_f64 v[7:8], v[7:8], v[27:28]
	v_add_f64 v[23:24], v[25:26], v[23:24]
	v_fma_f64 v[19:20], v[19:20], v[45:46], -v[29:30]
	v_fma_f64 v[21:22], v[21:22], v[45:46], v[47:48]
	s_delay_alu instid0(VALU_DEP_4) | instskip(NEXT) | instid1(VALU_DEP_4)
	v_add_f64 v[7:8], v[7:8], v[31:32]
	v_add_f64 v[23:24], v[23:24], v[17:18]
	s_delay_alu instid0(VALU_DEP_2) | instskip(NEXT) | instid1(VALU_DEP_2)
	v_add_f64 v[17:18], v[7:8], v[19:20]
	v_add_f64 v[19:20], v[23:24], v[21:22]
	ds_store_b128 v44, v[17:20]
	s_waitcnt lgkmcnt(0)
	s_barrier
	buffer_gl0_inv
	s_and_saveexec_b32 s3, s1
	s_cbranch_execz .LBB50_91
; %bb.90:
	ds_load_b128 v[0:3], v43
	ds_load_b128 v[17:20], v43 offset:16
	s_waitcnt lgkmcnt(0)
	v_add_f64 v[7:8], v[17:18], v[0:1]
	v_add_f64 v[21:22], v[19:20], v[2:3]
	ds_load_b128 v[0:3], v43 offset:32
	ds_load_b128 v[17:20], v43 offset:48
	s_waitcnt lgkmcnt(1)
	v_add_f64 v[0:1], v[7:8], v[0:1]
	v_add_f64 v[2:3], v[21:22], v[2:3]
	s_waitcnt lgkmcnt(0)
	s_delay_alu instid0(VALU_DEP_2) | instskip(NEXT) | instid1(VALU_DEP_2)
	v_add_f64 v[7:8], v[0:1], v[17:18]
	v_add_f64 v[21:22], v[2:3], v[19:20]
	ds_load_b128 v[0:3], v43 offset:64
	ds_load_b128 v[17:20], v43 offset:80
	s_waitcnt lgkmcnt(1)
	v_add_f64 v[0:1], v[7:8], v[0:1]
	v_add_f64 v[2:3], v[21:22], v[2:3]
	s_waitcnt lgkmcnt(0)
	s_delay_alu instid0(VALU_DEP_2) | instskip(NEXT) | instid1(VALU_DEP_2)
	;; [unrolled: 9-line block ×3, first 2 shown]
	v_add_f64 v[0:1], v[0:1], v[17:18]
	v_add_f64 v[2:3], v[2:3], v[19:20]
.LBB50_91:
	s_or_b32 exec_lo, exec_lo, s3
	v_add_co_u32 v5, vcc_lo, 0xfffffe00, v5
	v_add_co_ci_u32_e32 v6, vcc_lo, -1, v6, vcc_lo
	s_and_b32 vcc_lo, exec_lo, s11
	s_barrier
	buffer_gl0_inv
	s_cbranch_vccz .LBB50_124
; %bb.92:
	v_sub_co_u32 v7, vcc_lo, v5, v11
	s_ashr_i32 s9, s8, 31
	v_subrev_co_ci_u32_e32 v8, vcc_lo, 0, v6, vcc_lo
	s_lshl_b64 s[4:5], s[8:9], 4
	s_sub_i32 s6, s8, 32
	v_add_co_u32 v7, vcc_lo, v7, s4
	s_delay_alu instid0(VALU_DEP_2) | instskip(SKIP_1) | instid1(VALU_DEP_3)
	v_add_co_ci_u32_e32 v8, vcc_lo, s5, v8, vcc_lo
	v_cmp_le_i32_e64 s3, s6, v9
	v_add_co_u32 v7, vcc_lo, v7, -16
	s_delay_alu instid0(VALU_DEP_3) | instskip(SKIP_2) | instid1(VALU_DEP_3)
	v_add_co_ci_u32_e32 v8, vcc_lo, -1, v8, vcc_lo
	v_cmp_gt_i32_e32 vcc_lo, s8, v4
	v_add_lshl_u32 v19, v10, v4, 4
	v_dual_cndmask_b32 v8, v8, v6 :: v_dual_cndmask_b32 v7, v7, v5
	s_and_saveexec_b32 s9, s3
	s_delay_alu instid0(SALU_CYCLE_1)
	s_xor_b32 s3, exec_lo, s9
	s_cbranch_execz .LBB50_94
; %bb.93:
	v_mov_b32_e32 v20, 0
	s_delay_alu instid0(VALU_DEP_1)
	v_mov_b32_e32 v21, v20
	v_mov_b32_e32 v22, v20
	;; [unrolled: 1-line block ×3, first 2 shown]
	ds_store_b128 v19, v[20:23]
.LBB50_94:
	s_and_not1_saveexec_b32 s3, s3
	s_cbranch_execz .LBB50_96
; %bb.95:
	flat_load_b128 v[20:23], v[7:8]
	s_waitcnt vmcnt(0) lgkmcnt(0)
	ds_store_2addr_b64 v19, v[20:21], v[22:23] offset1:1
.LBB50_96:
	s_or_b32 exec_lo, exec_lo, s3
	v_add_nc_u32_e32 v18, 8, v9
	s_delay_alu instid0(VALU_DEP_1) | instskip(NEXT) | instid1(VALU_DEP_1)
	v_cmp_le_i32_e64 s3, s6, v18
	s_and_saveexec_b32 s9, s3
	s_delay_alu instid0(SALU_CYCLE_1)
	s_xor_b32 s3, exec_lo, s9
	s_cbranch_execz .LBB50_98
; %bb.97:
	v_mul_u32_u24_e32 v15, 33, v18
	v_mov_b32_e32 v20, 0
	s_delay_alu instid0(VALU_DEP_2) | instskip(NEXT) | instid1(VALU_DEP_2)
	v_add_lshl_u32 v15, v15, v4, 4
	v_mov_b32_e32 v21, v20
	v_mov_b32_e32 v22, v20
	;; [unrolled: 1-line block ×3, first 2 shown]
	ds_store_b128 v15, v[20:23]
.LBB50_98:
	s_and_not1_saveexec_b32 s9, s3
	s_cbranch_execz .LBB50_100
; %bb.99:
	s_lshl_b32 s24, s18, 3
	v_add_nc_u32_e32 v15, 0x1080, v19
	s_ashr_i32 s25, s24, 31
	s_delay_alu instid0(SALU_CYCLE_1) | instskip(NEXT) | instid1(SALU_CYCLE_1)
	s_lshl_b64 s[24:25], s[24:25], 4
	v_add_co_u32 v20, s3, v7, s24
	s_delay_alu instid0(VALU_DEP_1)
	v_add_co_ci_u32_e64 v21, s3, s25, v8, s3
	flat_load_b128 v[20:23], v[20:21]
	s_waitcnt vmcnt(0) lgkmcnt(0)
	ds_store_2addr_b64 v15, v[20:21], v[22:23] offset1:1
.LBB50_100:
	s_or_b32 exec_lo, exec_lo, s9
	v_add_nc_u32_e32 v15, 16, v9
	s_delay_alu instid0(VALU_DEP_1) | instskip(NEXT) | instid1(VALU_DEP_1)
	v_cmp_le_i32_e64 s3, s6, v15
	s_and_saveexec_b32 s9, s3
	s_delay_alu instid0(SALU_CYCLE_1)
	s_xor_b32 s3, exec_lo, s9
	s_cbranch_execz .LBB50_102
; %bb.101:
	v_mul_u32_u24_e32 v17, 33, v15
	v_mov_b32_e32 v20, 0
	s_delay_alu instid0(VALU_DEP_2) | instskip(NEXT) | instid1(VALU_DEP_2)
	v_add_lshl_u32 v17, v17, v4, 4
	v_mov_b32_e32 v21, v20
	v_mov_b32_e32 v22, v20
	;; [unrolled: 1-line block ×3, first 2 shown]
	ds_store_b128 v17, v[20:23]
.LBB50_102:
	s_and_not1_saveexec_b32 s9, s3
	s_cbranch_execz .LBB50_104
; %bb.103:
	s_lshl_b32 s24, s18, 4
	v_add_nc_u32_e32 v17, 0x2100, v19
	s_ashr_i32 s25, s24, 31
	s_delay_alu instid0(SALU_CYCLE_1) | instskip(NEXT) | instid1(SALU_CYCLE_1)
	s_lshl_b64 s[24:25], s[24:25], 4
	v_add_co_u32 v20, s3, v7, s24
	s_delay_alu instid0(VALU_DEP_1)
	v_add_co_ci_u32_e64 v21, s3, s25, v8, s3
	flat_load_b128 v[20:23], v[20:21]
	s_waitcnt vmcnt(0) lgkmcnt(0)
	ds_store_2addr_b64 v17, v[20:21], v[22:23] offset1:1
.LBB50_104:
	s_or_b32 exec_lo, exec_lo, s9
	v_add_nc_u32_e32 v17, 24, v9
	s_delay_alu instid0(VALU_DEP_1) | instskip(NEXT) | instid1(VALU_DEP_1)
	v_cmp_le_i32_e64 s3, s6, v17
	s_and_saveexec_b32 s6, s3
	s_delay_alu instid0(SALU_CYCLE_1)
	s_xor_b32 s3, exec_lo, s6
	s_cbranch_execz .LBB50_106
; %bb.105:
	v_mov_b32_e32 v20, 0
	s_delay_alu instid0(VALU_DEP_1)
	v_mov_b32_e32 v21, v20
	v_mov_b32_e32 v22, v20
	;; [unrolled: 1-line block ×3, first 2 shown]
	ds_store_b128 v19, v[20:23] offset:12672
                                        ; implicit-def: $vgpr19
.LBB50_106:
	s_and_not1_saveexec_b32 s6, s3
	s_cbranch_execz .LBB50_108
; %bb.107:
	s_mul_i32 s24, s18, 24
	v_add_nc_u32_e32 v19, 0x3180, v19
	s_ashr_i32 s25, s24, 31
	s_delay_alu instid0(SALU_CYCLE_1) | instskip(NEXT) | instid1(SALU_CYCLE_1)
	s_lshl_b64 s[24:25], s[24:25], 4
	v_add_co_u32 v20, s3, v7, s24
	s_delay_alu instid0(VALU_DEP_1)
	v_add_co_ci_u32_e64 v21, s3, s25, v8, s3
	flat_load_b128 v[20:23], v[20:21]
	s_waitcnt vmcnt(0) lgkmcnt(0)
	ds_store_2addr_b64 v19, v[20:21], v[22:23] offset1:1
.LBB50_108:
	s_or_b32 exec_lo, exec_lo, s6
	v_add_co_u32 v7, s3, v7, v11
	s_delay_alu instid0(VALU_DEP_1) | instskip(NEXT) | instid1(VALU_DEP_2)
	v_add_co_ci_u32_e64 v8, s3, 0, v8, s3
	v_sub_co_u32 v7, s3, v7, s4
	s_delay_alu instid0(VALU_DEP_1) | instskip(NEXT) | instid1(VALU_DEP_2)
	v_subrev_co_ci_u32_e64 v8, s3, s5, v8, s3
	v_add_co_u32 v7, s3, v7, 16
	s_delay_alu instid0(VALU_DEP_1) | instskip(NEXT) | instid1(VALU_DEP_1)
	v_add_co_ci_u32_e64 v8, s3, 0, v8, s3
	v_dual_cndmask_b32 v40, v7, v5 :: v_dual_cndmask_b32 v41, v8, v6
	s_branch .LBB50_126
.LBB50_109:
	s_mov_b32 s6, exec_lo
	v_cmpx_eq_u32_e64 v17, v4
	s_cbranch_execz .LBB50_111
; %bb.110:
	v_mul_u32_u24_e32 v8, 34, v4
	v_mov_b32_e32 v7, 0
	s_delay_alu instid0(VALU_DEP_1)
	v_dual_mov_b32 v8, v7 :: v_dual_lshlrev_b32 v17, 4, v8
	ds_store_b64 v17, v[7:8] offset:8
.LBB50_111:
	s_or_b32 exec_lo, exec_lo, s6
	s_and_not1_saveexec_b32 s1, s1
	s_cbranch_execz .LBB50_82
.LBB50_112:
	ds_load_b128 v[21:24], v13
	s_waitcnt lgkmcnt(0)
	v_xor_b32_e32 v24, 0x80000000, v24
	ds_store_b128 v15, v[21:24]
	s_or_b32 exec_lo, exec_lo, s1
	s_and_saveexec_b32 s1, s3
	s_delay_alu instid0(SALU_CYCLE_1)
	s_xor_b32 s1, exec_lo, s1
	s_cbranch_execz .LBB50_83
.LBB50_113:
	ds_load_b128 v[21:24], v14
                                        ; implicit-def: $vgpr16
	s_waitcnt lgkmcnt(0)
	v_xor_b32_e32 v24, 0x80000000, v24
	ds_store_b128 v15, v[21:24] offset:16
	s_and_not1_saveexec_b32 s1, s1
	s_cbranch_execz .LBB50_84
.LBB50_114:
	s_mov_b32 s3, exec_lo
	v_cmpx_eq_u32_e64 v16, v4
	s_cbranch_execz .LBB50_116
; %bb.115:
	v_mul_u32_u24_e32 v8, 34, v4
	s_delay_alu instid0(VALU_DEP_1) | instskip(NEXT) | instid1(VALU_DEP_1)
	v_dual_mov_b32 v7, 0 :: v_dual_lshlrev_b32 v16, 4, v8
	v_mov_b32_e32 v8, v7
	ds_store_b64 v16, v[7:8] offset:8
.LBB50_116:
	s_or_b32 exec_lo, exec_lo, s3
	s_delay_alu instid0(SALU_CYCLE_1) | instskip(SKIP_1) | instid1(SALU_CYCLE_1)
	s_or_b32 exec_lo, exec_lo, s1
	s_and_saveexec_b32 s1, s4
	s_xor_b32 s1, exec_lo, s1
	s_cbranch_execz .LBB50_85
.LBB50_117:
	s_mov_b32 s3, exec_lo
	v_cmpx_eq_u32_e64 v18, v4
	s_cbranch_execz .LBB50_119
; %bb.118:
	v_mul_u32_u24_e32 v8, 34, v4
	s_delay_alu instid0(VALU_DEP_1) | instskip(NEXT) | instid1(VALU_DEP_1)
	v_dual_mov_b32 v7, 0 :: v_dual_lshlrev_b32 v16, 4, v8
	v_mov_b32_e32 v8, v7
	ds_store_b64 v16, v[7:8] offset:8
.LBB50_119:
	s_or_b32 exec_lo, exec_lo, s3
	s_and_not1_saveexec_b32 s1, s1
	s_cbranch_execz .LBB50_86
.LBB50_120:
	ds_load_b128 v[21:24], v14 offset:528
	s_waitcnt lgkmcnt(0)
	v_xor_b32_e32 v24, 0x80000000, v24
	ds_store_b128 v15, v[21:24] offset:32
	s_or_b32 exec_lo, exec_lo, s1
	s_and_saveexec_b32 s1, s5
	s_delay_alu instid0(SALU_CYCLE_1)
	s_xor_b32 s1, exec_lo, s1
	s_cbranch_execz .LBB50_87
.LBB50_121:
	s_mov_b32 s3, exec_lo
	v_cmpx_eq_u32_e64 v19, v4
	s_cbranch_execz .LBB50_123
; %bb.122:
	v_mul_u32_u24_e32 v8, 34, v4
	v_mov_b32_e32 v7, 0
	s_delay_alu instid0(VALU_DEP_1)
	v_dual_mov_b32 v8, v7 :: v_dual_lshlrev_b32 v15, 4, v8
	ds_store_b64 v15, v[7:8] offset:8
.LBB50_123:
	s_or_b32 exec_lo, exec_lo, s3
                                        ; implicit-def: $vgpr15
	s_or_saveexec_b32 s1, s1
	v_add_nc_u32_e32 v16, 0x4700, v20
	s_xor_b32 exec_lo, exec_lo, s1
	s_cbranch_execnz .LBB50_88
	s_branch .LBB50_89
.LBB50_124:
                                        ; implicit-def: $vgpr40_vgpr41
                                        ; implicit-def: $vgpr18
                                        ; implicit-def: $vgpr15
                                        ; implicit-def: $vgpr17
	s_cbranch_execz .LBB50_126
; %bb.125:
	flat_load_b128 v[17:20], v[5:6]
	s_lshl_b32 s4, s18, 3
	v_add_lshl_u32 v4, v10, v4, 4
	s_ashr_i32 s5, s4, 31
	s_ashr_i32 s19, s18, 31
	s_lshl_b64 s[4:5], s[4:5], 4
	v_mov_b32_e32 v41, v6
	v_add_co_u32 v7, vcc_lo, v5, s4
	v_add_co_ci_u32_e32 v8, vcc_lo, s5, v6, vcc_lo
	s_lshl_b64 s[4:5], s[18:19], 7
	v_add_nc_u32_e32 v10, 0x1080, v4
	v_dual_mov_b32 v40, v5 :: v_dual_add_nc_u32 v15, 16, v9
	s_waitcnt vmcnt(0) lgkmcnt(0)
	ds_store_2addr_b64 v4, v[17:18], v[19:20] offset1:1
	flat_load_b128 v[17:20], v[7:8]
	v_add_co_u32 v7, vcc_lo, v7, s4
	v_add_co_ci_u32_e32 v8, vcc_lo, s5, v8, vcc_lo
	s_waitcnt vmcnt(0) lgkmcnt(0)
	ds_store_2addr_b64 v10, v[17:18], v[19:20] offset1:1
	flat_load_b128 v[17:20], v[7:8]
	v_add_co_u32 v7, vcc_lo, v7, s4
	v_add_nc_u32_e32 v10, 0x2100, v4
	v_add_co_ci_u32_e32 v8, vcc_lo, s5, v8, vcc_lo
	v_add_nc_u32_e32 v4, 0x3180, v4
	s_waitcnt vmcnt(0) lgkmcnt(0)
	ds_store_2addr_b64 v10, v[17:18], v[19:20] offset1:1
	flat_load_b128 v[19:22], v[7:8]
	v_add_nc_u32_e32 v18, 8, v9
	v_add_nc_u32_e32 v17, 24, v9
	s_waitcnt vmcnt(0) lgkmcnt(0)
	ds_store_2addr_b64 v4, v[19:20], v[21:22] offset1:1
.LBB50_126:
	v_lshlrev_b32_e32 v8, 4, v9
	s_waitcnt lgkmcnt(0)
	s_barrier
	buffer_gl0_inv
	ds_load_b128 v[4:7], v44
	ds_load_b128 v[8:11], v8 offset:18176
	v_add_lshl_u32 v19, v18, v12, 4
	v_lshlrev_b32_e32 v22, 4, v18
	ds_load_b128 v[18:21], v19
	ds_load_b128 v[22:25], v22 offset:18176
	s_waitcnt lgkmcnt(2)
	v_mul_f64 v[26:27], v[6:7], v[10:11]
	v_mul_f64 v[6:7], v[6:7], v[8:9]
	s_waitcnt lgkmcnt(0)
	v_mul_f64 v[28:29], v[20:21], v[24:25]
	v_mul_f64 v[20:21], v[20:21], v[22:23]
	s_delay_alu instid0(VALU_DEP_4) | instskip(NEXT) | instid1(VALU_DEP_4)
	v_fma_f64 v[26:27], v[4:5], v[8:9], v[26:27]
	v_fma_f64 v[30:31], v[4:5], v[10:11], -v[6:7]
	v_add_lshl_u32 v4, v15, v12, 4
	v_lshlrev_b32_e32 v8, 4, v15
	v_add_lshl_u32 v12, v17, v12, 4
	ds_load_b128 v[4:7], v4
	ds_load_b128 v[8:11], v8 offset:18176
	v_fma_f64 v[28:29], v[18:19], v[22:23], v[28:29]
	v_fma_f64 v[34:35], v[18:19], v[24:25], -v[20:21]
	v_lshlrev_b32_e32 v15, 4, v17
	ds_load_b128 v[17:20], v12
	ds_load_b128 v[21:24], v15 offset:18176
	s_waitcnt lgkmcnt(2)
	v_mul_f64 v[32:33], v[6:7], v[10:11]
	v_mul_f64 v[6:7], v[6:7], v[8:9]
	s_waitcnt lgkmcnt(0)
	v_mul_f64 v[45:46], v[19:20], v[23:24]
	v_mul_f64 v[19:20], v[19:20], v[21:22]
	v_add_f64 v[25:26], v[26:27], 0
	v_add_f64 v[30:31], v[30:31], 0
	v_fma_f64 v[8:9], v[4:5], v[8:9], v[32:33]
	v_fma_f64 v[4:5], v[4:5], v[10:11], -v[6:7]
	v_fma_f64 v[21:22], v[17:18], v[21:22], v[45:46]
	v_fma_f64 v[17:18], v[17:18], v[23:24], -v[19:20]
	v_add_f64 v[6:7], v[25:26], v[28:29]
	v_add_f64 v[10:11], v[30:31], v[34:35]
	s_delay_alu instid0(VALU_DEP_2) | instskip(NEXT) | instid1(VALU_DEP_2)
	v_add_f64 v[6:7], v[6:7], v[8:9]
	v_add_f64 v[4:5], v[10:11], v[4:5]
	s_delay_alu instid0(VALU_DEP_2) | instskip(NEXT) | instid1(VALU_DEP_2)
	v_add_f64 v[45:46], v[6:7], v[21:22]
	v_add_f64 v[47:48], v[4:5], v[17:18]
	ds_load_b128 v[20:23], v16 offset:528
	ds_load_b128 v[8:11], v16 offset:544
	;; [unrolled: 1-line block ×3, first 2 shown]
	ds_load_b128 v[32:35], v13
	ds_load_b128 v[4:7], v16 offset:560
	ds_load_b128 v[24:27], v14
	ds_load_b128 v[16:19], v14 offset:528
	ds_load_b128 v[12:15], v14 offset:1056
	s_waitcnt lgkmcnt(0)
	s_barrier
	buffer_gl0_inv
	ds_store_b128 v44, v[45:48]
	s_waitcnt lgkmcnt(0)
	s_barrier
	buffer_gl0_inv
	s_and_saveexec_b32 s3, s1
	s_cbranch_execz .LBB50_128
; %bb.127:
	ds_load_b128 v[45:48], v43
	ds_load_b128 v[49:52], v43 offset:16
	s_waitcnt lgkmcnt(1)
	v_add_f64 v[0:1], v[0:1], v[45:46]
	v_add_f64 v[2:3], v[2:3], v[47:48]
	s_waitcnt lgkmcnt(0)
	s_delay_alu instid0(VALU_DEP_2) | instskip(NEXT) | instid1(VALU_DEP_2)
	v_add_f64 v[49:50], v[0:1], v[49:50]
	v_add_f64 v[51:52], v[2:3], v[51:52]
	ds_load_b128 v[0:3], v43 offset:32
	ds_load_b128 v[45:48], v43 offset:48
	s_waitcnt lgkmcnt(1)
	v_add_f64 v[0:1], v[49:50], v[0:1]
	v_add_f64 v[2:3], v[51:52], v[2:3]
	s_waitcnt lgkmcnt(0)
	s_delay_alu instid0(VALU_DEP_2) | instskip(NEXT) | instid1(VALU_DEP_2)
	v_add_f64 v[49:50], v[0:1], v[45:46]
	v_add_f64 v[51:52], v[2:3], v[47:48]
	ds_load_b128 v[0:3], v43 offset:64
	;; [unrolled: 9-line block ×3, first 2 shown]
	ds_load_b128 v[45:48], v43 offset:112
	s_waitcnt lgkmcnt(1)
	v_add_f64 v[0:1], v[49:50], v[0:1]
	v_add_f64 v[2:3], v[51:52], v[2:3]
	s_waitcnt lgkmcnt(0)
	s_delay_alu instid0(VALU_DEP_2) | instskip(NEXT) | instid1(VALU_DEP_2)
	v_add_f64 v[0:1], v[0:1], v[45:46]
	v_add_f64 v[2:3], v[2:3], v[47:48]
.LBB50_128:
	s_or_b32 exec_lo, exec_lo, s3
	v_mul_f64 v[45:46], v[30:31], v[34:35]
	v_mul_f64 v[34:35], v[28:29], v[34:35]
	;; [unrolled: 1-line block ×4, first 2 shown]
	s_barrier
	buffer_gl0_inv
	v_fma_f64 v[28:29], v[28:29], v[32:33], -v[45:46]
	v_fma_f64 v[30:31], v[30:31], v[32:33], v[34:35]
	v_mul_f64 v[32:33], v[10:11], v[18:19]
	v_mul_f64 v[18:19], v[8:9], v[18:19]
	v_fma_f64 v[20:21], v[20:21], v[24:25], -v[47:48]
	v_fma_f64 v[22:23], v[22:23], v[24:25], v[26:27]
	v_add_f64 v[24:25], v[28:29], 0
	v_add_f64 v[26:27], v[30:31], 0
	v_mul_f64 v[28:29], v[6:7], v[14:15]
	v_mul_f64 v[14:15], v[4:5], v[14:15]
	v_fma_f64 v[8:9], v[8:9], v[16:17], -v[32:33]
	v_fma_f64 v[10:11], v[10:11], v[16:17], v[18:19]
	v_add_f64 v[16:17], v[24:25], v[20:21]
	v_add_f64 v[18:19], v[26:27], v[22:23]
	v_fma_f64 v[4:5], v[4:5], v[12:13], -v[28:29]
	v_fma_f64 v[6:7], v[6:7], v[12:13], v[14:15]
	s_delay_alu instid0(VALU_DEP_4) | instskip(NEXT) | instid1(VALU_DEP_4)
	v_add_f64 v[8:9], v[16:17], v[8:9]
	v_add_f64 v[10:11], v[18:19], v[10:11]
	s_delay_alu instid0(VALU_DEP_2) | instskip(NEXT) | instid1(VALU_DEP_2)
	v_add_f64 v[4:5], v[8:9], v[4:5]
	v_add_f64 v[6:7], v[10:11], v[6:7]
	ds_store_b128 v44, v[4:7]
	s_waitcnt lgkmcnt(0)
	s_barrier
	buffer_gl0_inv
	s_and_saveexec_b32 s1, s0
	s_cbranch_execz .LBB50_130
; %bb.129:
	ds_load_b128 v[4:7], v43
	ds_load_b128 v[8:11], v43 offset:16
	s_waitcnt lgkmcnt(1)
	v_add_f64 v[0:1], v[0:1], v[4:5]
	v_add_f64 v[2:3], v[2:3], v[6:7]
	s_waitcnt lgkmcnt(0)
	s_delay_alu instid0(VALU_DEP_2) | instskip(NEXT) | instid1(VALU_DEP_2)
	v_add_f64 v[8:9], v[0:1], v[8:9]
	v_add_f64 v[10:11], v[2:3], v[10:11]
	ds_load_b128 v[0:3], v43 offset:32
	ds_load_b128 v[4:7], v43 offset:48
	s_waitcnt lgkmcnt(1)
	v_add_f64 v[0:1], v[8:9], v[0:1]
	v_add_f64 v[2:3], v[10:11], v[2:3]
	s_waitcnt lgkmcnt(0)
	s_delay_alu instid0(VALU_DEP_2) | instskip(NEXT) | instid1(VALU_DEP_2)
	v_add_f64 v[8:9], v[0:1], v[4:5]
	v_add_f64 v[10:11], v[2:3], v[6:7]
	ds_load_b128 v[0:3], v43 offset:64
	;; [unrolled: 9-line block ×3, first 2 shown]
	ds_load_b128 v[4:7], v43 offset:112
	s_waitcnt lgkmcnt(1)
	v_add_f64 v[0:1], v[8:9], v[0:1]
	v_add_f64 v[2:3], v[10:11], v[2:3]
	s_waitcnt lgkmcnt(0)
	s_delay_alu instid0(VALU_DEP_2) | instskip(NEXT) | instid1(VALU_DEP_2)
	v_add_f64 v[0:1], v[0:1], v[4:5]
	v_add_f64 v[2:3], v[2:3], v[6:7]
.LBB50_130:
	s_or_b32 exec_lo, exec_lo, s1
	s_mul_hi_u32 s0, s13, s12
	s_mul_i32 s28, s28, s12
	s_mul_i32 s1, s13, s12
	s_add_i32 s0, s0, s28
	s_mul_hi_u32 s4, s1, s15
	s_mul_i32 s3, s0, s15
	s_mul_i32 s0, s1, s15
	s_add_i32 s1, s4, s3
	s_mul_hi_i32 s5, s13, s14
	s_lshl_b64 s[0:1], s[0:1], 4
	s_mul_i32 s4, s13, s14
	s_add_u32 s3, s16, s0
	s_addc_u32 s6, s17, s1
	s_lshl_b64 s[0:1], s[4:5], 4
	v_lshlrev_b32_e32 v13, 4, v170
	s_add_u32 s3, s3, s0
	s_addc_u32 s9, s6, s1
	s_add_i32 s1, s14, 1
	s_delay_alu instid0(SALU_CYCLE_1)
	s_cmp_ge_u32 s1, s15
	s_barrier
	buffer_gl0_inv
	s_cbranch_scc1 .LBB50_188
; %bb.131:
	scratch_load_b32 v12, off, off offset:8 ; 4-byte Folded Reload
	v_and_b32_e32 v8, 48, v170
	v_add_nc_u32_e32 v9, 0x4300, v13
	v_and_b32_e32 v6, 15, v170
	v_lshrrev_b32_e32 v7, 4, v42
	v_or_b32_e32 v10, 0xf0, v13
	s_mul_i32 s4, s10, s7
	scratch_store_b32 off, v9, off          ; 4-byte Folded Spill
	v_lshlrev_b32_e32 v9, 4, v8
	s_ashr_i32 s5, s4, 31
	v_lshlrev_b32_e32 v11, 6, v7
	s_lshl_b64 s[4:5], s[4:5], 4
	s_ashr_i32 s19, s18, 31
	v_mad_u32_u24 v180, 0x430, v6, v9
	v_mad_u32_u24 v9, 0x430, v6, v10
	v_mul_i32_i24_e32 v10, 0xffffffd0, v7
	v_add_nc_u32_e32 v7, s10, v8
	v_sub_co_u32 v176, vcc_lo, v36, s4
	v_subrev_co_ci_u32_e32 v177, vcc_lo, s5, v37, vcc_lo
	v_mad_u32_u24 v182, 0x430, v6, v11
	s_lshl_b32 s25, s7, 6
	s_lshl_b32 s12, s18, 4
	;; [unrolled: 1-line block ×3, first 2 shown]
	s_mul_i32 s16, s18, 3
	s_mul_i32 s7, s7, s1
	s_lshl_b64 s[30:31], s[18:19], 5
	s_add_i32 s24, s15, -2
	s_ashr_i32 s13, s12, 31
	s_ashr_i32 s29, s28, 31
	;; [unrolled: 1-line block ×3, first 2 shown]
	s_lshl_b64 s[10:11], s[18:19], 4
	s_lshl_b32 s4, s7, 6
	s_add_u32 s1, s30, s20
	scratch_store_b32 off, v9, off offset:4 ; 4-byte Folded Spill
	s_addc_u32 s5, s31, s21
	s_lshl_b64 s[16:17], s[16:17], 4
	s_lshl_b64 s[6:7], s[12:13], 6
	s_add_u32 s35, s10, s20
	v_add_nc_u32_e32 v179, 0x4700, v13
	s_addc_u32 s36, s11, s21
	s_mul_i32 s33, s18, 0x300
	s_mul_hi_i32 s34, s12, 48
	v_cmp_gt_u32_e64 s0, 64, v42
	v_add_nc_u32_e32 v242, v182, v10
	s_waitcnt vmcnt(0)
	v_lshlrev_b32_e32 v175, 2, v12
	v_lshl_add_u32 v186, v12, 6, 0x4300
	v_mad_u32_u24 v187, 0x10c0, v12, v13
	s_delay_alu instid0(VALU_DEP_3) | instskip(SKIP_2) | instid1(VALU_DEP_2)
	v_mad_u64_u32 v[4:5], null, v175, s18, v[170:171]
	v_add3_u32 v171, v7, v6, 64
	s_lshl_b64 s[18:19], s[28:29], 4
	v_ashrrev_i32_e32 v5, 31, v4
	s_delay_alu instid0(VALU_DEP_1) | instskip(SKIP_4) | instid1(VALU_DEP_3)
	v_lshlrev_b64 v[6:7], 4, v[4:5]
	v_add_co_u32 v4, vcc_lo, s22, v4
	v_add_co_ci_u32_e32 v5, vcc_lo, s23, v5, vcc_lo
	v_sub_co_u32 v200, vcc_lo, 0, v38
	v_sub_co_ci_u32_e32 v201, vcc_lo, 0, v39, vcc_lo
	v_lshlrev_b64 v[4:5], 4, v[4:5]
	v_add_co_u32 v11, vcc_lo, s1, v6
	v_add_co_ci_u32_e32 v12, vcc_lo, s5, v7, vcc_lo
	s_add_u32 s22, s20, s18
	s_delay_alu instid0(VALU_DEP_3) | instskip(NEXT) | instid1(VALU_DEP_3)
	v_mad_i64_i32 v[8:9], null, s12, 48, v[4:5]
	v_add_co_u32 v202, vcc_lo, v40, v11
	s_delay_alu instid0(VALU_DEP_3) | instskip(SKIP_2) | instid1(VALU_DEP_3)
	v_add_co_ci_u32_e32 v203, vcc_lo, v41, v12, vcc_lo
	s_addc_u32 s23, s21, s19
	s_add_u32 s28, s20, s16
	v_add_co_u32 v11, vcc_lo, v8, s16
	s_delay_alu instid0(VALU_DEP_4) | instskip(SKIP_2) | instid1(VALU_DEP_4)
	v_add_co_ci_u32_e32 v12, vcc_lo, s17, v9, vcc_lo
	v_add_co_u32 v13, vcc_lo, s35, v6
	v_add_co_ci_u32_e32 v14, vcc_lo, s36, v7, vcc_lo
	v_add_co_u32 v204, vcc_lo, v40, v11
	s_delay_alu instid0(VALU_DEP_4) | instskip(NEXT) | instid1(VALU_DEP_4)
	v_add_co_ci_u32_e32 v205, vcc_lo, v41, v12, vcc_lo
	v_add_co_u32 v206, vcc_lo, v40, v13
	s_delay_alu instid0(VALU_DEP_4) | instskip(SKIP_4) | instid1(VALU_DEP_4)
	v_add_co_ci_u32_e32 v207, vcc_lo, v41, v14, vcc_lo
	v_add_co_u32 v11, vcc_lo, v8, s18
	v_add_co_ci_u32_e32 v12, vcc_lo, s19, v9, vcc_lo
	v_add_co_u32 v13, vcc_lo, s20, v6
	;; [unrolled: 2-line block ×3, first 2 shown]
	s_delay_alu instid0(VALU_DEP_4) | instskip(NEXT) | instid1(VALU_DEP_4)
	v_add_co_ci_u32_e32 v209, vcc_lo, v41, v12, vcc_lo
	v_add_co_u32 v210, vcc_lo, v40, v13
	s_delay_alu instid0(VALU_DEP_4)
	v_add_co_ci_u32_e32 v211, vcc_lo, v41, v14, vcc_lo
	v_add_co_u32 v212, vcc_lo, v40, v8
	v_add_co_ci_u32_e32 v213, vcc_lo, v41, v9, vcc_lo
	v_add_co_u32 v11, vcc_lo, s22, v6
	;; [unrolled: 2-line block ×3, first 2 shown]
	v_add_co_ci_u32_e32 v9, vcc_lo, s11, v9, vcc_lo
	s_delay_alu instid0(VALU_DEP_4) | instskip(NEXT) | instid1(VALU_DEP_4)
	v_add_co_u32 v214, vcc_lo, v40, v11
	v_add_co_ci_u32_e32 v215, vcc_lo, v41, v12, vcc_lo
	s_delay_alu instid0(VALU_DEP_4) | instskip(NEXT) | instid1(VALU_DEP_4)
	v_add_co_u32 v216, vcc_lo, v40, v8
	v_add_co_ci_u32_e32 v217, vcc_lo, v41, v9, vcc_lo
	s_addc_u32 s29, s21, s17
	s_lshl_b64 s[22:23], s[12:13], 4
	v_add_co_u32 v8, vcc_lo, s28, v6
	s_add_u32 s28, s1, s22
	v_add_co_ci_u32_e32 v9, vcc_lo, s29, v7, vcc_lo
	s_addc_u32 s29, s5, s23
	v_add_co_u32 v11, vcc_lo, s28, v6
	v_add_co_ci_u32_e32 v12, vcc_lo, s29, v7, vcc_lo
	v_add_co_u32 v218, vcc_lo, v40, v8
	v_add_co_ci_u32_e32 v219, vcc_lo, v41, v9, vcc_lo
	s_delay_alu instid0(VALU_DEP_4)
	v_add_co_u32 v220, vcc_lo, v40, v11
	s_add_u32 s28, s33, s30
	v_add_co_ci_u32_e32 v221, vcc_lo, v41, v12, vcc_lo
	s_addc_u32 s29, s34, s31
	s_lshl_b64 s[12:13], s[12:13], 5
	v_add_co_u32 v4, vcc_lo, s28, v4
	s_add_u32 s28, s12, s20
	v_add_co_ci_u32_e32 v5, vcc_lo, s29, v5, vcc_lo
	s_addc_u32 s29, s13, s21
	s_add_u32 s30, s28, s16
	s_addc_u32 s31, s29, s17
	v_add_co_u32 v8, vcc_lo, s30, v6
	v_add_co_ci_u32_e32 v9, vcc_lo, s31, v7, vcc_lo
	v_add_co_u32 v222, vcc_lo, v40, v4
	v_add_co_ci_u32_e32 v223, vcc_lo, v41, v5, vcc_lo
	s_delay_alu instid0(VALU_DEP_4)
	v_add_co_u32 v224, vcc_lo, v40, v8
	s_add_u32 s30, s35, s22
	v_add_co_ci_u32_e32 v225, vcc_lo, v41, v9, vcc_lo
	s_addc_u32 s31, s36, s23
	v_add_co_u32 v4, vcc_lo, s30, v6
	s_add_u32 s30, s28, s18
	v_add_co_ci_u32_e32 v5, vcc_lo, s31, v7, vcc_lo
	s_addc_u32 s31, s29, s19
	v_add_co_u32 v8, vcc_lo, s30, v6
	v_add_co_ci_u32_e32 v9, vcc_lo, s31, v7, vcc_lo
	v_add_co_u32 v226, vcc_lo, v40, v4
	v_add_co_ci_u32_e32 v227, vcc_lo, v41, v5, vcc_lo
	s_delay_alu instid0(VALU_DEP_4)
	v_add_co_u32 v228, vcc_lo, v40, v8
	s_add_u32 s20, s20, s22
	v_add_co_ci_u32_e32 v229, vcc_lo, v41, v9, vcc_lo
	s_addc_u32 s21, s21, s23
	v_add_co_u32 v4, vcc_lo, s20, v6
	v_add_co_ci_u32_e32 v5, vcc_lo, s21, v7, vcc_lo
	v_add_co_u32 v8, vcc_lo, s28, v6
	v_add_co_ci_u32_e32 v9, vcc_lo, s29, v7, vcc_lo
	s_delay_alu instid0(VALU_DEP_4) | instskip(NEXT) | instid1(VALU_DEP_4)
	v_add_co_u32 v230, vcc_lo, v40, v4
	v_add_co_ci_u32_e32 v231, vcc_lo, v41, v5, vcc_lo
	s_delay_alu instid0(VALU_DEP_4)
	v_add_co_u32 v232, vcc_lo, v40, v8
	s_add_u32 s18, s20, s18
	v_add_co_ci_u32_e32 v233, vcc_lo, v41, v9, vcc_lo
	s_addc_u32 s19, s21, s19
	v_add_co_u32 v4, vcc_lo, s18, v6
	s_add_u32 s10, s28, s10
	v_add_co_ci_u32_e32 v5, vcc_lo, s19, v7, vcc_lo
	s_addc_u32 s11, s29, s11
	v_add_co_u32 v8, vcc_lo, s10, v6
	v_add_co_ci_u32_e32 v9, vcc_lo, s11, v7, vcc_lo
	v_add_co_u32 v234, vcc_lo, v40, v4
	v_add_co_ci_u32_e32 v235, vcc_lo, v41, v5, vcc_lo
	s_delay_alu instid0(VALU_DEP_4)
	v_add_co_u32 v236, vcc_lo, v40, v8
	s_add_u32 s10, s20, s16
	v_add_co_ci_u32_e32 v237, vcc_lo, v41, v9, vcc_lo
	s_addc_u32 s11, s21, s17
	v_add_co_u32 v4, vcc_lo, s10, v6
	s_add_u32 s1, s1, s12
	v_add_co_ci_u32_e32 v5, vcc_lo, s11, v7, vcc_lo
	s_addc_u32 s5, s5, s13
	v_add_co_u32 v6, vcc_lo, s1, v6
	v_add_co_ci_u32_e32 v7, vcc_lo, s5, v7, vcc_lo
	v_add_co_u32 v238, vcc_lo, v40, v4
	v_mov_b32_e32 v4, 0
	v_add_co_ci_u32_e32 v239, vcc_lo, v41, v5, vcc_lo
	v_add_co_u32 v240, vcc_lo, v40, v6
	v_or_b32_e32 v181, 2, v175
	v_or_b32_e32 v185, 3, v175
	v_add_nc_u32_e32 v255, 16, v175
	v_add_nc_u32_e32 v169, 17, v175
	;; [unrolled: 1-line block ×12, first 2 shown]
	v_add_co_ci_u32_e32 v241, vcc_lo, v41, v7, vcc_lo
	s_cmp_eq_u32 s24, s14
	s_cselect_b32 s12, s26, 0
	s_and_saveexec_b32 s1, s2
	s_cbranch_execz .LBB50_136
.LBB50_132:
	v_cmp_le_i32_e32 vcc_lo, s12, v170
	s_cmp_lg_u32 s12, 0
	s_cselect_b32 s5, -1, 0
	s_delay_alu instid0(SALU_CYCLE_1) | instskip(NEXT) | instid1(SALU_CYCLE_1)
	s_and_b32 s5, s5, vcc_lo
	s_and_saveexec_b32 s10, s5
	s_delay_alu instid0(SALU_CYCLE_1)
	s_xor_b32 s5, exec_lo, s10
	s_cbranch_execz .LBB50_134
; %bb.133:
	scratch_load_b32 v8, off, off           ; 4-byte Folded Reload
	v_mov_b32_e32 v5, v4
	v_mov_b32_e32 v6, v4
	;; [unrolled: 1-line block ×3, first 2 shown]
	s_waitcnt vmcnt(0)
	ds_store_b128 v8, v[4:7]
.LBB50_134:
	s_and_not1_saveexec_b32 s5, s5
	s_cbranch_execz .LBB50_136
; %bb.135:
	s_ashr_i32 s5, s4, 31
	s_delay_alu instid0(SALU_CYCLE_1) | instskip(NEXT) | instid1(SALU_CYCLE_1)
	s_lshl_b64 s[10:11], s[4:5], 4
	v_add_co_u32 v5, vcc_lo, v176, s10
	v_add_co_ci_u32_e32 v6, vcc_lo, s11, v177, vcc_lo
	flat_load_b128 v[5:8], v[5:6]
	scratch_load_b32 v9, off, off           ; 4-byte Folded Reload
	s_waitcnt vmcnt(0) lgkmcnt(0)
	ds_store_2addr_b64 v9, v[5:6], v[7:8] offset1:1
.LBB50_136:                             ; =>This Inner Loop Header: Depth=1
	s_or_b32 exec_lo, exec_lo, s1
	s_cmp_eq_u32 s12, 0
	v_add_co_u32 v17, vcc_lo, v210, v200
	s_cselect_b32 s5, -1, 0
	s_cmp_lg_u32 s12, 0
	v_add_co_ci_u32_e32 v18, vcc_lo, v211, v201, vcc_lo
	s_cselect_b32 s1, -1, 0
	s_waitcnt lgkmcnt(0)
	s_waitcnt_vscnt null, 0x0
	s_and_b32 vcc_lo, exec_lo, s1
	s_barrier
	buffer_gl0_inv
	s_cbranch_vccz .LBB50_144
; %bb.137:                              ;   in Loop: Header=BB50_136 Depth=1
	v_mov_b32_e32 v5, 0
	v_mov_b32_e32 v6, 0
	s_mov_b32 s10, exec_lo
	s_delay_alu instid0(VALU_DEP_1)
	v_dual_mov_b32 v10, v6 :: v_dual_mov_b32 v9, v5
	v_dual_mov_b32 v12, v6 :: v_dual_mov_b32 v11, v5
	v_cmpx_gt_i32_e64 s12, v175
	s_cbranch_execz .LBB50_139
; %bb.138:                              ;   in Loop: Header=BB50_136 Depth=1
	flat_load_b128 v[9:12], v[17:18]
.LBB50_139:                             ;   in Loop: Header=BB50_136 Depth=1
	s_or_b32 exec_lo, exec_lo, s10
	v_or_b32_e32 v7, 1, v175
	s_delay_alu instid0(VALU_DEP_1)
	v_cmp_gt_i32_e32 vcc_lo, s12, v7
	v_dual_mov_b32 v8, v6 :: v_dual_mov_b32 v7, v5
	s_and_saveexec_b32 s10, vcc_lo
	s_cbranch_execz .LBB50_141
; %bb.140:                              ;   in Loop: Header=BB50_136 Depth=1
	v_add_co_u32 v5, vcc_lo, v206, v200
	v_add_co_ci_u32_e32 v6, vcc_lo, v207, v201, vcc_lo
	flat_load_b128 v[5:8], v[5:6]
.LBB50_141:                             ;   in Loop: Header=BB50_136 Depth=1
	s_or_b32 exec_lo, exec_lo, s10
	v_mov_b32_e32 v13, 0
	v_mov_b32_e32 v14, 0
	s_mov_b64 s[10:11], 0
	s_mov_b32 s13, exec_lo
	s_delay_alu instid0(VALU_DEP_1)
	v_dual_mov_b32 v16, v14 :: v_dual_mov_b32 v15, v13
	v_cmpx_gt_i32_e64 s12, v181
	s_cbranch_execz .LBB50_143
; %bb.142:                              ;   in Loop: Header=BB50_136 Depth=1
	v_add_co_u32 v13, vcc_lo, v214, v200
	v_add_co_ci_u32_e32 v14, vcc_lo, v215, v201, vcc_lo
	flat_load_b128 v[13:16], v[13:14]
.LBB50_143:                             ;   in Loop: Header=BB50_136 Depth=1
	s_or_b32 exec_lo, exec_lo, s13
	v_cmp_gt_i32_e64 s13, s12, v185
	s_branch .LBB50_146
.LBB50_144:                             ;   in Loop: Header=BB50_136 Depth=1
	s_mov_b32 s13, 0
                                        ; implicit-def: $sgpr10_sgpr11
                                        ; implicit-def: $vgpr15_vgpr16
                                        ; implicit-def: $vgpr7_vgpr8
                                        ; implicit-def: $vgpr11_vgpr12
	s_cbranch_execz .LBB50_146
; %bb.145:                              ;   in Loop: Header=BB50_136 Depth=1
	s_waitcnt vmcnt(0) lgkmcnt(0)
	v_add_co_u32 v5, vcc_lo, v206, v200
	v_add_co_ci_u32_e32 v6, vcc_lo, v207, v201, vcc_lo
	v_add_co_u32 v13, vcc_lo, v202, v200
	v_add_co_ci_u32_e32 v14, vcc_lo, v203, v201, vcc_lo
	flat_load_b128 v[9:12], v[17:18]
	flat_load_b128 v[5:8], v[5:6]
	;; [unrolled: 1-line block ×3, first 2 shown]
	s_or_b32 s13, s13, exec_lo
                                        ; implicit-def: $sgpr10_sgpr11
.LBB50_146:                             ;   in Loop: Header=BB50_136 Depth=1
	v_dual_mov_b32 v18, s11 :: v_dual_mov_b32 v17, s10
	v_dual_mov_b32 v20, s11 :: v_dual_mov_b32 v19, s10
	s_delay_alu instid0(VALU_DEP_3)
	s_and_saveexec_b32 s10, s13
	s_cbranch_execz .LBB50_148
; %bb.147:                              ;   in Loop: Header=BB50_136 Depth=1
	v_add_co_u32 v17, vcc_lo, v218, v200
	v_add_co_ci_u32_e32 v18, vcc_lo, v219, v201, vcc_lo
	flat_load_b128 v[17:20], v[17:18]
.LBB50_148:                             ;   in Loop: Header=BB50_136 Depth=1
	s_or_b32 exec_lo, exec_lo, s10
	ds_load_b128 v[25:28], v179
	ds_load_b128 v[21:24], v186
	v_add_co_u32 v49, vcc_lo, v230, v200
	v_cndmask_b32_e64 v117, 0, 1, s1
	v_add_co_ci_u32_e32 v50, vcc_lo, v231, v201, vcc_lo
	s_and_not1_b32 vcc_lo, exec_lo, s1
	s_waitcnt vmcnt(0) lgkmcnt(1)
	v_mul_f64 v[29:30], v[11:12], v[27:28]
	v_mul_f64 v[31:32], v[11:12], v[25:26]
	;; [unrolled: 1-line block ×8, first 2 shown]
	v_fma_f64 v[29:30], v[9:10], v[25:26], v[29:30]
	v_fma_f64 v[31:32], v[9:10], v[27:28], -v[31:32]
	v_fma_f64 v[37:38], v[5:6], v[25:26], v[33:34]
	v_fma_f64 v[39:40], v[5:6], v[27:28], -v[35:36]
	;; [unrolled: 2-line block ×4, first 2 shown]
	ds_store_b128 v187, v[29:32]
	ds_load_b128 v[33:36], v186 offset:16
	ds_store_b128 v187, v[37:40] offset:1072
	ds_load_b128 v[29:32], v186 offset:32
	ds_store_b128 v187, v[41:44] offset:2144
	;; [unrolled: 2-line block ×3, first 2 shown]
	s_waitcnt lgkmcnt(0)
	s_barrier
	buffer_gl0_inv
	ds_load_b128 v[93:96], v182
	ds_load_b128 v[89:92], v182 offset:16
	ds_load_b128 v[85:88], v182 offset:32
	;; [unrolled: 1-line block ×3, first 2 shown]
	s_waitcnt lgkmcnt(0)
	s_barrier
	buffer_gl0_inv
	s_cbranch_vccnz .LBB50_156
; %bb.149:                              ;   in Loop: Header=BB50_136 Depth=1
	v_mov_b32_e32 v37, 0
	v_mov_b32_e32 v38, 0
	s_mov_b32 s1, exec_lo
	s_delay_alu instid0(VALU_DEP_1)
	v_dual_mov_b32 v42, v38 :: v_dual_mov_b32 v41, v37
	v_dual_mov_b32 v44, v38 :: v_dual_mov_b32 v43, v37
	v_cmpx_gt_i32_e64 s12, v255
	s_cbranch_execz .LBB50_151
; %bb.150:                              ;   in Loop: Header=BB50_136 Depth=1
	flat_load_b128 v[41:44], v[49:50]
.LBB50_151:                             ;   in Loop: Header=BB50_136 Depth=1
	s_or_b32 exec_lo, exec_lo, s1
	v_dual_mov_b32 v40, v38 :: v_dual_mov_b32 v39, v37
	s_mov_b32 s1, exec_lo
	v_cmpx_gt_i32_e64 s12, v169
	s_cbranch_execz .LBB50_153
; %bb.152:                              ;   in Loop: Header=BB50_136 Depth=1
	v_add_co_u32 v37, vcc_lo, v226, v200
	v_add_co_ci_u32_e32 v38, vcc_lo, v227, v201, vcc_lo
	flat_load_b128 v[37:40], v[37:38]
.LBB50_153:                             ;   in Loop: Header=BB50_136 Depth=1
	s_or_b32 exec_lo, exec_lo, s1
	v_mov_b32_e32 v45, 0
	v_mov_b32_e32 v46, 0
	s_mov_b64 s[10:11], 0
	s_mov_b32 s1, exec_lo
	s_delay_alu instid0(VALU_DEP_1)
	v_dual_mov_b32 v48, v46 :: v_dual_mov_b32 v47, v45
	v_cmpx_gt_i32_e64 s12, v178
	s_cbranch_execz .LBB50_155
; %bb.154:                              ;   in Loop: Header=BB50_136 Depth=1
	v_add_co_u32 v45, vcc_lo, v234, v200
	v_add_co_ci_u32_e32 v46, vcc_lo, v235, v201, vcc_lo
	flat_load_b128 v[45:48], v[45:46]
.LBB50_155:                             ;   in Loop: Header=BB50_136 Depth=1
	s_or_b32 exec_lo, exec_lo, s1
	v_cmp_gt_i32_e64 s1, s12, v174
	s_branch .LBB50_158
.LBB50_156:                             ;   in Loop: Header=BB50_136 Depth=1
	s_mov_b32 s1, 0
                                        ; implicit-def: $sgpr10_sgpr11
                                        ; implicit-def: $vgpr47_vgpr48
                                        ; implicit-def: $vgpr39_vgpr40
                                        ; implicit-def: $vgpr43_vgpr44
	s_cbranch_execz .LBB50_158
; %bb.157:                              ;   in Loop: Header=BB50_136 Depth=1
	s_waitcnt vmcnt(0) lgkmcnt(0)
	v_add_co_u32 v37, vcc_lo, v226, v200
	v_add_co_ci_u32_e32 v38, vcc_lo, v227, v201, vcc_lo
	v_add_co_u32 v45, vcc_lo, v220, v200
	v_add_co_ci_u32_e32 v46, vcc_lo, v221, v201, vcc_lo
	flat_load_b128 v[41:44], v[49:50]
	flat_load_b128 v[37:40], v[37:38]
	;; [unrolled: 1-line block ×3, first 2 shown]
	s_or_b32 s1, s1, exec_lo
                                        ; implicit-def: $sgpr10_sgpr11
.LBB50_158:                             ;   in Loop: Header=BB50_136 Depth=1
	v_dual_mov_b32 v50, s11 :: v_dual_mov_b32 v49, s10
	v_dual_mov_b32 v52, s11 :: v_dual_mov_b32 v51, s10
	s_delay_alu instid0(VALU_DEP_3)
	s_and_saveexec_b32 s10, s1
	s_cbranch_execz .LBB50_160
; %bb.159:                              ;   in Loop: Header=BB50_136 Depth=1
	v_add_co_u32 v49, vcc_lo, v238, v200
	v_add_co_ci_u32_e32 v50, vcc_lo, v239, v201, vcc_lo
	flat_load_b128 v[49:52], v[49:50]
.LBB50_160:                             ;   in Loop: Header=BB50_136 Depth=1
	s_or_b32 exec_lo, exec_lo, s10
	ds_load_b128 v[57:60], v179
	ds_load_b128 v[53:56], v186 offset:256
	v_cmp_ne_u32_e32 vcc_lo, 1, v117
	v_add_co_u32 v97, s1, v232, v200
	s_delay_alu instid0(VALU_DEP_1)
	v_add_co_ci_u32_e64 v98, s1, v233, v201, s1
	s_and_b32 vcc_lo, exec_lo, vcc_lo
	s_waitcnt vmcnt(0) lgkmcnt(1)
	v_mul_f64 v[61:62], v[43:44], v[59:60]
	v_mul_f64 v[63:64], v[43:44], v[57:58]
	;; [unrolled: 1-line block ×8, first 2 shown]
	v_fma_f64 v[61:62], v[41:42], v[57:58], v[61:62]
	v_fma_f64 v[63:64], v[41:42], v[59:60], -v[63:64]
	v_fma_f64 v[69:70], v[37:38], v[57:58], v[65:66]
	v_fma_f64 v[71:72], v[37:38], v[59:60], -v[67:68]
	;; [unrolled: 2-line block ×4, first 2 shown]
	ds_store_b128 v187, v[61:64]
	ds_load_b128 v[65:68], v186 offset:272
	ds_store_b128 v187, v[69:72] offset:1072
	ds_load_b128 v[61:64], v186 offset:288
	ds_store_b128 v187, v[73:76] offset:2144
	;; [unrolled: 2-line block ×3, first 2 shown]
	s_waitcnt lgkmcnt(0)
	s_barrier
	buffer_gl0_inv
	ds_load_b128 v[141:144], v182
	ds_load_b128 v[137:140], v182 offset:16
	ds_load_b128 v[133:136], v182 offset:32
	;; [unrolled: 1-line block ×3, first 2 shown]
	s_waitcnt lgkmcnt(0)
	s_barrier
	buffer_gl0_inv
	s_cbranch_vccnz .LBB50_168
; %bb.161:                              ;   in Loop: Header=BB50_136 Depth=1
	v_mov_b32_e32 v69, 0
	v_mov_b32_e32 v70, 0
	s_mov_b32 s1, exec_lo
	s_delay_alu instid0(VALU_DEP_1)
	v_dual_mov_b32 v74, v70 :: v_dual_mov_b32 v73, v69
	v_dual_mov_b32 v76, v70 :: v_dual_mov_b32 v75, v69
	v_cmpx_gt_i32_e64 s12, v192
	s_cbranch_execz .LBB50_163
; %bb.162:                              ;   in Loop: Header=BB50_136 Depth=1
	flat_load_b128 v[73:76], v[97:98]
.LBB50_163:                             ;   in Loop: Header=BB50_136 Depth=1
	s_or_b32 exec_lo, exec_lo, s1
	v_dual_mov_b32 v72, v70 :: v_dual_mov_b32 v71, v69
	s_mov_b32 s1, exec_lo
	v_cmpx_gt_i32_e64 s12, v193
	s_cbranch_execz .LBB50_165
; %bb.164:                              ;   in Loop: Header=BB50_136 Depth=1
	v_add_co_u32 v69, vcc_lo, v236, v200
	v_add_co_ci_u32_e32 v70, vcc_lo, v237, v201, vcc_lo
	flat_load_b128 v[69:72], v[69:70]
.LBB50_165:                             ;   in Loop: Header=BB50_136 Depth=1
	s_or_b32 exec_lo, exec_lo, s1
	v_mov_b32_e32 v77, 0
	v_mov_b32_e32 v78, 0
	s_mov_b64 s[10:11], 0
	s_mov_b32 s1, exec_lo
	s_delay_alu instid0(VALU_DEP_1)
	v_dual_mov_b32 v80, v78 :: v_dual_mov_b32 v79, v77
	v_cmpx_gt_i32_e64 s12, v194
	s_cbranch_execz .LBB50_167
; %bb.166:                              ;   in Loop: Header=BB50_136 Depth=1
	v_add_co_u32 v77, vcc_lo, v228, v200
	v_add_co_ci_u32_e32 v78, vcc_lo, v229, v201, vcc_lo
	flat_load_b128 v[77:80], v[77:78]
.LBB50_167:                             ;   in Loop: Header=BB50_136 Depth=1
	s_or_b32 exec_lo, exec_lo, s1
	v_cmp_gt_i32_e64 s1, s12, v195
	s_branch .LBB50_170
.LBB50_168:                             ;   in Loop: Header=BB50_136 Depth=1
	s_mov_b32 s1, 0
                                        ; implicit-def: $sgpr10_sgpr11
                                        ; implicit-def: $vgpr79_vgpr80
                                        ; implicit-def: $vgpr71_vgpr72
                                        ; implicit-def: $vgpr75_vgpr76
	s_cbranch_execz .LBB50_170
; %bb.169:                              ;   in Loop: Header=BB50_136 Depth=1
	s_waitcnt vmcnt(0) lgkmcnt(0)
	v_add_co_u32 v69, vcc_lo, v236, v200
	v_add_co_ci_u32_e32 v70, vcc_lo, v237, v201, vcc_lo
	v_add_co_u32 v77, vcc_lo, v240, v200
	v_add_co_ci_u32_e32 v78, vcc_lo, v241, v201, vcc_lo
	flat_load_b128 v[73:76], v[97:98]
	flat_load_b128 v[69:72], v[69:70]
	;; [unrolled: 1-line block ×3, first 2 shown]
	s_or_b32 s1, s1, exec_lo
                                        ; implicit-def: $sgpr10_sgpr11
.LBB50_170:                             ;   in Loop: Header=BB50_136 Depth=1
	v_dual_mov_b32 v98, s11 :: v_dual_mov_b32 v97, s10
	v_dual_mov_b32 v100, s11 :: v_dual_mov_b32 v99, s10
	s_delay_alu instid0(VALU_DEP_3)
	s_and_saveexec_b32 s10, s1
	s_cbranch_execz .LBB50_172
; %bb.171:                              ;   in Loop: Header=BB50_136 Depth=1
	v_add_co_u32 v97, vcc_lo, v224, v200
	v_add_co_ci_u32_e32 v98, vcc_lo, v225, v201, vcc_lo
	flat_load_b128 v[97:100], v[97:98]
.LBB50_172:                             ;   in Loop: Header=BB50_136 Depth=1
	s_or_b32 exec_lo, exec_lo, s10
	ds_load_b128 v[105:108], v179
	ds_load_b128 v[101:104], v186 offset:512
	v_cmp_ne_u32_e32 vcc_lo, 1, v117
	s_and_b32 vcc_lo, exec_lo, vcc_lo
	s_waitcnt vmcnt(0) lgkmcnt(1)
	v_mul_f64 v[109:110], v[75:76], v[107:108]
	v_mul_f64 v[111:112], v[75:76], v[105:106]
	;; [unrolled: 1-line block ×8, first 2 shown]
	v_fma_f64 v[109:110], v[73:74], v[105:106], v[109:110]
	v_fma_f64 v[111:112], v[73:74], v[107:108], -v[111:112]
	v_fma_f64 v[118:119], v[69:70], v[105:106], v[113:114]
	v_fma_f64 v[120:121], v[69:70], v[107:108], -v[115:116]
	;; [unrolled: 2-line block ×4, first 2 shown]
	ds_store_b128 v187, v[109:112]
	ds_load_b128 v[113:116], v186 offset:528
	ds_store_b128 v187, v[118:121] offset:1072
	ds_load_b128 v[109:112], v186 offset:544
	ds_store_b128 v187, v[122:125] offset:2144
	ds_load_b128 v[105:108], v186 offset:560
	ds_store_b128 v187, v[145:148] offset:3216
	s_waitcnt lgkmcnt(0)
	s_barrier
	buffer_gl0_inv
	ds_load_b128 v[165:168], v182
	ds_load_b128 v[161:164], v182 offset:16
	ds_load_b128 v[153:156], v182 offset:32
	;; [unrolled: 1-line block ×3, first 2 shown]
	v_add_co_u32 v145, s1, v212, v200
	s_delay_alu instid0(VALU_DEP_1)
	v_add_co_ci_u32_e64 v146, s1, v213, v201, s1
	s_waitcnt lgkmcnt(0)
	s_barrier
	buffer_gl0_inv
	s_cbranch_vccnz .LBB50_180
; %bb.173:                              ;   in Loop: Header=BB50_136 Depth=1
	v_mov_b32_e32 v117, 0
	v_mov_b32_e32 v118, 0
	s_mov_b32 s1, exec_lo
	s_delay_alu instid0(VALU_DEP_1)
	v_dual_mov_b32 v122, v118 :: v_dual_mov_b32 v121, v117
	v_dual_mov_b32 v124, v118 :: v_dual_mov_b32 v123, v117
	v_cmpx_gt_i32_e64 s12, v196
	s_cbranch_execz .LBB50_175
; %bb.174:                              ;   in Loop: Header=BB50_136 Depth=1
	flat_load_b128 v[121:124], v[145:146]
.LBB50_175:                             ;   in Loop: Header=BB50_136 Depth=1
	s_or_b32 exec_lo, exec_lo, s1
	v_dual_mov_b32 v120, v118 :: v_dual_mov_b32 v119, v117
	s_mov_b32 s1, exec_lo
	v_cmpx_gt_i32_e64 s12, v197
	s_cbranch_execz .LBB50_177
; %bb.176:                              ;   in Loop: Header=BB50_136 Depth=1
	v_add_co_u32 v117, vcc_lo, v216, v200
	v_add_co_ci_u32_e32 v118, vcc_lo, v217, v201, vcc_lo
	flat_load_b128 v[117:120], v[117:118]
.LBB50_177:                             ;   in Loop: Header=BB50_136 Depth=1
	s_or_b32 exec_lo, exec_lo, s1
	v_mov_b32_e32 v125, 0
	v_mov_b32_e32 v126, 0
	s_mov_b64 s[10:11], 0
	s_mov_b32 s1, exec_lo
	s_delay_alu instid0(VALU_DEP_1)
	v_dual_mov_b32 v128, v126 :: v_dual_mov_b32 v127, v125
	v_cmpx_gt_i32_e64 s12, v198
	s_cbranch_execz .LBB50_179
; %bb.178:                              ;   in Loop: Header=BB50_136 Depth=1
	v_add_co_u32 v125, vcc_lo, v208, v200
	v_add_co_ci_u32_e32 v126, vcc_lo, v209, v201, vcc_lo
	flat_load_b128 v[125:128], v[125:126]
.LBB50_179:                             ;   in Loop: Header=BB50_136 Depth=1
	s_or_b32 exec_lo, exec_lo, s1
	v_cmp_gt_i32_e64 s1, s12, v199
	s_branch .LBB50_182
.LBB50_180:                             ;   in Loop: Header=BB50_136 Depth=1
	s_mov_b32 s1, 0
                                        ; implicit-def: $sgpr10_sgpr11
                                        ; implicit-def: $vgpr127_vgpr128
                                        ; implicit-def: $vgpr119_vgpr120
                                        ; implicit-def: $vgpr123_vgpr124
	s_cbranch_execz .LBB50_182
; %bb.181:                              ;   in Loop: Header=BB50_136 Depth=1
	s_waitcnt vmcnt(0) lgkmcnt(0)
	v_add_co_u32 v117, vcc_lo, v216, v200
	v_add_co_ci_u32_e32 v118, vcc_lo, v217, v201, vcc_lo
	v_add_co_u32 v125, vcc_lo, v222, v200
	v_add_co_ci_u32_e32 v126, vcc_lo, v223, v201, vcc_lo
	flat_load_b128 v[121:124], v[145:146]
	flat_load_b128 v[117:120], v[117:118]
	;; [unrolled: 1-line block ×3, first 2 shown]
	s_or_b32 s1, s1, exec_lo
                                        ; implicit-def: $sgpr10_sgpr11
.LBB50_182:                             ;   in Loop: Header=BB50_136 Depth=1
	v_dual_mov_b32 v146, s11 :: v_dual_mov_b32 v145, s10
	v_dual_mov_b32 v148, s11 :: v_dual_mov_b32 v147, s10
	s_delay_alu instid0(VALU_DEP_3)
	s_and_saveexec_b32 s10, s1
	s_cbranch_execz .LBB50_184
; %bb.183:                              ;   in Loop: Header=BB50_136 Depth=1
	v_add_co_u32 v145, vcc_lo, v204, v200
	v_add_co_ci_u32_e32 v146, vcc_lo, v205, v201, vcc_lo
	flat_load_b128 v[145:148], v[145:146]
.LBB50_184:                             ;   in Loop: Header=BB50_136 Depth=1
	s_or_b32 exec_lo, exec_lo, s10
	v_add_f64 v[93:94], v[93:94], 0
	v_add_f64 v[95:96], v[95:96], 0
	ds_load_b128 v[243:246], v179
	ds_load_b128 v[157:160], v186 offset:768
	v_add_f64 v[165:166], v[165:166], 0
	v_add_f64 v[167:168], v[167:168], 0
	v_cmp_gt_i32_e32 vcc_lo, s12, v170
	s_or_b32 s1, s5, vcc_lo
	s_delay_alu instid0(SALU_CYCLE_1)
	s_and_b32 s5, s0, s1
	s_waitcnt vmcnt(0) lgkmcnt(1)
	v_mul_f64 v[188:189], v[123:124], v[245:246]
	v_mul_f64 v[190:191], v[123:124], v[243:244]
	v_mul_f64 v[183:184], v[147:148], v[245:246]
	v_mul_f64 v[172:173], v[147:148], v[243:244]
	v_add_f64 v[89:90], v[93:94], v[89:90]
	v_add_f64 v[91:92], v[95:96], v[91:92]
	;; [unrolled: 1-line block ×4, first 2 shown]
	v_fma_f64 v[247:248], v[121:122], v[243:244], v[188:189]
	v_fma_f64 v[249:250], v[121:122], v[245:246], -v[190:191]
	v_mul_f64 v[188:189], v[119:120], v[245:246]
	v_mul_f64 v[190:191], v[119:120], v[243:244]
	v_add_f64 v[85:86], v[89:90], v[85:86]
	v_add_f64 v[87:88], v[91:92], v[87:88]
	;; [unrolled: 1-line block ×4, first 2 shown]
	ds_store_b128 v187, v[247:250]
	v_fma_f64 v[251:252], v[117:118], v[243:244], v[188:189]
	v_fma_f64 v[253:254], v[117:118], v[245:246], -v[190:191]
	v_mul_f64 v[188:189], v[127:128], v[245:246]
	v_mul_f64 v[190:191], v[127:128], v[243:244]
	ds_load_b128 v[89:92], v186 offset:784
	v_add_f64 v[93:94], v[85:86], v[81:82]
	v_add_f64 v[95:96], v[87:88], v[83:84]
	;; [unrolled: 1-line block ×6, first 2 shown]
	ds_store_b128 v187, v[251:254] offset:1072
	v_fma_f64 v[188:189], v[125:126], v[243:244], v[188:189]
	v_fma_f64 v[190:191], v[125:126], v[245:246], -v[190:191]
	v_fma_f64 v[243:244], v[145:146], v[243:244], v[183:184]
	v_fma_f64 v[245:246], v[145:146], v[245:246], -v[172:173]
	ds_load_b128 v[85:88], v186 offset:800
	v_add_f64 v[81:82], v[81:82], v[137:138]
	v_add_f64 v[83:84], v[83:84], v[139:140]
	ds_store_b128 v187, v[188:191] offset:2144
	v_add_f64 v[81:82], v[81:82], v[133:134]
	v_add_f64 v[83:84], v[83:84], v[135:136]
	s_delay_alu instid0(VALU_DEP_2) | instskip(NEXT) | instid1(VALU_DEP_2)
	v_add_f64 v[129:130], v[81:82], v[129:130]
	v_add_f64 v[131:132], v[83:84], v[131:132]
	ds_load_b128 v[81:84], v186 offset:816
	ds_store_b128 v187, v[243:246] offset:3216
	s_waitcnt lgkmcnt(0)
	s_barrier
	buffer_gl0_inv
	ds_load_b128 v[133:136], v182
	ds_load_b128 v[137:140], v182 offset:16
	s_waitcnt lgkmcnt(1)
	v_add_f64 v[133:134], v[133:134], 0
	v_add_f64 v[135:136], v[135:136], 0
	s_waitcnt lgkmcnt(0)
	s_delay_alu instid0(VALU_DEP_2) | instskip(NEXT) | instid1(VALU_DEP_2)
	v_add_f64 v[141:142], v[133:134], v[137:138]
	v_add_f64 v[143:144], v[135:136], v[139:140]
	ds_load_b128 v[133:136], v182 offset:32
	ds_load_b128 v[137:140], v182 offset:48
	s_waitcnt lgkmcnt(0)
	s_barrier
	buffer_gl0_inv
	ds_store_b128 v242, v[93:96]
	ds_store_b128 v242, v[129:132] offset:256
	ds_store_b128 v242, v[149:152] offset:512
	v_add_f64 v[133:134], v[141:142], v[133:134]
	v_add_f64 v[135:136], v[143:144], v[135:136]
	s_delay_alu instid0(VALU_DEP_2) | instskip(NEXT) | instid1(VALU_DEP_2)
	v_add_f64 v[133:134], v[133:134], v[137:138]
	v_add_f64 v[135:136], v[135:136], v[139:140]
	ds_store_b128 v242, v[133:136] offset:768
	s_waitcnt lgkmcnt(0)
	s_barrier
	buffer_gl0_inv
	s_and_saveexec_b32 s1, s5
	s_cbranch_execz .LBB50_186
; %bb.185:                              ;   in Loop: Header=BB50_136 Depth=1
	ds_load_b128 v[93:96], v180
	ds_load_b128 v[129:132], v180 offset:16
	v_ashrrev_i32_e32 v172, 31, v171
	s_waitcnt lgkmcnt(0)
	v_add_f64 v[133:134], v[129:130], v[93:94]
	v_add_f64 v[135:136], v[131:132], v[95:96]
	ds_load_b128 v[93:96], v180 offset:32
	ds_load_b128 v[129:132], v180 offset:48
	s_waitcnt lgkmcnt(1)
	v_add_f64 v[93:94], v[133:134], v[93:94]
	v_add_f64 v[95:96], v[135:136], v[95:96]
	s_waitcnt lgkmcnt(0)
	s_delay_alu instid0(VALU_DEP_2) | instskip(NEXT) | instid1(VALU_DEP_2)
	v_add_f64 v[133:134], v[93:94], v[129:130]
	v_add_f64 v[135:136], v[95:96], v[131:132]
	ds_load_b128 v[93:96], v180 offset:64
	ds_load_b128 v[129:132], v180 offset:80
	s_waitcnt lgkmcnt(1)
	v_add_f64 v[93:94], v[133:134], v[93:94]
	v_add_f64 v[95:96], v[135:136], v[95:96]
	s_waitcnt lgkmcnt(0)
	s_delay_alu instid0(VALU_DEP_2) | instskip(NEXT) | instid1(VALU_DEP_2)
	;; [unrolled: 9-line block ×5, first 2 shown]
	v_add_f64 v[133:134], v[93:94], v[129:130]
	v_add_f64 v[135:136], v[95:96], v[131:132]
	ds_load_b128 v[93:96], v180 offset:192
	ds_load_b128 v[129:132], v180 offset:208
	s_waitcnt lgkmcnt(1)
	v_add_f64 v[93:94], v[133:134], v[93:94]
	v_add_f64 v[95:96], v[135:136], v[95:96]
	s_waitcnt lgkmcnt(0)
	s_delay_alu instid0(VALU_DEP_2)
	v_add_f64 v[133:134], v[93:94], v[129:130]
	scratch_load_b32 v129, off, off offset:4 ; 4-byte Folded Reload
	v_add_f64 v[135:136], v[95:96], v[131:132]
	ds_load_b128 v[93:96], v180 offset:224
	s_waitcnt vmcnt(0)
	ds_load_b128 v[129:132], v129
	s_waitcnt lgkmcnt(1)
	v_add_f64 v[93:94], v[133:134], v[93:94]
	v_add_f64 v[95:96], v[135:136], v[95:96]
	s_waitcnt lgkmcnt(0)
	s_delay_alu instid0(VALU_DEP_2) | instskip(NEXT) | instid1(VALU_DEP_2)
	v_add_f64 v[93:94], v[93:94], v[129:130]
	v_add_f64 v[95:96], v[95:96], v[131:132]
	v_lshlrev_b64 v[129:130], 4, v[171:172]
	s_delay_alu instid0(VALU_DEP_1) | instskip(NEXT) | instid1(VALU_DEP_2)
	v_add_co_u32 v129, vcc_lo, s3, v129
	v_add_co_ci_u32_e32 v130, vcc_lo, s9, v130, vcc_lo
	global_store_b128 v[129:130], v[93:96], off
.LBB50_186:                             ;   in Loop: Header=BB50_136 Depth=1
	s_or_b32 exec_lo, exec_lo, s1
	v_mul_f64 v[93:94], v[11:12], v[23:24]
	v_mul_f64 v[23:24], v[9:10], v[23:24]
	;; [unrolled: 1-line block ×4, first 2 shown]
	v_add_co_u32 v202, vcc_lo, v202, s6
	v_add_co_ci_u32_e32 v203, vcc_lo, s7, v203, vcc_lo
	v_add_co_u32 v204, vcc_lo, v204, s6
	v_add_co_ci_u32_e32 v205, vcc_lo, s7, v205, vcc_lo
	;; [unrolled: 2-line block ×8, first 2 shown]
	v_add_co_u32 v218, vcc_lo, v218, s6
	v_fma_f64 v[9:10], v[9:10], v[21:22], -v[93:94]
	v_fma_f64 v[11:12], v[11:12], v[21:22], v[23:24]
	v_mul_f64 v[21:22], v[15:16], v[31:32]
	v_mul_f64 v[23:24], v[13:14], v[31:32]
	v_fma_f64 v[5:6], v[5:6], v[33:34], -v[95:96]
	v_fma_f64 v[7:8], v[7:8], v[33:34], v[35:36]
	v_add_co_ci_u32_e32 v219, vcc_lo, s7, v219, vcc_lo
	v_add_co_u32 v220, vcc_lo, v220, s6
	v_add_co_ci_u32_e32 v221, vcc_lo, s7, v221, vcc_lo
	v_add_co_u32 v222, vcc_lo, v222, s6
	;; [unrolled: 2-line block ×8, first 2 shown]
	v_add_f64 v[0:1], v[0:1], v[9:10]
	v_add_f64 v[2:3], v[2:3], v[11:12]
	v_mul_f64 v[9:10], v[19:20], v[27:28]
	v_mul_f64 v[11:12], v[17:18], v[27:28]
	v_fma_f64 v[13:14], v[13:14], v[29:30], -v[21:22]
	v_fma_f64 v[15:16], v[15:16], v[29:30], v[23:24]
	v_add_co_ci_u32_e32 v235, vcc_lo, s7, v235, vcc_lo
	v_add_co_u32 v236, vcc_lo, v236, s6
	v_add_co_ci_u32_e32 v237, vcc_lo, s7, v237, vcc_lo
	v_add_co_u32 v238, vcc_lo, v238, s6
	;; [unrolled: 2-line block ×3, first 2 shown]
	v_add_nc_u32_e32 v171, 64, v171
	v_add_co_ci_u32_e32 v241, vcc_lo, s7, v241, vcc_lo
	s_add_i32 s5, s14, 2
	s_add_i32 s1, s14, 1
	;; [unrolled: 1-line block ×3, first 2 shown]
	s_cmp_ge_u32 s5, s15
	s_waitcnt_vscnt null, 0x0
	s_barrier
	buffer_gl0_inv
	v_add_f64 v[0:1], v[0:1], v[5:6]
	v_add_f64 v[2:3], v[2:3], v[7:8]
	v_mul_f64 v[5:6], v[43:44], v[55:56]
	v_mul_f64 v[7:8], v[41:42], v[55:56]
	v_fma_f64 v[9:10], v[17:18], v[25:26], -v[9:10]
	v_fma_f64 v[11:12], v[19:20], v[25:26], v[11:12]
	v_add_f64 v[0:1], v[0:1], v[13:14]
	v_add_f64 v[2:3], v[2:3], v[15:16]
	v_mul_f64 v[13:14], v[39:40], v[67:68]
	v_mul_f64 v[15:16], v[37:38], v[67:68]
	v_fma_f64 v[5:6], v[41:42], v[53:54], -v[5:6]
	v_fma_f64 v[7:8], v[43:44], v[53:54], v[7:8]
	;; [unrolled: 6-line block ×12, first 2 shown]
	v_add_f64 v[0:1], v[0:1], v[5:6]
	v_add_f64 v[2:3], v[2:3], v[7:8]
	v_fma_f64 v[5:6], v[145:146], v[81:82], -v[9:10]
	v_fma_f64 v[7:8], v[147:148], v[81:82], v[11:12]
	s_delay_alu instid0(VALU_DEP_4) | instskip(NEXT) | instid1(VALU_DEP_4)
	v_add_f64 v[0:1], v[0:1], v[13:14]
	v_add_f64 v[2:3], v[2:3], v[15:16]
	s_delay_alu instid0(VALU_DEP_2) | instskip(NEXT) | instid1(VALU_DEP_2)
	v_add_f64 v[0:1], v[0:1], v[5:6]
	v_add_f64 v[2:3], v[2:3], v[7:8]
	s_cbranch_scc1 .LBB50_188
; %bb.187:                              ;   in Loop: Header=BB50_136 Depth=1
	s_mov_b32 s14, s1
	s_delay_alu instid0(SALU_CYCLE_1)
	s_cmp_eq_u32 s24, s14
	s_cselect_b32 s12, s26, 0
	s_and_saveexec_b32 s1, s2
	s_cbranch_execnz .LBB50_132
	s_branch .LBB50_136
.LBB50_188:
	scratch_load_b32 v4, off, off offset:8  ; 4-byte Folded Reload
	v_lshlrev_b32_e32 v12, 4, v170
	v_cmp_gt_i32_e32 vcc_lo, s8, v170
	s_or_b32 s0, s27, vcc_lo
	s_delay_alu instid0(SALU_CYCLE_1)
	s_and_b32 s0, s2, s0
	s_waitcnt vmcnt(0)
	v_mad_u32_u24 v4, 0x430, v4, v12
	ds_store_b128 v4, v[0:3]
	s_waitcnt lgkmcnt(0)
	s_barrier
	buffer_gl0_inv
	s_and_saveexec_b32 s1, s0
	s_cbranch_execz .LBB50_190
; %bb.189:
	ds_load_b128 v[0:3], v12 offset:1072
	ds_load_b128 v[4:7], v12
	s_waitcnt lgkmcnt(0)
	v_add_f64 v[8:9], v[0:1], v[4:5]
	v_add_f64 v[10:11], v[2:3], v[6:7]
	ds_load_b128 v[0:3], v12 offset:2144
	ds_load_b128 v[4:7], v12 offset:3216
	s_waitcnt lgkmcnt(1)
	v_add_f64 v[0:1], v[8:9], v[0:1]
	v_add_f64 v[2:3], v[10:11], v[2:3]
	s_waitcnt lgkmcnt(0)
	s_delay_alu instid0(VALU_DEP_2) | instskip(SKIP_4) | instid1(VALU_DEP_1)
	v_add_f64 v[0:1], v[0:1], v[4:5]
	scratch_load_b64 v[4:5], off, off offset:12 ; 8-byte Folded Reload
	v_add_f64 v[2:3], v[2:3], v[6:7]
	s_waitcnt vmcnt(0)
	v_ashrrev_i32_e32 v5, 31, v4
	v_lshlrev_b64 v[4:5], 4, v[4:5]
	s_delay_alu instid0(VALU_DEP_1) | instskip(NEXT) | instid1(VALU_DEP_2)
	v_add_co_u32 v4, vcc_lo, s3, v4
	v_add_co_ci_u32_e32 v5, vcc_lo, s9, v5, vcc_lo
	global_store_b128 v[4:5], v[0:3], off
.LBB50_190:
	s_nop 0
	s_sendmsg sendmsg(MSG_DEALLOC_VGPRS)
	s_endpgm
	.section	.rodata,"a",@progbits
	.p2align	6, 0x0
	.amdhsa_kernel _ZL26rocblas_hemvn_kernel_upperILb1ELi64ELi4ELi33ELi32ELi16EiPK19rocblas_complex_numIdEPKS3_PS1_EviT6_lT7_lT5_lS8_lS9_lS7_lT8_i
		.amdhsa_group_segment_fixed_size 19200
		.amdhsa_private_segment_fixed_size 24
		.amdhsa_kernarg_size 376
		.amdhsa_user_sgpr_count 14
		.amdhsa_user_sgpr_dispatch_ptr 0
		.amdhsa_user_sgpr_queue_ptr 0
		.amdhsa_user_sgpr_kernarg_segment_ptr 1
		.amdhsa_user_sgpr_dispatch_id 0
		.amdhsa_user_sgpr_private_segment_size 0
		.amdhsa_wavefront_size32 1
		.amdhsa_uses_dynamic_stack 0
		.amdhsa_enable_private_segment 1
		.amdhsa_system_sgpr_workgroup_id_x 1
		.amdhsa_system_sgpr_workgroup_id_y 0
		.amdhsa_system_sgpr_workgroup_id_z 1
		.amdhsa_system_sgpr_workgroup_info 0
		.amdhsa_system_vgpr_workitem_id 1
		.amdhsa_next_free_vgpr 256
		.amdhsa_next_free_sgpr 37
		.amdhsa_reserve_vcc 1
		.amdhsa_float_round_mode_32 0
		.amdhsa_float_round_mode_16_64 0
		.amdhsa_float_denorm_mode_32 3
		.amdhsa_float_denorm_mode_16_64 3
		.amdhsa_dx10_clamp 1
		.amdhsa_ieee_mode 1
		.amdhsa_fp16_overflow 0
		.amdhsa_workgroup_processor_mode 1
		.amdhsa_memory_ordered 1
		.amdhsa_forward_progress 0
		.amdhsa_shared_vgpr_count 0
		.amdhsa_exception_fp_ieee_invalid_op 0
		.amdhsa_exception_fp_denorm_src 0
		.amdhsa_exception_fp_ieee_div_zero 0
		.amdhsa_exception_fp_ieee_overflow 0
		.amdhsa_exception_fp_ieee_underflow 0
		.amdhsa_exception_fp_ieee_inexact 0
		.amdhsa_exception_int_div_zero 0
	.end_amdhsa_kernel
	.section	.text._ZL26rocblas_hemvn_kernel_upperILb1ELi64ELi4ELi33ELi32ELi16EiPK19rocblas_complex_numIdEPKS3_PS1_EviT6_lT7_lT5_lS8_lS9_lS7_lT8_i,"axG",@progbits,_ZL26rocblas_hemvn_kernel_upperILb1ELi64ELi4ELi33ELi32ELi16EiPK19rocblas_complex_numIdEPKS3_PS1_EviT6_lT7_lT5_lS8_lS9_lS7_lT8_i,comdat
.Lfunc_end50:
	.size	_ZL26rocblas_hemvn_kernel_upperILb1ELi64ELi4ELi33ELi32ELi16EiPK19rocblas_complex_numIdEPKS3_PS1_EviT6_lT7_lT5_lS8_lS9_lS7_lT8_i, .Lfunc_end50-_ZL26rocblas_hemvn_kernel_upperILb1ELi64ELi4ELi33ELi32ELi16EiPK19rocblas_complex_numIdEPKS3_PS1_EviT6_lT7_lT5_lS8_lS9_lS7_lT8_i
                                        ; -- End function
	.section	.AMDGPU.csdata,"",@progbits
; Kernel info:
; codeLenInByte = 12904
; NumSgprs: 39
; NumVgprs: 256
; ScratchSize: 24
; MemoryBound: 1
; FloatMode: 240
; IeeeMode: 1
; LDSByteSize: 19200 bytes/workgroup (compile time only)
; SGPRBlocks: 4
; VGPRBlocks: 31
; NumSGPRsForWavesPerEU: 39
; NumVGPRsForWavesPerEU: 256
; Occupancy: 5
; WaveLimiterHint : 1
; COMPUTE_PGM_RSRC2:SCRATCH_EN: 1
; COMPUTE_PGM_RSRC2:USER_SGPR: 14
; COMPUTE_PGM_RSRC2:TRAP_HANDLER: 0
; COMPUTE_PGM_RSRC2:TGID_X_EN: 1
; COMPUTE_PGM_RSRC2:TGID_Y_EN: 0
; COMPUTE_PGM_RSRC2:TGID_Z_EN: 1
; COMPUTE_PGM_RSRC2:TIDIG_COMP_CNT: 1
	.section	.text._ZL36rocblas_hemvn_kernel_upper_block_sumILi64EiPK19rocblas_complex_numIdEPKPS1_S1_EviT1_lS7_lT2_lT0_lPT3_i,"axG",@progbits,_ZL36rocblas_hemvn_kernel_upper_block_sumILi64EiPK19rocblas_complex_numIdEPKPS1_S1_EviT1_lS7_lT2_lT0_lPT3_i,comdat
	.globl	_ZL36rocblas_hemvn_kernel_upper_block_sumILi64EiPK19rocblas_complex_numIdEPKPS1_S1_EviT1_lS7_lT2_lT0_lPT3_i ; -- Begin function _ZL36rocblas_hemvn_kernel_upper_block_sumILi64EiPK19rocblas_complex_numIdEPKPS1_S1_EviT1_lS7_lT2_lT0_lPT3_i
	.p2align	8
	.type	_ZL36rocblas_hemvn_kernel_upper_block_sumILi64EiPK19rocblas_complex_numIdEPKPS1_S1_EviT1_lS7_lT2_lT0_lPT3_i,@function
_ZL36rocblas_hemvn_kernel_upper_block_sumILi64EiPK19rocblas_complex_numIdEPKPS1_S1_EviT1_lS7_lT2_lT0_lPT3_i: ; @_ZL36rocblas_hemvn_kernel_upper_block_sumILi64EiPK19rocblas_complex_numIdEPKPS1_S1_EviT1_lS7_lT2_lT0_lPT3_i
; %bb.0:
	s_load_b256 s[4:11], s[0:1], 0x8
	s_mov_b32 s12, s15
	s_waitcnt lgkmcnt(0)
	s_mul_i32 s3, s15, s7
	s_mul_hi_u32 s7, s15, s6
	s_mul_i32 s2, s15, s6
	s_add_i32 s3, s7, s3
	s_delay_alu instid0(SALU_CYCLE_1) | instskip(NEXT) | instid1(SALU_CYCLE_1)
	s_lshl_b64 s[2:3], s[2:3], 4
	s_add_u32 s2, s4, s2
	s_addc_u32 s3, s5, s3
	s_load_b128 s[16:19], s[2:3], 0x0
	s_mul_i32 s2, s12, s11
	s_mul_hi_u32 s3, s12, s10
	s_delay_alu instid0(SALU_CYCLE_1) | instskip(SKIP_1) | instid1(SALU_CYCLE_1)
	s_add_i32 s3, s3, s2
	s_mul_i32 s2, s12, s10
	s_lshl_b64 s[2:3], s[2:3], 4
	s_delay_alu instid0(SALU_CYCLE_1)
	s_add_u32 s2, s8, s2
	s_addc_u32 s3, s9, s3
	s_load_b128 s[4:7], s[2:3], 0x0
	s_mov_b32 s3, -1
	s_waitcnt lgkmcnt(0)
	v_cmp_neq_f64_e64 s13, s[16:17], 0
	v_cmp_neq_f64_e64 s15, s[18:19], 0
	s_delay_alu instid0(VALU_DEP_1) | instskip(NEXT) | instid1(SALU_CYCLE_1)
	s_or_b32 s2, s13, s15
	s_and_b32 vcc_lo, exec_lo, s2
	s_cbranch_vccnz .LBB51_2
; %bb.1:
	v_cmp_neq_f64_e64 s3, s[4:5], 1.0
	v_cmp_neq_f64_e64 s8, s[6:7], 0
	s_delay_alu instid0(VALU_DEP_1)
	s_or_b32 s3, s3, s8
.LBB51_2:
	s_delay_alu instid0(SALU_CYCLE_1)
	s_and_not1_b32 vcc_lo, exec_lo, s3
	s_cbranch_vccnz .LBB51_22
; %bb.3:
	s_load_b128 s[20:23], s[0:1], 0x28
	s_mov_b32 s13, 0
	s_xor_b32 s9, s2, -1
	s_lshl_b64 s[24:25], s[12:13], 3
	s_clause 0x1
	s_load_b32 s11, s[0:1], 0x38
	s_load_b32 s8, s[0:1], 0x0
	v_lshl_or_b32 v4, s14, 6, v0
	s_waitcnt lgkmcnt(0)
	s_add_u32 s2, s20, s24
	s_addc_u32 s3, s21, s25
	s_lshl_b64 s[22:23], s[22:23], 4
	s_load_b64 s[20:21], s[2:3], 0x0
	v_cmp_gt_i32_e64 s2, s8, v4
	s_waitcnt lgkmcnt(0)
	s_add_u32 s3, s20, s22
	s_addc_u32 s10, s21, s23
	s_and_not1_b32 vcc_lo, exec_lo, s9
	s_cbranch_vccnz .LBB51_8
; %bb.4:
	s_mov_b32 s9, 0
                                        ; implicit-def: $vgpr2_vgpr3
                                        ; implicit-def: $vgpr5_vgpr6
	s_and_saveexec_b32 s15, s2
	s_cbranch_execz .LBB51_9
; %bb.5:
	v_cmp_neq_f64_e64 s2, s[4:5], 0
	v_cmp_neq_f64_e64 s13, s[6:7], 0
	v_mul_lo_u32 v5, v4, s11
	v_mov_b32_e32 v2, 0
	v_mov_b32_e32 v3, 0
	s_delay_alu instid0(VALU_DEP_1) | instskip(NEXT) | instid1(VALU_DEP_4)
	v_dual_mov_b32 v0, v2 :: v_dual_mov_b32 v1, v3
	v_ashrrev_i32_e32 v6, 31, v5
	s_or_b32 s2, s2, s13
	s_delay_alu instid0(SALU_CYCLE_1)
	s_and_not1_b32 vcc_lo, exec_lo, s2
	s_cbranch_vccnz .LBB51_7
; %bb.6:
	s_delay_alu instid0(VALU_DEP_1) | instskip(NEXT) | instid1(VALU_DEP_1)
	v_lshlrev_b64 v[0:1], 4, v[5:6]
	v_add_co_u32 v0, vcc_lo, s3, v0
	s_delay_alu instid0(VALU_DEP_2) | instskip(SKIP_4) | instid1(VALU_DEP_2)
	v_add_co_ci_u32_e32 v1, vcc_lo, s10, v1, vcc_lo
	global_load_b128 v[7:10], v[0:1], off
	s_waitcnt vmcnt(0)
	v_mul_f64 v[0:1], s[6:7], v[9:10]
	v_mul_f64 v[2:3], s[4:5], v[9:10]
	v_fma_f64 v[0:1], s[4:5], v[7:8], -v[0:1]
	s_delay_alu instid0(VALU_DEP_2)
	v_fma_f64 v[2:3], s[6:7], v[7:8], v[2:3]
.LBB51_7:
	s_mov_b32 s13, exec_lo
	s_or_b32 exec_lo, exec_lo, s15
	s_delay_alu instid0(SALU_CYCLE_1)
	s_and_b32 vcc_lo, exec_lo, s9
	s_cbranch_vccnz .LBB51_10
	s_branch .LBB51_20
.LBB51_8:
                                        ; implicit-def: $vgpr2_vgpr3
                                        ; implicit-def: $vgpr5_vgpr6
	s_cbranch_execnz .LBB51_10
	s_branch .LBB51_20
.LBB51_9:
	s_or_b32 exec_lo, exec_lo, s15
	s_delay_alu instid0(SALU_CYCLE_1)
	s_and_b32 vcc_lo, exec_lo, s9
	s_cbranch_vccz .LBB51_20
.LBB51_10:
	s_mov_b32 s2, exec_lo
                                        ; implicit-def: $vgpr2_vgpr3
                                        ; implicit-def: $vgpr5_vgpr6
	v_cmpx_gt_i32_e64 s8, v4
	s_cbranch_execz .LBB51_19
; %bb.11:
	v_mov_b32_e32 v0, 0
	v_mov_b32_e32 v1, 0
	s_cmp_lt_i32 s14, 0
	s_delay_alu instid0(VALU_DEP_1)
	v_dual_mov_b32 v3, v1 :: v_dual_mov_b32 v2, v0
	s_cbranch_scc1 .LBB51_14
; %bb.12:
	s_clause 0x1
	s_load_b32 s15, s[0:1], 0x58
	s_load_b64 s[0:1], s[0:1], 0x48
	s_ashr_i32 s9, s8, 31
	s_mul_hi_u32 s20, s8, s12
	s_mul_i32 s21, s9, s12
	v_dual_mov_b32 v5, 0 :: v_dual_mov_b32 v0, 0
	s_add_i32 s20, s20, s21
	s_mul_i32 s12, s8, s12
	s_add_i32 s14, s14, 1
	s_delay_alu instid0(VALU_DEP_1)
	v_lshlrev_b64 v[2:3], 4, v[4:5]
	v_mov_b32_e32 v1, 0
	s_waitcnt lgkmcnt(0)
	s_mul_i32 s21, s20, s15
	s_mul_hi_u32 s22, s12, s15
	s_mul_i32 s20, s12, s15
	s_add_i32 s21, s22, s21
	s_delay_alu instid0(SALU_CYCLE_1) | instskip(NEXT) | instid1(SALU_CYCLE_1)
	s_lshl_b64 s[20:21], s[20:21], 4
	s_add_u32 s0, s0, s20
	s_addc_u32 s1, s1, s21
	v_add_co_u32 v2, vcc_lo, s0, v2
	v_add_co_ci_u32_e32 v3, vcc_lo, s1, v3, vcc_lo
	s_lshl_b64 s[0:1], s[8:9], 4
	s_delay_alu instid0(VALU_DEP_2) | instskip(NEXT) | instid1(VALU_DEP_2)
	v_add_co_u32 v5, vcc_lo, v2, 8
	v_add_co_ci_u32_e32 v6, vcc_lo, 0, v3, vcc_lo
	v_dual_mov_b32 v3, v1 :: v_dual_mov_b32 v2, v0
.LBB51_13:                              ; =>This Inner Loop Header: Depth=1
	global_load_b128 v[7:10], v[5:6], off offset:-8
	v_add_co_u32 v5, vcc_lo, v5, s0
	v_add_co_ci_u32_e32 v6, vcc_lo, s1, v6, vcc_lo
	s_add_i32 s14, s14, -1
	s_delay_alu instid0(SALU_CYCLE_1)
	s_cmp_eq_u32 s14, 0
	s_waitcnt vmcnt(0)
	v_add_f64 v[2:3], v[2:3], v[7:8]
	v_add_f64 v[0:1], v[0:1], v[9:10]
	s_cbranch_scc0 .LBB51_13
.LBB51_14:
	s_delay_alu instid0(VALU_DEP_1) | instskip(SKIP_3) | instid1(VALU_DEP_4)
	v_mul_f64 v[5:6], s[18:19], v[0:1]
	v_mul_f64 v[7:8], s[16:17], v[0:1]
	v_cmp_neq_f64_e64 s0, s[4:5], 0
	v_cmp_neq_f64_e64 s1, s[6:7], 0
	v_fma_f64 v[0:1], s[16:17], v[2:3], -v[5:6]
	s_delay_alu instid0(VALU_DEP_4) | instskip(SKIP_1) | instid1(VALU_DEP_4)
	v_fma_f64 v[2:3], s[18:19], v[2:3], v[7:8]
	v_mul_lo_u32 v5, v4, s11
	s_or_b32 s0, s0, s1
	s_delay_alu instid0(SALU_CYCLE_1) | instskip(NEXT) | instid1(VALU_DEP_1)
	s_and_not1_b32 vcc_lo, exec_lo, s0
	v_ashrrev_i32_e32 v6, 31, v5
	s_cbranch_vccz .LBB51_16
; %bb.15:
	s_cbranch_execz .LBB51_17
	s_branch .LBB51_18
.LBB51_16:
.LBB51_17:
	s_delay_alu instid0(VALU_DEP_1) | instskip(NEXT) | instid1(VALU_DEP_1)
	v_lshlrev_b64 v[7:8], 4, v[5:6]
	v_add_co_u32 v7, vcc_lo, s3, v7
	s_delay_alu instid0(VALU_DEP_2) | instskip(SKIP_4) | instid1(VALU_DEP_2)
	v_add_co_ci_u32_e32 v8, vcc_lo, s10, v8, vcc_lo
	global_load_b128 v[7:10], v[7:8], off
	s_waitcnt vmcnt(0)
	v_mul_f64 v[11:12], s[6:7], v[9:10]
	v_mul_f64 v[9:10], s[4:5], v[9:10]
	v_fma_f64 v[11:12], s[4:5], v[7:8], -v[11:12]
	s_delay_alu instid0(VALU_DEP_2) | instskip(NEXT) | instid1(VALU_DEP_2)
	v_fma_f64 v[7:8], s[6:7], v[7:8], v[9:10]
	v_add_f64 v[0:1], v[0:1], v[11:12]
	s_delay_alu instid0(VALU_DEP_2)
	v_add_f64 v[2:3], v[2:3], v[7:8]
.LBB51_18:
	s_or_b32 s13, s13, exec_lo
.LBB51_19:
	s_or_b32 exec_lo, exec_lo, s2
.LBB51_20:
	s_and_saveexec_b32 s0, s13
	s_cbranch_execz .LBB51_22
; %bb.21:
	v_lshlrev_b64 v[4:5], 4, v[5:6]
	s_delay_alu instid0(VALU_DEP_1) | instskip(NEXT) | instid1(VALU_DEP_2)
	v_add_co_u32 v4, vcc_lo, s3, v4
	v_add_co_ci_u32_e32 v5, vcc_lo, s10, v5, vcc_lo
	global_store_b128 v[4:5], v[0:3], off
.LBB51_22:
	s_nop 0
	s_sendmsg sendmsg(MSG_DEALLOC_VGPRS)
	s_endpgm
	.section	.rodata,"a",@progbits
	.p2align	6, 0x0
	.amdhsa_kernel _ZL36rocblas_hemvn_kernel_upper_block_sumILi64EiPK19rocblas_complex_numIdEPKPS1_S1_EviT1_lS7_lT2_lT0_lPT3_i
		.amdhsa_group_segment_fixed_size 0
		.amdhsa_private_segment_fixed_size 0
		.amdhsa_kernarg_size 344
		.amdhsa_user_sgpr_count 14
		.amdhsa_user_sgpr_dispatch_ptr 0
		.amdhsa_user_sgpr_queue_ptr 0
		.amdhsa_user_sgpr_kernarg_segment_ptr 1
		.amdhsa_user_sgpr_dispatch_id 0
		.amdhsa_user_sgpr_private_segment_size 0
		.amdhsa_wavefront_size32 1
		.amdhsa_uses_dynamic_stack 0
		.amdhsa_enable_private_segment 0
		.amdhsa_system_sgpr_workgroup_id_x 1
		.amdhsa_system_sgpr_workgroup_id_y 0
		.amdhsa_system_sgpr_workgroup_id_z 1
		.amdhsa_system_sgpr_workgroup_info 0
		.amdhsa_system_vgpr_workitem_id 0
		.amdhsa_next_free_vgpr 13
		.amdhsa_next_free_sgpr 26
		.amdhsa_reserve_vcc 1
		.amdhsa_float_round_mode_32 0
		.amdhsa_float_round_mode_16_64 0
		.amdhsa_float_denorm_mode_32 3
		.amdhsa_float_denorm_mode_16_64 3
		.amdhsa_dx10_clamp 1
		.amdhsa_ieee_mode 1
		.amdhsa_fp16_overflow 0
		.amdhsa_workgroup_processor_mode 1
		.amdhsa_memory_ordered 1
		.amdhsa_forward_progress 0
		.amdhsa_shared_vgpr_count 0
		.amdhsa_exception_fp_ieee_invalid_op 0
		.amdhsa_exception_fp_denorm_src 0
		.amdhsa_exception_fp_ieee_div_zero 0
		.amdhsa_exception_fp_ieee_overflow 0
		.amdhsa_exception_fp_ieee_underflow 0
		.amdhsa_exception_fp_ieee_inexact 0
		.amdhsa_exception_int_div_zero 0
	.end_amdhsa_kernel
	.section	.text._ZL36rocblas_hemvn_kernel_upper_block_sumILi64EiPK19rocblas_complex_numIdEPKPS1_S1_EviT1_lS7_lT2_lT0_lPT3_i,"axG",@progbits,_ZL36rocblas_hemvn_kernel_upper_block_sumILi64EiPK19rocblas_complex_numIdEPKPS1_S1_EviT1_lS7_lT2_lT0_lPT3_i,comdat
.Lfunc_end51:
	.size	_ZL36rocblas_hemvn_kernel_upper_block_sumILi64EiPK19rocblas_complex_numIdEPKPS1_S1_EviT1_lS7_lT2_lT0_lPT3_i, .Lfunc_end51-_ZL36rocblas_hemvn_kernel_upper_block_sumILi64EiPK19rocblas_complex_numIdEPKPS1_S1_EviT1_lS7_lT2_lT0_lPT3_i
                                        ; -- End function
	.section	.AMDGPU.csdata,"",@progbits
; Kernel info:
; codeLenInByte = 968
; NumSgprs: 28
; NumVgprs: 13
; ScratchSize: 0
; MemoryBound: 0
; FloatMode: 240
; IeeeMode: 1
; LDSByteSize: 0 bytes/workgroup (compile time only)
; SGPRBlocks: 3
; VGPRBlocks: 1
; NumSGPRsForWavesPerEU: 28
; NumVGPRsForWavesPerEU: 13
; Occupancy: 16
; WaveLimiterHint : 1
; COMPUTE_PGM_RSRC2:SCRATCH_EN: 0
; COMPUTE_PGM_RSRC2:USER_SGPR: 14
; COMPUTE_PGM_RSRC2:TRAP_HANDLER: 0
; COMPUTE_PGM_RSRC2:TGID_X_EN: 1
; COMPUTE_PGM_RSRC2:TGID_Y_EN: 0
; COMPUTE_PGM_RSRC2:TGID_Z_EN: 1
; COMPUTE_PGM_RSRC2:TIDIG_COMP_CNT: 0
	.section	.text._ZL26rocblas_hemvn_kernel_upperILb1ELi64ELi4ELi33ELi32ELi16El19rocblas_complex_numIdEPKPKS1_PS1_EviT6_lT7_lT5_lS8_lS9_lS7_lT8_i,"axG",@progbits,_ZL26rocblas_hemvn_kernel_upperILb1ELi64ELi4ELi33ELi32ELi16El19rocblas_complex_numIdEPKPKS1_PS1_EviT6_lT7_lT5_lS8_lS9_lS7_lT8_i,comdat
	.globl	_ZL26rocblas_hemvn_kernel_upperILb1ELi64ELi4ELi33ELi32ELi16El19rocblas_complex_numIdEPKPKS1_PS1_EviT6_lT7_lT5_lS8_lS9_lS7_lT8_i ; -- Begin function _ZL26rocblas_hemvn_kernel_upperILb1ELi64ELi4ELi33ELi32ELi16El19rocblas_complex_numIdEPKPKS1_PS1_EviT6_lT7_lT5_lS8_lS9_lS7_lT8_i
	.p2align	8
	.type	_ZL26rocblas_hemvn_kernel_upperILb1ELi64ELi4ELi33ELi32ELi16El19rocblas_complex_numIdEPKPKS1_PS1_EviT6_lT7_lT5_lS8_lS9_lS7_lT8_i,@function
_ZL26rocblas_hemvn_kernel_upperILb1ELi64ELi4ELi33ELi32ELi16El19rocblas_complex_numIdEPKPKS1_PS1_EviT6_lT7_lT5_lS8_lS9_lS7_lT8_i: ; @_ZL26rocblas_hemvn_kernel_upperILb1ELi64ELi4ELi33ELi32ELi16El19rocblas_complex_numIdEPKPKS1_PS1_EviT6_lT7_lT5_lS8_lS9_lS7_lT8_i
; %bb.0:
	s_load_b64 s[4:5], s[0:1], 0x94
	s_add_u32 s2, s0, 0x88
	s_addc_u32 s3, s1, 0
	s_waitcnt lgkmcnt(0)
	s_lshr_b32 s6, s4, 16
	s_and_b32 s4, s4, 0xffff
	s_and_b32 s5, s5, 0xffff
	s_mul_i32 s4, s6, s4
	s_delay_alu instid0(SALU_CYCLE_1) | instskip(NEXT) | instid1(SALU_CYCLE_1)
	s_mul_i32 s4, s4, s5
	s_cmpk_lg_i32 s4, 0x100
	s_cbranch_scc1 .LBB52_190
; %bb.1:
	s_clause 0x2
	s_load_b128 s[8:11], s[0:1], 0x8
	s_load_b128 s[4:7], s[0:1], 0x20
	s_load_b64 s[16:17], s[0:1], 0x30
	s_mov_b32 s20, s15
	s_waitcnt lgkmcnt(0)
	v_cmp_neq_f64_e64 s8, s[8:9], 0
	v_cmp_neq_f64_e64 s9, s[10:11], 0
	s_delay_alu instid0(VALU_DEP_1)
	s_or_b32 s12, s8, s9
	s_mov_b64 s[8:9], 0
	s_and_b32 vcc_lo, exec_lo, s12
	s_cbranch_vccnz .LBB52_3
; %bb.2:
	s_load_b128 s[24:27], s[0:1], 0x60
	s_waitcnt lgkmcnt(0)
	v_cmp_neq_f64_e64 s10, s[24:25], 1.0
	v_cmp_neq_f64_e64 s11, s[26:27], 0
	s_delay_alu instid0(VALU_DEP_1)
	s_or_b32 s10, s10, s11
	s_cbranch_execz .LBB52_4
	s_branch .LBB52_5
.LBB52_3:
	s_mov_b32 s10, 0
                                        ; implicit-def: $sgpr8_sgpr9
.LBB52_4:
	s_mov_b32 s21, 0
	s_mov_b32 s10, -1
	s_lshl_b64 s[8:9], s[20:21], 3
	s_delay_alu instid0(SALU_CYCLE_1)
	s_add_u32 s4, s4, s8
	s_addc_u32 s5, s5, s9
	s_lshl_b64 s[6:7], s[6:7], 4
	s_load_b64 s[4:5], s[4:5], 0x0
	s_waitcnt lgkmcnt(0)
	s_add_u32 s8, s4, s6
	s_addc_u32 s9, s5, s7
.LBB52_5:
	s_and_not1_b32 vcc_lo, exec_lo, s10
	s_cbranch_vccnz .LBB52_190
; %bb.6:
	s_clause 0x1
	s_load_b128 s[4:7], s[0:1], 0x40
	s_load_b64 s[10:11], s[0:1], 0x50
	v_cndmask_b32_e64 v1, 0, 1, s12
	s_and_not1_b32 vcc_lo, exec_lo, s12
	s_mov_b64 s[12:13], 0
	s_cbranch_vccnz .LBB52_8
; %bb.7:
	s_mov_b32 s21, 0
	s_delay_alu instid0(SALU_CYCLE_1)
	s_lshl_b64 s[12:13], s[20:21], 3
	s_waitcnt lgkmcnt(0)
	s_add_u32 s4, s4, s12
	s_addc_u32 s5, s5, s13
	s_lshl_b64 s[6:7], s[6:7], 4
	s_load_b64 s[4:5], s[4:5], 0x0
	s_waitcnt lgkmcnt(0)
	s_add_u32 s12, s4, s6
	s_addc_u32 s13, s5, s7
.LBB52_8:
	s_delay_alu instid0(VALU_DEP_1)
	v_cmp_ne_u32_e32 vcc_lo, 1, v1
	s_cbranch_vccnz .LBB52_190
; %bb.9:
	v_and_b32_e32 v183, 0x3ff, v0
	s_lshl_b32 s18, s14, 6
	s_load_b32 s24, s[0:1], 0x0
	s_load_b32 s15, s[2:3], 0x0
	v_bfe_u32 v0, v0, 10, 10
	v_add_nc_u32_e32 v4, s18, v183
	s_waitcnt lgkmcnt(0)
	s_mov_b32 s5, -1
	scratch_store_b32 off, v0, off offset:4 ; 4-byte Folded Spill
	v_ashrrev_i32_e32 v5, 31, v4
	v_mul_lo_u32 v3, v4, s11
	v_mad_u64_u32 v[1:2], null, v4, s10, 0
	scratch_store_b64 off, v[4:5], off offset:8 ; 8-byte Folded Spill
	v_mul_lo_u32 v4, v5, s10
	s_ashr_i32 s25, s24, 31
	s_add_i32 s3, s15, -1
	s_delay_alu instid0(VALU_DEP_1) | instskip(SKIP_1) | instid1(SALU_CYCLE_1)
	v_add3_u32 v2, v2, v3, v4
	s_lshr_b32 s2, s25, 26
	s_add_i32 s2, s24, s2
	s_delay_alu instid0(VALU_DEP_1) | instskip(SKIP_1) | instid1(SALU_CYCLE_1)
	v_lshlrev_b64 v[1:2], 4, v[1:2]
	s_and_not1_b32 s2, s2, 63
	s_sub_i32 s21, s24, s2
	v_cmp_eq_u32_e64 s2, 0, v0
	s_cmp_eq_u32 s14, s3
	s_delay_alu instid0(VALU_DEP_2)
	v_add_co_u32 v38, vcc_lo, s12, v1
	v_add_co_ci_u32_e32 v39, vcc_lo, s13, v2, vcc_lo
	s_cselect_b32 s12, s21, 0
	s_and_saveexec_b32 s3, s2
	s_cbranch_execz .LBB52_14
; %bb.10:
	v_cmp_le_i32_e32 vcc_lo, s12, v183
	s_cmp_lg_u32 s12, 0
	v_lshl_add_u32 v0, v183, 4, 0x4700
	s_cselect_b32 s4, -1, 0
	s_delay_alu instid0(SALU_CYCLE_1) | instskip(NEXT) | instid1(SALU_CYCLE_1)
	s_and_b32 s4, s4, vcc_lo
	s_and_saveexec_b32 s6, s4
	s_delay_alu instid0(SALU_CYCLE_1)
	s_xor_b32 s4, exec_lo, s6
	s_cbranch_execz .LBB52_12
; %bb.11:
	v_mov_b32_e32 v1, 0
	s_delay_alu instid0(VALU_DEP_1)
	v_mov_b32_e32 v2, v1
	v_mov_b32_e32 v3, v1
	;; [unrolled: 1-line block ×3, first 2 shown]
	ds_store_b128 v0, v[1:4]
                                        ; implicit-def: $vgpr0
.LBB52_12:
	s_and_not1_saveexec_b32 s4, s4
	s_cbranch_execz .LBB52_14
; %bb.13:
	flat_load_b128 v[1:4], v[38:39]
	s_waitcnt vmcnt(0) lgkmcnt(0)
	ds_store_2addr_b64 v0, v[1:2], v[3:4] offset1:1
.LBB52_14:
	s_or_b32 exec_lo, exec_lo, s3
	scratch_load_b32 v0, off, off offset:4  ; 4-byte Folded Reload
	v_dual_mov_b32 v5, 0 :: v_dual_and_b32 v4, 31, v183
	s_ashr_i32 s19, s18, 31
	s_mul_i32 s3, s18, s17
	s_lshl_b64 s[6:7], s[18:19], 4
	s_mul_hi_u32 s4, s18, s16
	s_add_u32 s8, s8, s6
	s_mul_i32 s13, s19, s16
	s_addc_u32 s9, s9, s7
	s_add_i32 s3, s4, s3
	s_mul_i32 s6, s18, s16
	s_add_i32 s7, s3, s13
	v_cmp_gt_i32_e64 s3, s12, v4
	s_lshl_b64 s[6:7], s[6:7], 4
	v_lshlrev_b32_e32 v13, 4, v4
	s_add_u32 s4, s6, s8
	s_addc_u32 s6, s7, s9
	s_cmp_eq_u32 s12, 0
	s_cselect_b32 s9, -1, 0
	s_cmp_lg_u32 s12, 0
	s_cselect_b32 s26, -1, 0
	s_delay_alu instid0(SALU_CYCLE_1) | instskip(SKIP_2) | instid1(VALU_DEP_1)
	s_and_b32 vcc_lo, exec_lo, s26
	s_waitcnt vmcnt(0)
	v_lshl_add_u32 v42, v0, 6, v183
	v_lshrrev_b32_e32 v11, 5, v42
	s_delay_alu instid0(VALU_DEP_1) | instskip(SKIP_1) | instid1(VALU_DEP_2)
	v_mad_u64_u32 v[0:1], null, v11, s16, v[4:5]
	v_mul_u32_u24_e32 v12, 33, v11
	v_mad_u64_u32 v[2:3], null, v11, s17, v[1:2]
	s_delay_alu instid0(VALU_DEP_1) | instskip(NEXT) | instid1(VALU_DEP_1)
	v_mov_b32_e32 v1, v2
	v_lshlrev_b64 v[36:37], 4, v[0:1]
	s_delay_alu instid0(VALU_DEP_1) | instskip(NEXT) | instid1(VALU_DEP_1)
	v_add_co_u32 v0, s4, s4, v36
	v_add_co_ci_u32_e64 v1, s4, s6, v37, s4
	s_cbranch_vccz .LBB52_32
; %bb.15:
	s_delay_alu instid0(VALU_DEP_2) | instskip(SKIP_1) | instid1(VALU_DEP_2)
	v_sub_co_u32 v2, vcc_lo, v0, v13
	s_ashr_i32 s13, s12, 31
	v_subrev_co_ci_u32_e32 v3, vcc_lo, 0, v1, vcc_lo
	s_lshl_b64 s[4:5], s[12:13], 4
	v_add_lshl_u32 v5, v12, v4, 4
	v_add_co_u32 v2, vcc_lo, v2, s4
	s_delay_alu instid0(VALU_DEP_3) | instskip(SKIP_1) | instid1(VALU_DEP_2)
	v_add_co_ci_u32_e32 v3, vcc_lo, s5, v3, vcc_lo
	s_mov_b32 s6, exec_lo
	v_add_co_u32 v2, vcc_lo, v2, -16
	s_delay_alu instid0(VALU_DEP_2) | instskip(NEXT) | instid1(VALU_DEP_2)
	v_add_co_ci_u32_e32 v3, vcc_lo, -1, v3, vcc_lo
	v_cndmask_b32_e64 v2, v2, v0, s3
	s_delay_alu instid0(VALU_DEP_2)
	v_cndmask_b32_e64 v3, v3, v1, s3
	v_cmpx_le_i32_e64 s12, v11
	s_xor_b32 s6, exec_lo, s6
	s_cbranch_execz .LBB52_17
; %bb.16:
	v_mov_b32_e32 v6, 0
	s_delay_alu instid0(VALU_DEP_1)
	v_mov_b32_e32 v7, v6
	v_mov_b32_e32 v8, v6
	;; [unrolled: 1-line block ×3, first 2 shown]
	ds_store_b128 v5, v[6:9]
.LBB52_17:
	s_and_not1_saveexec_b32 s6, s6
	s_cbranch_execz .LBB52_19
; %bb.18:
	flat_load_b128 v[6:9], v[2:3]
	s_waitcnt vmcnt(0) lgkmcnt(0)
	ds_store_2addr_b64 v5, v[6:7], v[8:9] offset1:1
.LBB52_19:
	s_or_b32 exec_lo, exec_lo, s6
	v_add_nc_u32_e32 v6, 8, v11
	s_mov_b32 s6, exec_lo
	s_delay_alu instid0(VALU_DEP_1)
	v_cmpx_le_i32_e64 s12, v6
	s_xor_b32 s6, exec_lo, s6
	s_cbranch_execz .LBB52_21
; %bb.20:
	v_mul_u32_u24_e32 v7, 33, v6
	v_mov_b32_e32 v6, 0
	s_delay_alu instid0(VALU_DEP_2) | instskip(NEXT) | instid1(VALU_DEP_2)
	v_add_lshl_u32 v10, v7, v4, 4
	v_mov_b32_e32 v7, v6
	v_mov_b32_e32 v8, v6
	;; [unrolled: 1-line block ×3, first 2 shown]
	ds_store_b128 v10, v[6:9]
.LBB52_21:
	s_and_not1_saveexec_b32 s6, s6
	s_cbranch_execz .LBB52_23
; %bb.22:
	s_lshl_b64 s[22:23], s[16:17], 7
	v_add_nc_u32_e32 v10, 0x1080, v5
	v_add_co_u32 v6, vcc_lo, v2, s22
	v_add_co_ci_u32_e32 v7, vcc_lo, s23, v3, vcc_lo
	flat_load_b128 v[6:9], v[6:7]
	s_waitcnt vmcnt(0) lgkmcnt(0)
	ds_store_2addr_b64 v10, v[6:7], v[8:9] offset1:1
.LBB52_23:
	s_or_b32 exec_lo, exec_lo, s6
	v_add_nc_u32_e32 v6, 16, v11
	s_mov_b32 s6, exec_lo
	s_delay_alu instid0(VALU_DEP_1)
	v_cmpx_le_i32_e64 s12, v6
	s_xor_b32 s6, exec_lo, s6
	s_cbranch_execz .LBB52_25
; %bb.24:
	v_mov_b32_e32 v6, 0
	s_delay_alu instid0(VALU_DEP_1)
	v_mov_b32_e32 v7, v6
	v_mov_b32_e32 v8, v6
	v_mov_b32_e32 v9, v6
	ds_store_b128 v5, v[6:9] offset:8448
.LBB52_25:
	s_and_not1_saveexec_b32 s6, s6
	s_cbranch_execz .LBB52_27
; %bb.26:
	s_lshl_b64 s[22:23], s[16:17], 8
	v_add_nc_u32_e32 v10, 0x2100, v5
	v_add_co_u32 v6, vcc_lo, v2, s22
	v_add_co_ci_u32_e32 v7, vcc_lo, s23, v3, vcc_lo
	flat_load_b128 v[6:9], v[6:7]
	s_waitcnt vmcnt(0) lgkmcnt(0)
	ds_store_2addr_b64 v10, v[6:7], v[8:9] offset1:1
.LBB52_27:
	s_or_b32 exec_lo, exec_lo, s6
	v_add_nc_u32_e32 v6, 24, v11
	s_mov_b32 s6, exec_lo
	s_delay_alu instid0(VALU_DEP_1)
	v_cmpx_le_i32_e64 s12, v6
	s_xor_b32 s6, exec_lo, s6
	s_cbranch_execz .LBB52_29
; %bb.28:
	v_mov_b32_e32 v6, 0
	s_delay_alu instid0(VALU_DEP_1)
	v_mov_b32_e32 v7, v6
	v_mov_b32_e32 v8, v6
	v_mov_b32_e32 v9, v6
	ds_store_b128 v5, v[6:9] offset:12672
                                        ; implicit-def: $vgpr5
.LBB52_29:
	s_and_not1_saveexec_b32 s6, s6
	s_cbranch_execz .LBB52_31
; %bb.30:
	v_mad_u64_u32 v[6:7], null, 0x180, s16, v[2:3]
	v_add_nc_u32_e32 v5, 0x3180, v5
	s_delay_alu instid0(VALU_DEP_2) | instskip(NEXT) | instid1(VALU_DEP_1)
	v_mad_u64_u32 v[8:9], null, 0x180, s17, v[7:8]
	v_mov_b32_e32 v7, v8
	flat_load_b128 v[6:9], v[6:7]
	s_waitcnt vmcnt(0) lgkmcnt(0)
	ds_store_2addr_b64 v5, v[6:7], v[8:9] offset1:1
.LBB52_31:
	s_or_b32 exec_lo, exec_lo, s6
	v_add_co_u32 v2, vcc_lo, v2, v13
	v_add_co_ci_u32_e32 v3, vcc_lo, 0, v3, vcc_lo
	s_delay_alu instid0(VALU_DEP_2) | instskip(NEXT) | instid1(VALU_DEP_2)
	v_sub_co_u32 v2, vcc_lo, v2, s4
	v_subrev_co_ci_u32_e32 v3, vcc_lo, s5, v3, vcc_lo
	s_delay_alu instid0(VALU_DEP_2) | instskip(NEXT) | instid1(VALU_DEP_2)
	v_add_co_u32 v2, vcc_lo, v2, 16
	v_add_co_ci_u32_e32 v3, vcc_lo, 0, v3, vcc_lo
	s_delay_alu instid0(VALU_DEP_2) | instskip(NEXT) | instid1(VALU_DEP_2)
	v_cndmask_b32_e64 v5, v2, v0, s3
	v_cndmask_b32_e64 v6, v3, v1, s3
	s_branch .LBB52_34
.LBB52_32:
                                        ; implicit-def: $vgpr5_vgpr6
	s_and_b32 vcc_lo, exec_lo, s5
	s_cbranch_vccz .LBB52_34
; %bb.33:
	flat_load_b128 v[5:8], v[0:1]
	s_lshl_b64 s[4:5], s[16:17], 7
	v_add_lshl_u32 v14, v12, v4, 4
	v_add_co_u32 v2, vcc_lo, v0, s4
	v_add_co_ci_u32_e32 v3, vcc_lo, s5, v1, vcc_lo
	s_delay_alu instid0(VALU_DEP_3)
	v_add_nc_u32_e32 v9, 0x1080, v14
	s_waitcnt vmcnt(0) lgkmcnt(0)
	ds_store_2addr_b64 v14, v[5:6], v[7:8] offset1:1
	flat_load_b128 v[5:8], v[2:3]
	v_add_co_u32 v2, vcc_lo, v2, s4
	v_add_co_ci_u32_e32 v3, vcc_lo, s5, v3, vcc_lo
	s_waitcnt vmcnt(0) lgkmcnt(0)
	ds_store_2addr_b64 v9, v[5:6], v[7:8] offset1:1
	flat_load_b128 v[5:8], v[2:3]
	v_mad_u64_u32 v[2:3], null, 0x180, s16, v[0:1]
	s_delay_alu instid0(VALU_DEP_1) | instskip(NEXT) | instid1(VALU_DEP_1)
	v_mad_u64_u32 v[9:10], null, 0x180, s17, v[3:4]
	v_dual_mov_b32 v3, v9 :: v_dual_add_nc_u32 v10, 0x2100, v14
	s_waitcnt vmcnt(0) lgkmcnt(0)
	ds_store_2addr_b64 v10, v[5:6], v[7:8] offset1:1
	flat_load_b128 v[7:10], v[2:3]
	v_mov_b32_e32 v6, v1
	v_dual_mov_b32 v5, v0 :: v_dual_add_nc_u32 v2, 0x3180, v14
	s_waitcnt vmcnt(0) lgkmcnt(0)
	ds_store_2addr_b64 v2, v[7:8], v[9:10] offset1:1
.LBB52_34:
	v_lshlrev_b32_e32 v18, 2, v11
	s_waitcnt lgkmcnt(0)
	s_waitcnt_vscnt null, 0x0
	s_barrier
	buffer_gl0_inv
	v_cmp_le_u32_e64 s4, v18, v4
	s_delay_alu instid0(VALU_DEP_1) | instskip(NEXT) | instid1(SALU_CYCLE_1)
	s_and_saveexec_b32 s3, s4
	s_xor_b32 s3, exec_lo, s3
	s_cbranch_execz .LBB52_38
; %bb.35:
	s_mov_b32 s5, exec_lo
	v_cmpx_eq_u32_e64 v18, v4
	s_cbranch_execz .LBB52_37
; %bb.36:
	v_mul_u32_u24_e32 v1, 34, v4
	v_mov_b32_e32 v0, 0
	s_delay_alu instid0(VALU_DEP_1)
	v_dual_mov_b32 v1, v0 :: v_dual_lshlrev_b32 v2, 4, v1
	ds_store_b64 v2, v[0:1] offset:8
.LBB52_37:
	s_or_b32 exec_lo, exec_lo, s5
.LBB52_38:
	s_or_saveexec_b32 s3, s3
	v_mul_u32_u24_e32 v14, 33, v4
	v_mul_u32_u24_e32 v1, 0x84, v11
	s_delay_alu instid0(VALU_DEP_2)
	v_add_lshl_u32 v16, v18, v14, 4
	s_xor_b32 exec_lo, exec_lo, s3
	s_cbranch_execz .LBB52_40
; %bb.39:
	s_delay_alu instid0(VALU_DEP_2)
	v_add_lshl_u32 v0, v1, v4, 4
	ds_load_b128 v[7:10], v0
	s_waitcnt lgkmcnt(0)
	v_xor_b32_e32 v10, 0x80000000, v10
	ds_store_b128 v16, v[7:10]
.LBB52_40:
	s_or_b32 exec_lo, exec_lo, s3
	v_or_b32_e32 v17, 1, v18
	v_cmp_ge_u32_e64 s5, v18, v4
	s_delay_alu instid0(VALU_DEP_2) | instskip(NEXT) | instid1(VALU_DEP_2)
	v_mul_u32_u24_e32 v0, 33, v17
	s_and_saveexec_b32 s3, s5
	s_delay_alu instid0(SALU_CYCLE_1)
	s_xor_b32 s3, exec_lo, s3
	s_cbranch_execz .LBB52_42
; %bb.41:
	s_delay_alu instid0(VALU_DEP_1)
	v_add_lshl_u32 v2, v0, v4, 4
	ds_load_b128 v[7:10], v2
	s_waitcnt lgkmcnt(0)
	v_xor_b32_e32 v10, 0x80000000, v10
	ds_store_b128 v16, v[7:10] offset:16
.LBB52_42:
	s_and_not1_saveexec_b32 s3, s3
	s_cbranch_execz .LBB52_46
; %bb.43:
	s_mov_b32 s6, exec_lo
	v_cmpx_eq_u32_e64 v17, v4
	s_cbranch_execz .LBB52_45
; %bb.44:
	v_mul_u32_u24_e32 v3, 34, v4
	s_delay_alu instid0(VALU_DEP_1) | instskip(NEXT) | instid1(VALU_DEP_1)
	v_dual_mov_b32 v2, 0 :: v_dual_lshlrev_b32 v7, 4, v3
	v_mov_b32_e32 v3, v2
	ds_store_b64 v7, v[2:3] offset:8
.LBB52_45:
	s_or_b32 exec_lo, exec_lo, s6
.LBB52_46:
	s_delay_alu instid0(SALU_CYCLE_1) | instskip(SKIP_1) | instid1(VALU_DEP_1)
	s_or_b32 exec_lo, exec_lo, s3
	v_or_b32_e32 v19, 2, v18
	v_cmp_le_u32_e64 s6, v19, v4
	s_delay_alu instid0(VALU_DEP_1) | instskip(NEXT) | instid1(SALU_CYCLE_1)
	s_and_saveexec_b32 s3, s6
	s_xor_b32 s3, exec_lo, s3
	s_cbranch_execz .LBB52_50
; %bb.47:
	s_mov_b32 s7, exec_lo
	v_cmpx_eq_u32_e64 v19, v4
	s_cbranch_execz .LBB52_49
; %bb.48:
	v_mul_u32_u24_e32 v3, 34, v4
	s_delay_alu instid0(VALU_DEP_1) | instskip(NEXT) | instid1(VALU_DEP_1)
	v_dual_mov_b32 v2, 0 :: v_dual_lshlrev_b32 v7, 4, v3
	v_mov_b32_e32 v3, v2
	ds_store_b64 v7, v[2:3] offset:8
.LBB52_49:
	s_or_b32 exec_lo, exec_lo, s7
.LBB52_50:
	s_and_not1_saveexec_b32 s3, s3
	s_cbranch_execz .LBB52_52
; %bb.51:
	v_mul_u32_u24_e32 v2, 33, v19
	s_delay_alu instid0(VALU_DEP_1)
	v_add_lshl_u32 v2, v2, v4, 4
	ds_load_b128 v[7:10], v2
	s_waitcnt lgkmcnt(0)
	v_xor_b32_e32 v10, 0x80000000, v10
	ds_store_b128 v16, v[7:10] offset:32
.LBB52_52:
	s_or_b32 exec_lo, exec_lo, s3
	v_or_b32_e32 v20, 3, v18
	s_delay_alu instid0(VALU_DEP_1) | instskip(NEXT) | instid1(VALU_DEP_1)
	v_cmp_le_u32_e64 s7, v20, v4
	s_and_saveexec_b32 s3, s7
	s_delay_alu instid0(SALU_CYCLE_1)
	s_xor_b32 s3, exec_lo, s3
	s_cbranch_execz .LBB52_56
; %bb.53:
	s_mov_b32 s8, exec_lo
	v_cmpx_eq_u32_e64 v20, v4
	s_cbranch_execz .LBB52_55
; %bb.54:
	v_mul_u32_u24_e32 v3, 34, v4
	s_delay_alu instid0(VALU_DEP_1) | instskip(NEXT) | instid1(VALU_DEP_1)
	v_dual_mov_b32 v2, 0 :: v_dual_lshlrev_b32 v7, 4, v3
	v_mov_b32_e32 v3, v2
	ds_store_b64 v7, v[2:3] offset:8
.LBB52_55:
	s_or_b32 exec_lo, exec_lo, s8
.LBB52_56:
	s_and_not1_saveexec_b32 s3, s3
	s_cbranch_execz .LBB52_58
; %bb.57:
	v_mul_u32_u24_e32 v2, 33, v20
	s_delay_alu instid0(VALU_DEP_1)
	v_add_lshl_u32 v2, v2, v4, 4
	ds_load_b128 v[7:10], v2
	s_waitcnt lgkmcnt(0)
	v_xor_b32_e32 v10, 0x80000000, v10
	ds_store_b128 v16, v[7:10] offset:48
.LBB52_58:
	s_or_b32 exec_lo, exec_lo, s3
	v_add_lshl_u32 v15, v1, v4, 4
	v_lshlrev_b32_e32 v21, 4, v18
	s_waitcnt lgkmcnt(0)
	s_barrier
	buffer_gl0_inv
	ds_load_b128 v[7:10], v15
	ds_load_b128 v[22:25], v21 offset:18176
	v_add_lshl_u32 v45, v0, v4, 4
	ds_load_b128 v[0:3], v21 offset:18192
	ds_load_b128 v[26:29], v45
	v_cmp_gt_u32_e64 s3, 32, v42
	s_waitcnt lgkmcnt(2)
	v_mul_f64 v[30:31], v[24:25], v[9:10]
	v_mul_f64 v[9:10], v[22:23], v[9:10]
	s_waitcnt lgkmcnt(0)
	v_mul_f64 v[40:41], v[2:3], v[28:29]
	v_mul_f64 v[43:44], v[0:1], v[28:29]
	s_delay_alu instid0(VALU_DEP_4) | instskip(NEXT) | instid1(VALU_DEP_4)
	v_fma_f64 v[46:47], v[22:23], v[7:8], -v[30:31]
	v_fma_f64 v[48:49], v[24:25], v[7:8], v[9:10]
	ds_load_b128 v[7:10], v45 offset:528
	ds_load_b128 v[22:25], v21 offset:18208
	ds_load_b128 v[28:31], v21 offset:18224
	ds_load_b128 v[32:35], v45 offset:1056
	s_waitcnt lgkmcnt(0)
	s_barrier
	v_fma_f64 v[0:1], v[0:1], v[26:27], -v[40:41]
	v_fma_f64 v[2:3], v[2:3], v[26:27], v[43:44]
	buffer_gl0_inv
	v_mul_f64 v[50:51], v[24:25], v[9:10]
	v_mul_f64 v[9:10], v[22:23], v[9:10]
	;; [unrolled: 1-line block ×4, first 2 shown]
	v_add_f64 v[26:27], v[46:47], 0
	v_add_f64 v[40:41], v[48:49], 0
	v_fma_f64 v[22:23], v[22:23], v[7:8], -v[50:51]
	v_fma_f64 v[7:8], v[24:25], v[7:8], v[9:10]
	v_fma_f64 v[9:10], v[28:29], v[32:33], -v[43:44]
	v_fma_f64 v[24:25], v[30:31], v[32:33], v[34:35]
	v_add_lshl_u32 v44, v11, v14, 4
	v_add_f64 v[0:1], v[26:27], v[0:1]
	v_add_f64 v[2:3], v[40:41], v[2:3]
	s_delay_alu instid0(VALU_DEP_2) | instskip(NEXT) | instid1(VALU_DEP_2)
	v_add_f64 v[0:1], v[0:1], v[22:23]
	v_add_f64 v[2:3], v[2:3], v[7:8]
	s_delay_alu instid0(VALU_DEP_2) | instskip(SKIP_1) | instid1(VALU_DEP_3)
	v_add_f64 v[7:8], v[0:1], v[9:10]
	v_mov_b32_e32 v0, 0
	v_add_f64 v[9:10], v[2:3], v[24:25]
	v_mov_b32_e32 v1, 0
	v_lshlrev_b32_e32 v43, 4, v14
	s_delay_alu instid0(VALU_DEP_2)
	v_dual_mov_b32 v3, v1 :: v_dual_mov_b32 v2, v0
	ds_store_b128 v44, v[7:10]
	s_waitcnt lgkmcnt(0)
	s_barrier
	buffer_gl0_inv
	s_and_saveexec_b32 s8, s3
	s_cbranch_execz .LBB52_60
; %bb.59:
	ds_load_b128 v[0:3], v43
	ds_load_b128 v[7:10], v43 offset:16
	s_waitcnt lgkmcnt(0)
	v_add_f64 v[22:23], v[7:8], v[0:1]
	v_add_f64 v[24:25], v[9:10], v[2:3]
	ds_load_b128 v[0:3], v43 offset:32
	ds_load_b128 v[7:10], v43 offset:48
	s_waitcnt lgkmcnt(1)
	v_add_f64 v[0:1], v[22:23], v[0:1]
	v_add_f64 v[2:3], v[24:25], v[2:3]
	s_waitcnt lgkmcnt(0)
	s_delay_alu instid0(VALU_DEP_2) | instskip(NEXT) | instid1(VALU_DEP_2)
	v_add_f64 v[22:23], v[0:1], v[7:8]
	v_add_f64 v[24:25], v[2:3], v[9:10]
	ds_load_b128 v[0:3], v43 offset:64
	ds_load_b128 v[7:10], v43 offset:80
	s_waitcnt lgkmcnt(1)
	v_add_f64 v[0:1], v[22:23], v[0:1]
	v_add_f64 v[2:3], v[24:25], v[2:3]
	s_waitcnt lgkmcnt(0)
	s_delay_alu instid0(VALU_DEP_2) | instskip(NEXT) | instid1(VALU_DEP_2)
	;; [unrolled: 9-line block ×3, first 2 shown]
	v_add_f64 v[0:1], v[0:1], v[7:8]
	v_add_f64 v[2:3], v[2:3], v[9:10]
.LBB52_60:
	s_or_b32 exec_lo, exec_lo, s8
	s_lshl_b64 s[22:23], s[16:17], 9
	s_delay_alu instid0(SALU_CYCLE_1) | instskip(SKIP_2) | instid1(VALU_DEP_2)
	v_add_co_u32 v9, vcc_lo, v5, s22
	v_add_co_ci_u32_e32 v10, vcc_lo, s23, v6, vcc_lo
	s_barrier
	v_add_co_u32 v7, vcc_lo, 0x200, v9
	s_delay_alu instid0(VALU_DEP_2)
	v_add_co_ci_u32_e32 v8, vcc_lo, 0, v10, vcc_lo
	s_and_b32 vcc_lo, exec_lo, s26
	buffer_gl0_inv
	s_cbranch_vccz .LBB52_78
; %bb.61:
	v_or_b32_e32 v5, 32, v4
	s_ashr_i32 s13, s12, 31
	s_delay_alu instid0(SALU_CYCLE_1) | instskip(SKIP_1) | instid1(VALU_DEP_1)
	s_lshl_b64 s[22:23], s[12:13], 4
	s_sub_i32 s13, s12, 32
	v_lshlrev_b32_e32 v6, 4, v5
	v_cmp_le_i32_e64 s8, s13, v11
	s_delay_alu instid0(VALU_DEP_2) | instskip(SKIP_1) | instid1(VALU_DEP_2)
	v_sub_co_u32 v6, vcc_lo, v7, v6
	v_subrev_co_ci_u32_e32 v22, vcc_lo, 0, v8, vcc_lo
	v_add_co_u32 v6, vcc_lo, v6, s22
	s_delay_alu instid0(VALU_DEP_2) | instskip(NEXT) | instid1(VALU_DEP_2)
	v_add_co_ci_u32_e32 v22, vcc_lo, s23, v22, vcc_lo
	v_add_co_u32 v23, vcc_lo, v6, -16
	s_delay_alu instid0(VALU_DEP_2) | instskip(SKIP_2) | instid1(VALU_DEP_3)
	v_add_co_ci_u32_e32 v6, vcc_lo, -1, v22, vcc_lo
	v_cmp_gt_i32_e32 vcc_lo, s12, v5
	v_add_lshl_u32 v22, v12, v4, 4
	v_dual_cndmask_b32 v5, v23, v7 :: v_dual_cndmask_b32 v6, v6, v8
	s_and_saveexec_b32 s27, s8
	s_delay_alu instid0(SALU_CYCLE_1)
	s_xor_b32 s8, exec_lo, s27
	s_cbranch_execz .LBB52_63
; %bb.62:
	v_mov_b32_e32 v23, 0
	s_delay_alu instid0(VALU_DEP_1)
	v_mov_b32_e32 v24, v23
	v_mov_b32_e32 v25, v23
	;; [unrolled: 1-line block ×3, first 2 shown]
	ds_store_b128 v22, v[23:26]
.LBB52_63:
	s_and_not1_saveexec_b32 s8, s8
	s_cbranch_execz .LBB52_65
; %bb.64:
	flat_load_b128 v[23:26], v[5:6]
	s_waitcnt vmcnt(0) lgkmcnt(0)
	ds_store_2addr_b64 v22, v[23:24], v[25:26] offset1:1
.LBB52_65:
	s_or_b32 exec_lo, exec_lo, s8
	v_add_nc_u32_e32 v23, 8, v11
	s_delay_alu instid0(VALU_DEP_1) | instskip(NEXT) | instid1(VALU_DEP_1)
	v_cmp_le_i32_e64 s8, s13, v23
	s_and_saveexec_b32 s27, s8
	s_delay_alu instid0(SALU_CYCLE_1)
	s_xor_b32 s8, exec_lo, s27
	s_cbranch_execz .LBB52_67
; %bb.66:
	v_mul_u32_u24_e32 v24, 33, v23
	v_mov_b32_e32 v23, 0
	s_delay_alu instid0(VALU_DEP_2) | instskip(NEXT) | instid1(VALU_DEP_2)
	v_add_lshl_u32 v27, v24, v4, 4
	v_mov_b32_e32 v24, v23
	v_mov_b32_e32 v25, v23
	;; [unrolled: 1-line block ×3, first 2 shown]
	ds_store_b128 v27, v[23:26]
.LBB52_67:
	s_and_not1_saveexec_b32 s27, s8
	s_cbranch_execz .LBB52_69
; %bb.68:
	s_lshl_b64 s[28:29], s[16:17], 7
	v_add_nc_u32_e32 v27, 0x1080, v22
	v_add_co_u32 v23, s8, v5, s28
	s_delay_alu instid0(VALU_DEP_1)
	v_add_co_ci_u32_e64 v24, s8, s29, v6, s8
	flat_load_b128 v[23:26], v[23:24]
	s_waitcnt vmcnt(0) lgkmcnt(0)
	ds_store_2addr_b64 v27, v[23:24], v[25:26] offset1:1
.LBB52_69:
	s_or_b32 exec_lo, exec_lo, s27
	v_add_nc_u32_e32 v23, 16, v11
	s_delay_alu instid0(VALU_DEP_1) | instskip(NEXT) | instid1(VALU_DEP_1)
	v_cmp_le_i32_e64 s8, s13, v23
	s_and_saveexec_b32 s27, s8
	s_delay_alu instid0(SALU_CYCLE_1)
	s_xor_b32 s8, exec_lo, s27
	s_cbranch_execz .LBB52_71
; %bb.70:
	v_mov_b32_e32 v23, 0
	s_delay_alu instid0(VALU_DEP_1)
	v_mov_b32_e32 v24, v23
	v_mov_b32_e32 v25, v23
	;; [unrolled: 1-line block ×3, first 2 shown]
	ds_store_b128 v22, v[23:26] offset:8448
.LBB52_71:
	s_and_not1_saveexec_b32 s27, s8
	s_cbranch_execz .LBB52_73
; %bb.72:
	s_lshl_b64 s[28:29], s[16:17], 8
	v_add_nc_u32_e32 v27, 0x2100, v22
	v_add_co_u32 v23, s8, v5, s28
	s_delay_alu instid0(VALU_DEP_1)
	v_add_co_ci_u32_e64 v24, s8, s29, v6, s8
	flat_load_b128 v[23:26], v[23:24]
	s_waitcnt vmcnt(0) lgkmcnt(0)
	ds_store_2addr_b64 v27, v[23:24], v[25:26] offset1:1
.LBB52_73:
	s_or_b32 exec_lo, exec_lo, s27
	v_add_nc_u32_e32 v23, 24, v11
	s_delay_alu instid0(VALU_DEP_1) | instskip(NEXT) | instid1(VALU_DEP_1)
	v_cmp_le_i32_e64 s8, s13, v23
	s_and_saveexec_b32 s13, s8
	s_delay_alu instid0(SALU_CYCLE_1)
	s_xor_b32 s8, exec_lo, s13
	s_cbranch_execz .LBB52_75
; %bb.74:
	v_mov_b32_e32 v23, 0
	s_delay_alu instid0(VALU_DEP_1)
	v_mov_b32_e32 v24, v23
	v_mov_b32_e32 v25, v23
	;; [unrolled: 1-line block ×3, first 2 shown]
	ds_store_b128 v22, v[23:26] offset:12672
                                        ; implicit-def: $vgpr22
.LBB52_75:
	s_and_not1_saveexec_b32 s8, s8
	s_cbranch_execz .LBB52_77
; %bb.76:
	v_mad_u64_u32 v[23:24], null, 0x180, s16, v[5:6]
	v_add_nc_u32_e32 v22, 0x3180, v22
	s_delay_alu instid0(VALU_DEP_2) | instskip(NEXT) | instid1(VALU_DEP_1)
	v_mad_u64_u32 v[25:26], null, 0x180, s17, v[24:25]
	v_mov_b32_e32 v24, v25
	flat_load_b128 v[23:26], v[23:24]
	s_waitcnt vmcnt(0) lgkmcnt(0)
	ds_store_2addr_b64 v22, v[23:24], v[25:26] offset1:1
.LBB52_77:
	s_or_b32 exec_lo, exec_lo, s8
	v_add_co_u32 v5, s8, v5, v13
	s_delay_alu instid0(VALU_DEP_1) | instskip(NEXT) | instid1(VALU_DEP_2)
	v_add_co_ci_u32_e64 v6, s8, 0, v6, s8
	v_sub_co_u32 v5, s8, v5, s22
	s_delay_alu instid0(VALU_DEP_1) | instskip(NEXT) | instid1(VALU_DEP_2)
	v_subrev_co_ci_u32_e64 v6, s8, s23, v6, s8
	v_add_co_u32 v5, s8, 0x210, v5
	s_delay_alu instid0(VALU_DEP_1) | instskip(NEXT) | instid1(VALU_DEP_1)
	v_add_co_ci_u32_e64 v6, s8, 0, v6, s8
	v_dual_cndmask_b32 v5, v5, v7 :: v_dual_cndmask_b32 v6, v6, v8
	s_branch .LBB52_80
.LBB52_78:
                                        ; implicit-def: $vgpr5_vgpr6
	s_cbranch_execz .LBB52_80
; %bb.79:
	flat_load_b128 v[22:25], v[7:8]
	s_lshl_b64 s[22:23], s[16:17], 7
	v_add_lshl_u32 v26, v12, v4, 4
	v_add_co_u32 v5, vcc_lo, v9, s22
	v_add_co_ci_u32_e32 v6, vcc_lo, s23, v10, vcc_lo
	s_delay_alu instid0(VALU_DEP_3)
	v_add_nc_u32_e32 v27, 0x1080, v26
	s_waitcnt vmcnt(0) lgkmcnt(0)
	ds_store_2addr_b64 v26, v[22:23], v[24:25] offset1:1
	flat_load_b128 v[22:25], v[5:6] offset:512
	v_add_co_u32 v5, vcc_lo, v5, s22
	v_add_co_ci_u32_e32 v6, vcc_lo, s23, v6, vcc_lo
	s_waitcnt vmcnt(0) lgkmcnt(0)
	ds_store_2addr_b64 v27, v[22:23], v[24:25] offset1:1
	flat_load_b128 v[22:25], v[5:6] offset:512
	v_mad_u64_u32 v[5:6], null, 0x180, s16, v[9:10]
	s_delay_alu instid0(VALU_DEP_1) | instskip(SKIP_1) | instid1(VALU_DEP_2)
	v_mad_u64_u32 v[9:10], null, 0x180, s17, v[6:7]
	v_add_nc_u32_e32 v10, 0x2100, v26
	v_dual_mov_b32 v6, v9 :: v_dual_add_nc_u32 v9, 0x3180, v26
	s_waitcnt vmcnt(0) lgkmcnt(0)
	ds_store_2addr_b64 v10, v[22:23], v[24:25] offset1:1
	flat_load_b128 v[22:25], v[5:6] offset:512
	v_dual_mov_b32 v5, v7 :: v_dual_mov_b32 v6, v8
	s_waitcnt vmcnt(0) lgkmcnt(0)
	ds_store_2addr_b64 v9, v[22:23], v[24:25] offset1:1
.LBB52_80:
	s_waitcnt lgkmcnt(0)
	s_barrier
	buffer_gl0_inv
	s_and_saveexec_b32 s8, s4
	s_delay_alu instid0(SALU_CYCLE_1)
	s_xor_b32 s4, exec_lo, s8
	s_cbranch_execnz .LBB52_109
; %bb.81:
	s_and_not1_saveexec_b32 s4, s4
	s_cbranch_execnz .LBB52_112
.LBB52_82:
	s_or_b32 exec_lo, exec_lo, s4
	s_and_saveexec_b32 s4, s5
	s_delay_alu instid0(SALU_CYCLE_1)
	s_xor_b32 s4, exec_lo, s4
	s_cbranch_execnz .LBB52_113
.LBB52_83:
	s_and_not1_saveexec_b32 s4, s4
	s_cbranch_execnz .LBB52_114
.LBB52_84:
	s_or_b32 exec_lo, exec_lo, s4
	s_and_saveexec_b32 s4, s6
	s_delay_alu instid0(SALU_CYCLE_1)
	s_xor_b32 s4, exec_lo, s4
	s_cbranch_execnz .LBB52_117
.LBB52_85:
	s_and_not1_saveexec_b32 s4, s4
	s_cbranch_execnz .LBB52_120
.LBB52_86:
	s_or_b32 exec_lo, exec_lo, s4
	s_and_saveexec_b32 s4, s7
	s_delay_alu instid0(SALU_CYCLE_1)
	s_xor_b32 s4, exec_lo, s4
	s_cbranch_execnz .LBB52_121
.LBB52_87:
	s_or_saveexec_b32 s4, s4
	v_add_nc_u32_e32 v17, 0x4700, v21
	s_xor_b32 exec_lo, exec_lo, s4
	s_cbranch_execz .LBB52_89
.LBB52_88:
	ds_load_b128 v[7:10], v45 offset:1056
	s_waitcnt lgkmcnt(0)
	v_xor_b32_e32 v10, 0x80000000, v10
	ds_store_b128 v16, v[7:10] offset:48
.LBB52_89:
	s_or_b32 exec_lo, exec_lo, s4
	s_waitcnt lgkmcnt(0)
	s_barrier
	buffer_gl0_inv
	ds_load_b128 v[7:10], v17 offset:512
	ds_load_b128 v[18:21], v15
	v_cmp_eq_u32_e64 s4, 1, v11
	s_waitcnt lgkmcnt(0)
	v_mul_f64 v[32:33], v[9:10], v[20:21]
	v_mul_f64 v[34:35], v[7:8], v[20:21]
	ds_load_b128 v[20:23], v45
	ds_load_b128 v[24:27], v17 offset:528
	ds_load_b128 v[28:31], v17 offset:544
	s_waitcnt lgkmcnt(1)
	v_mul_f64 v[40:41], v[26:27], v[22:23]
	v_mul_f64 v[22:23], v[24:25], v[22:23]
	v_fma_f64 v[46:47], v[7:8], v[18:19], -v[32:33]
	v_fma_f64 v[18:19], v[9:10], v[18:19], v[34:35]
	ds_load_b128 v[7:10], v45 offset:528
	ds_load_b128 v[32:35], v45 offset:1056
	s_waitcnt lgkmcnt(1)
	v_mul_f64 v[48:49], v[30:31], v[9:10]
	v_mul_f64 v[9:10], v[28:29], v[9:10]
	v_fma_f64 v[24:25], v[24:25], v[20:21], -v[40:41]
	v_fma_f64 v[22:23], v[26:27], v[20:21], v[22:23]
	v_add_f64 v[26:27], v[46:47], 0
	v_add_f64 v[40:41], v[18:19], 0
	ds_load_b128 v[18:21], v17 offset:560
	s_waitcnt lgkmcnt(0)
	s_barrier
	buffer_gl0_inv
	v_fma_f64 v[28:29], v[28:29], v[7:8], -v[48:49]
	v_mul_f64 v[46:47], v[20:21], v[34:35]
	v_mul_f64 v[34:35], v[18:19], v[34:35]
	v_fma_f64 v[7:8], v[30:31], v[7:8], v[9:10]
	v_add_f64 v[9:10], v[26:27], v[24:25]
	v_add_f64 v[22:23], v[40:41], v[22:23]
	v_fma_f64 v[18:19], v[18:19], v[32:33], -v[46:47]
	v_fma_f64 v[20:21], v[20:21], v[32:33], v[34:35]
	s_delay_alu instid0(VALU_DEP_4) | instskip(NEXT) | instid1(VALU_DEP_4)
	v_add_f64 v[9:10], v[9:10], v[28:29]
	v_add_f64 v[22:23], v[22:23], v[7:8]
	s_delay_alu instid0(VALU_DEP_2) | instskip(NEXT) | instid1(VALU_DEP_2)
	v_add_f64 v[7:8], v[9:10], v[18:19]
	v_add_f64 v[9:10], v[22:23], v[20:21]
	ds_store_b128 v44, v[7:10]
	s_waitcnt lgkmcnt(0)
	s_barrier
	buffer_gl0_inv
	s_and_saveexec_b32 s5, s4
	s_cbranch_execz .LBB52_91
; %bb.90:
	ds_load_b128 v[0:3], v43
	ds_load_b128 v[7:10], v43 offset:16
	s_waitcnt lgkmcnt(0)
	v_add_f64 v[18:19], v[7:8], v[0:1]
	v_add_f64 v[20:21], v[9:10], v[2:3]
	ds_load_b128 v[0:3], v43 offset:32
	ds_load_b128 v[7:10], v43 offset:48
	s_waitcnt lgkmcnt(1)
	v_add_f64 v[0:1], v[18:19], v[0:1]
	v_add_f64 v[2:3], v[20:21], v[2:3]
	s_waitcnt lgkmcnt(0)
	s_delay_alu instid0(VALU_DEP_2) | instskip(NEXT) | instid1(VALU_DEP_2)
	v_add_f64 v[18:19], v[0:1], v[7:8]
	v_add_f64 v[20:21], v[2:3], v[9:10]
	ds_load_b128 v[0:3], v43 offset:64
	ds_load_b128 v[7:10], v43 offset:80
	s_waitcnt lgkmcnt(1)
	v_add_f64 v[0:1], v[18:19], v[0:1]
	v_add_f64 v[2:3], v[20:21], v[2:3]
	s_waitcnt lgkmcnt(0)
	s_delay_alu instid0(VALU_DEP_2) | instskip(NEXT) | instid1(VALU_DEP_2)
	;; [unrolled: 9-line block ×3, first 2 shown]
	v_add_f64 v[0:1], v[0:1], v[7:8]
	v_add_f64 v[2:3], v[2:3], v[9:10]
.LBB52_91:
	s_or_b32 exec_lo, exec_lo, s5
	v_add_co_u32 v5, vcc_lo, 0xfffffe00, v5
	v_add_co_ci_u32_e32 v6, vcc_lo, -1, v6, vcc_lo
	s_and_b32 vcc_lo, exec_lo, s26
	s_barrier
	buffer_gl0_inv
	s_cbranch_vccz .LBB52_124
; %bb.92:
	v_sub_co_u32 v7, vcc_lo, v5, v13
	s_ashr_i32 s13, s12, 31
	v_subrev_co_ci_u32_e32 v8, vcc_lo, 0, v6, vcc_lo
	s_lshl_b64 s[6:7], s[12:13], 4
	s_sub_i32 s8, s12, 32
	v_add_co_u32 v7, vcc_lo, v7, s6
	s_delay_alu instid0(VALU_DEP_2) | instskip(SKIP_1) | instid1(VALU_DEP_3)
	v_add_co_ci_u32_e32 v8, vcc_lo, s7, v8, vcc_lo
	v_cmp_le_i32_e64 s5, s8, v11
	v_add_co_u32 v7, vcc_lo, v7, -16
	s_delay_alu instid0(VALU_DEP_3) | instskip(SKIP_2) | instid1(VALU_DEP_3)
	v_add_co_ci_u32_e32 v8, vcc_lo, -1, v8, vcc_lo
	v_cmp_gt_i32_e32 vcc_lo, s12, v4
	v_add_lshl_u32 v18, v12, v4, 4
	v_dual_cndmask_b32 v8, v8, v6 :: v_dual_cndmask_b32 v7, v7, v5
	s_and_saveexec_b32 s13, s5
	s_delay_alu instid0(SALU_CYCLE_1)
	s_xor_b32 s5, exec_lo, s13
	s_cbranch_execz .LBB52_94
; %bb.93:
	v_mov_b32_e32 v19, 0
	s_delay_alu instid0(VALU_DEP_1)
	v_mov_b32_e32 v20, v19
	v_mov_b32_e32 v21, v19
	;; [unrolled: 1-line block ×3, first 2 shown]
	ds_store_b128 v18, v[19:22]
.LBB52_94:
	s_and_not1_saveexec_b32 s5, s5
	s_cbranch_execz .LBB52_96
; %bb.95:
	flat_load_b128 v[19:22], v[7:8]
	s_waitcnt vmcnt(0) lgkmcnt(0)
	ds_store_2addr_b64 v18, v[19:20], v[21:22] offset1:1
.LBB52_96:
	s_or_b32 exec_lo, exec_lo, s5
	v_add_nc_u32_e32 v16, 8, v11
	s_delay_alu instid0(VALU_DEP_1) | instskip(NEXT) | instid1(VALU_DEP_1)
	v_cmp_le_i32_e64 s5, s8, v16
	s_and_saveexec_b32 s13, s5
	s_delay_alu instid0(SALU_CYCLE_1)
	s_xor_b32 s5, exec_lo, s13
	s_cbranch_execz .LBB52_98
; %bb.97:
	v_mul_u32_u24_e32 v9, 33, v16
	v_mov_b32_e32 v19, 0
	s_delay_alu instid0(VALU_DEP_2) | instskip(NEXT) | instid1(VALU_DEP_2)
	v_add_lshl_u32 v9, v9, v4, 4
	v_mov_b32_e32 v20, v19
	v_mov_b32_e32 v21, v19
	;; [unrolled: 1-line block ×3, first 2 shown]
	ds_store_b128 v9, v[19:22]
.LBB52_98:
	s_and_not1_saveexec_b32 s13, s5
	s_cbranch_execz .LBB52_100
; %bb.99:
	s_lshl_b64 s[22:23], s[16:17], 7
	s_delay_alu instid0(SALU_CYCLE_1) | instskip(NEXT) | instid1(VALU_DEP_1)
	v_add_co_u32 v9, s5, v7, s22
	v_add_co_ci_u32_e64 v10, s5, s23, v8, s5
	flat_load_b128 v[19:22], v[9:10]
	v_add_nc_u32_e32 v9, 0x1080, v18
	s_waitcnt vmcnt(0) lgkmcnt(0)
	ds_store_2addr_b64 v9, v[19:20], v[21:22] offset1:1
.LBB52_100:
	s_or_b32 exec_lo, exec_lo, s13
	v_add_nc_u32_e32 v9, 16, v11
	s_delay_alu instid0(VALU_DEP_1) | instskip(NEXT) | instid1(VALU_DEP_1)
	v_cmp_le_i32_e64 s5, s8, v9
	s_and_saveexec_b32 s13, s5
	s_delay_alu instid0(SALU_CYCLE_1)
	s_xor_b32 s5, exec_lo, s13
	s_cbranch_execz .LBB52_102
; %bb.101:
	v_mov_b32_e32 v19, 0
	s_delay_alu instid0(VALU_DEP_1)
	v_mov_b32_e32 v20, v19
	v_mov_b32_e32 v21, v19
	;; [unrolled: 1-line block ×3, first 2 shown]
	ds_store_b128 v18, v[19:22] offset:8448
.LBB52_102:
	s_and_not1_saveexec_b32 s13, s5
	s_cbranch_execz .LBB52_104
; %bb.103:
	s_lshl_b64 s[22:23], s[16:17], 8
	v_add_nc_u32_e32 v10, 0x2100, v18
	v_add_co_u32 v19, s5, v7, s22
	s_delay_alu instid0(VALU_DEP_1)
	v_add_co_ci_u32_e64 v20, s5, s23, v8, s5
	flat_load_b128 v[19:22], v[19:20]
	s_waitcnt vmcnt(0) lgkmcnt(0)
	ds_store_2addr_b64 v10, v[19:20], v[21:22] offset1:1
.LBB52_104:
	s_or_b32 exec_lo, exec_lo, s13
	v_add_nc_u32_e32 v10, 24, v11
	s_delay_alu instid0(VALU_DEP_1) | instskip(NEXT) | instid1(VALU_DEP_1)
	v_cmp_le_i32_e64 s5, s8, v10
	s_and_saveexec_b32 s8, s5
	s_delay_alu instid0(SALU_CYCLE_1)
	s_xor_b32 s5, exec_lo, s8
	s_cbranch_execz .LBB52_106
; %bb.105:
	v_mov_b32_e32 v19, 0
	s_delay_alu instid0(VALU_DEP_1)
	v_mov_b32_e32 v20, v19
	v_mov_b32_e32 v21, v19
	;; [unrolled: 1-line block ×3, first 2 shown]
	ds_store_b128 v18, v[19:22] offset:12672
                                        ; implicit-def: $vgpr18
.LBB52_106:
	s_and_not1_saveexec_b32 s5, s5
	s_cbranch_execz .LBB52_108
; %bb.107:
	v_mad_u64_u32 v[19:20], null, 0x180, s16, v[7:8]
	v_add_nc_u32_e32 v18, 0x3180, v18
	s_delay_alu instid0(VALU_DEP_2) | instskip(NEXT) | instid1(VALU_DEP_1)
	v_mad_u64_u32 v[21:22], null, 0x180, s17, v[20:21]
	v_mov_b32_e32 v20, v21
	flat_load_b128 v[19:22], v[19:20]
	s_waitcnt vmcnt(0) lgkmcnt(0)
	ds_store_2addr_b64 v18, v[19:20], v[21:22] offset1:1
.LBB52_108:
	s_or_b32 exec_lo, exec_lo, s5
	v_add_co_u32 v7, s5, v7, v13
	s_delay_alu instid0(VALU_DEP_1) | instskip(NEXT) | instid1(VALU_DEP_2)
	v_add_co_ci_u32_e64 v8, s5, 0, v8, s5
	v_sub_co_u32 v7, s5, v7, s6
	s_delay_alu instid0(VALU_DEP_1) | instskip(NEXT) | instid1(VALU_DEP_2)
	v_subrev_co_ci_u32_e64 v8, s5, s7, v8, s5
	v_add_co_u32 v7, s5, v7, 16
	s_delay_alu instid0(VALU_DEP_1) | instskip(NEXT) | instid1(VALU_DEP_1)
	v_add_co_ci_u32_e64 v8, s5, 0, v8, s5
	v_dual_cndmask_b32 v40, v7, v5 :: v_dual_cndmask_b32 v41, v8, v6
	s_branch .LBB52_126
.LBB52_109:
	s_mov_b32 s8, exec_lo
	v_cmpx_eq_u32_e64 v18, v4
	s_cbranch_execz .LBB52_111
; %bb.110:
	v_mul_u32_u24_e32 v8, 34, v4
	v_mov_b32_e32 v7, 0
	s_delay_alu instid0(VALU_DEP_1)
	v_dual_mov_b32 v8, v7 :: v_dual_lshlrev_b32 v9, 4, v8
	ds_store_b64 v9, v[7:8] offset:8
.LBB52_111:
	s_or_b32 exec_lo, exec_lo, s8
	s_and_not1_saveexec_b32 s4, s4
	s_cbranch_execz .LBB52_82
.LBB52_112:
	ds_load_b128 v[7:10], v15
	s_waitcnt lgkmcnt(0)
	v_xor_b32_e32 v10, 0x80000000, v10
	ds_store_b128 v16, v[7:10]
	s_or_b32 exec_lo, exec_lo, s4
	s_and_saveexec_b32 s4, s5
	s_delay_alu instid0(SALU_CYCLE_1)
	s_xor_b32 s4, exec_lo, s4
	s_cbranch_execz .LBB52_83
.LBB52_113:
	ds_load_b128 v[7:10], v45
                                        ; implicit-def: $vgpr17
	s_waitcnt lgkmcnt(0)
	v_xor_b32_e32 v10, 0x80000000, v10
	ds_store_b128 v16, v[7:10] offset:16
	s_and_not1_saveexec_b32 s4, s4
	s_cbranch_execz .LBB52_84
.LBB52_114:
	s_mov_b32 s5, exec_lo
	v_cmpx_eq_u32_e64 v17, v4
	s_cbranch_execz .LBB52_116
; %bb.115:
	v_mul_u32_u24_e32 v8, 34, v4
	v_mov_b32_e32 v7, 0
	s_delay_alu instid0(VALU_DEP_1)
	v_dual_mov_b32 v8, v7 :: v_dual_lshlrev_b32 v9, 4, v8
	ds_store_b64 v9, v[7:8] offset:8
.LBB52_116:
	s_or_b32 exec_lo, exec_lo, s5
	s_delay_alu instid0(SALU_CYCLE_1) | instskip(SKIP_1) | instid1(SALU_CYCLE_1)
	s_or_b32 exec_lo, exec_lo, s4
	s_and_saveexec_b32 s4, s6
	s_xor_b32 s4, exec_lo, s4
	s_cbranch_execz .LBB52_85
.LBB52_117:
	s_mov_b32 s5, exec_lo
	v_cmpx_eq_u32_e64 v19, v4
	s_cbranch_execz .LBB52_119
; %bb.118:
	v_mul_u32_u24_e32 v8, 34, v4
	v_mov_b32_e32 v7, 0
	s_delay_alu instid0(VALU_DEP_1)
	v_dual_mov_b32 v8, v7 :: v_dual_lshlrev_b32 v9, 4, v8
	ds_store_b64 v9, v[7:8] offset:8
.LBB52_119:
	s_or_b32 exec_lo, exec_lo, s5
	s_and_not1_saveexec_b32 s4, s4
	s_cbranch_execz .LBB52_86
.LBB52_120:
	ds_load_b128 v[7:10], v45 offset:528
	s_waitcnt lgkmcnt(0)
	v_xor_b32_e32 v10, 0x80000000, v10
	ds_store_b128 v16, v[7:10] offset:32
	s_or_b32 exec_lo, exec_lo, s4
	s_and_saveexec_b32 s4, s7
	s_delay_alu instid0(SALU_CYCLE_1)
	s_xor_b32 s4, exec_lo, s4
	s_cbranch_execz .LBB52_87
.LBB52_121:
	s_mov_b32 s5, exec_lo
	v_cmpx_eq_u32_e64 v20, v4
	s_cbranch_execz .LBB52_123
; %bb.122:
	v_mul_u32_u24_e32 v8, 34, v4
	v_mov_b32_e32 v7, 0
	s_delay_alu instid0(VALU_DEP_1)
	v_dual_mov_b32 v8, v7 :: v_dual_lshlrev_b32 v9, 4, v8
	ds_store_b64 v9, v[7:8] offset:8
.LBB52_123:
	s_or_b32 exec_lo, exec_lo, s5
                                        ; implicit-def: $vgpr16
	s_or_saveexec_b32 s4, s4
	v_add_nc_u32_e32 v17, 0x4700, v21
	s_xor_b32 exec_lo, exec_lo, s4
	s_cbranch_execnz .LBB52_88
	s_branch .LBB52_89
.LBB52_124:
                                        ; implicit-def: $vgpr40_vgpr41
                                        ; implicit-def: $vgpr16
                                        ; implicit-def: $vgpr9
                                        ; implicit-def: $vgpr10
	s_cbranch_execz .LBB52_126
; %bb.125:
	flat_load_b128 v[7:10], v[5:6]
	s_lshl_b64 s[6:7], s[16:17], 7
	v_add_lshl_u32 v22, v12, v4, 4
	v_add_co_u32 v12, vcc_lo, v5, s6
	v_add_co_ci_u32_e32 v13, vcc_lo, s7, v6, vcc_lo
	s_delay_alu instid0(VALU_DEP_3)
	v_add_nc_u32_e32 v4, 0x1080, v22
	v_dual_mov_b32 v41, v6 :: v_dual_add_nc_u32 v16, 8, v11
	v_mov_b32_e32 v40, v5
	s_waitcnt vmcnt(0) lgkmcnt(0)
	ds_store_2addr_b64 v22, v[7:8], v[9:10] offset1:1
	flat_load_b128 v[7:10], v[12:13]
	v_add_co_u32 v12, vcc_lo, v12, s6
	v_add_co_ci_u32_e32 v13, vcc_lo, s7, v13, vcc_lo
	s_waitcnt vmcnt(0) lgkmcnt(0)
	ds_store_2addr_b64 v4, v[7:8], v[9:10] offset1:1
	flat_load_b128 v[7:10], v[12:13]
	v_mad_u64_u32 v[12:13], null, 0x180, s16, v[5:6]
	s_delay_alu instid0(VALU_DEP_1) | instskip(NEXT) | instid1(VALU_DEP_1)
	v_mov_b32_e32 v4, v13
	v_mad_u64_u32 v[18:19], null, 0x180, s17, v[4:5]
	s_delay_alu instid0(VALU_DEP_1)
	v_dual_mov_b32 v13, v18 :: v_dual_add_nc_u32 v4, 0x2100, v22
	s_waitcnt vmcnt(0) lgkmcnt(0)
	ds_store_2addr_b64 v4, v[7:8], v[9:10] offset1:1
	flat_load_b128 v[18:21], v[12:13]
	v_add_nc_u32_e32 v9, 16, v11
	v_add_nc_u32_e32 v10, 24, v11
	;; [unrolled: 1-line block ×3, first 2 shown]
	s_waitcnt vmcnt(0) lgkmcnt(0)
	ds_store_2addr_b64 v4, v[18:19], v[20:21] offset1:1
.LBB52_126:
	v_lshlrev_b32_e32 v8, 4, v11
	s_waitcnt lgkmcnt(0)
	s_barrier
	buffer_gl0_inv
	ds_load_b128 v[4:7], v44
	ds_load_b128 v[18:21], v8 offset:18176
	v_add_lshl_u32 v8, v16, v14, 4
	v_lshlrev_b32_e32 v13, 4, v16
	ds_load_b128 v[22:25], v8
	ds_load_b128 v[26:29], v13 offset:18176
	v_lshlrev_b32_e32 v8, 4, v9
	s_waitcnt lgkmcnt(2)
	v_mul_f64 v[11:12], v[6:7], v[20:21]
	v_mul_f64 v[6:7], v[6:7], v[18:19]
	s_waitcnt lgkmcnt(0)
	v_mul_f64 v[30:31], v[24:25], v[28:29]
	v_mul_f64 v[24:25], v[24:25], v[26:27]
	s_delay_alu instid0(VALU_DEP_4) | instskip(NEXT) | instid1(VALU_DEP_4)
	v_fma_f64 v[11:12], v[4:5], v[18:19], v[11:12]
	v_fma_f64 v[32:33], v[4:5], v[20:21], -v[6:7]
	v_add_lshl_u32 v4, v9, v14, 4
	ds_load_b128 v[4:7], v4
	ds_load_b128 v[18:21], v8 offset:18176
	v_fma_f64 v[26:27], v[22:23], v[26:27], v[30:31]
	v_fma_f64 v[22:23], v[22:23], v[28:29], -v[24:25]
	s_waitcnt lgkmcnt(0)
	v_mul_f64 v[34:35], v[6:7], v[20:21]
	v_mul_f64 v[46:47], v[6:7], v[18:19]
	v_add_lshl_u32 v6, v10, v14, 4
	v_lshlrev_b32_e32 v10, 4, v10
	v_add_f64 v[24:25], v[11:12], 0
	v_add_f64 v[28:29], v[32:33], 0
	ds_load_b128 v[6:9], v6
	ds_load_b128 v[10:13], v10 offset:18176
	s_waitcnt lgkmcnt(0)
	v_mul_f64 v[30:31], v[8:9], v[12:13]
	v_mul_f64 v[8:9], v[8:9], v[10:11]
	v_fma_f64 v[18:19], v[4:5], v[18:19], v[34:35]
	v_fma_f64 v[4:5], v[4:5], v[20:21], -v[46:47]
	v_add_f64 v[20:21], v[24:25], v[26:27]
	v_add_f64 v[22:23], v[28:29], v[22:23]
	v_fma_f64 v[10:11], v[6:7], v[10:11], v[30:31]
	v_fma_f64 v[6:7], v[6:7], v[12:13], -v[8:9]
	s_delay_alu instid0(VALU_DEP_4) | instskip(NEXT) | instid1(VALU_DEP_4)
	v_add_f64 v[8:9], v[20:21], v[18:19]
	v_add_f64 v[4:5], v[22:23], v[4:5]
	s_delay_alu instid0(VALU_DEP_2) | instskip(NEXT) | instid1(VALU_DEP_2)
	v_add_f64 v[46:47], v[8:9], v[10:11]
	v_add_f64 v[48:49], v[4:5], v[6:7]
	ds_load_b128 v[20:23], v17 offset:528
	ds_load_b128 v[8:11], v17 offset:544
	;; [unrolled: 1-line block ×3, first 2 shown]
	ds_load_b128 v[32:35], v15
	ds_load_b128 v[4:7], v17 offset:560
	ds_load_b128 v[24:27], v45
	ds_load_b128 v[16:19], v45 offset:528
	ds_load_b128 v[12:15], v45 offset:1056
	s_waitcnt lgkmcnt(0)
	s_barrier
	buffer_gl0_inv
	ds_store_b128 v44, v[46:49]
	s_waitcnt lgkmcnt(0)
	s_barrier
	buffer_gl0_inv
	s_and_saveexec_b32 s5, s4
	s_cbranch_execz .LBB52_128
; %bb.127:
	ds_load_b128 v[45:48], v43
	ds_load_b128 v[49:52], v43 offset:16
	s_waitcnt lgkmcnt(1)
	v_add_f64 v[0:1], v[0:1], v[45:46]
	v_add_f64 v[2:3], v[2:3], v[47:48]
	s_waitcnt lgkmcnt(0)
	s_delay_alu instid0(VALU_DEP_2) | instskip(NEXT) | instid1(VALU_DEP_2)
	v_add_f64 v[49:50], v[0:1], v[49:50]
	v_add_f64 v[51:52], v[2:3], v[51:52]
	ds_load_b128 v[0:3], v43 offset:32
	ds_load_b128 v[45:48], v43 offset:48
	s_waitcnt lgkmcnt(1)
	v_add_f64 v[0:1], v[49:50], v[0:1]
	v_add_f64 v[2:3], v[51:52], v[2:3]
	s_waitcnt lgkmcnt(0)
	s_delay_alu instid0(VALU_DEP_2) | instskip(NEXT) | instid1(VALU_DEP_2)
	v_add_f64 v[49:50], v[0:1], v[45:46]
	v_add_f64 v[51:52], v[2:3], v[47:48]
	ds_load_b128 v[0:3], v43 offset:64
	;; [unrolled: 9-line block ×3, first 2 shown]
	ds_load_b128 v[45:48], v43 offset:112
	s_waitcnt lgkmcnt(1)
	v_add_f64 v[0:1], v[49:50], v[0:1]
	v_add_f64 v[2:3], v[51:52], v[2:3]
	s_waitcnt lgkmcnt(0)
	s_delay_alu instid0(VALU_DEP_2) | instskip(NEXT) | instid1(VALU_DEP_2)
	v_add_f64 v[0:1], v[0:1], v[45:46]
	v_add_f64 v[2:3], v[2:3], v[47:48]
.LBB52_128:
	s_or_b32 exec_lo, exec_lo, s5
	v_mul_f64 v[45:46], v[30:31], v[34:35]
	v_mul_f64 v[34:35], v[28:29], v[34:35]
	;; [unrolled: 1-line block ×4, first 2 shown]
	s_barrier
	buffer_gl0_inv
	v_fma_f64 v[28:29], v[28:29], v[32:33], -v[45:46]
	v_fma_f64 v[30:31], v[30:31], v[32:33], v[34:35]
	v_mul_f64 v[32:33], v[10:11], v[18:19]
	v_mul_f64 v[18:19], v[8:9], v[18:19]
	v_fma_f64 v[20:21], v[20:21], v[24:25], -v[47:48]
	v_fma_f64 v[22:23], v[22:23], v[24:25], v[26:27]
	v_add_f64 v[24:25], v[28:29], 0
	v_add_f64 v[26:27], v[30:31], 0
	v_mul_f64 v[28:29], v[6:7], v[14:15]
	v_mul_f64 v[14:15], v[4:5], v[14:15]
	v_fma_f64 v[8:9], v[8:9], v[16:17], -v[32:33]
	v_fma_f64 v[10:11], v[10:11], v[16:17], v[18:19]
	v_add_f64 v[16:17], v[24:25], v[20:21]
	v_add_f64 v[18:19], v[26:27], v[22:23]
	v_fma_f64 v[4:5], v[4:5], v[12:13], -v[28:29]
	v_fma_f64 v[6:7], v[6:7], v[12:13], v[14:15]
	s_delay_alu instid0(VALU_DEP_4) | instskip(NEXT) | instid1(VALU_DEP_4)
	v_add_f64 v[8:9], v[16:17], v[8:9]
	v_add_f64 v[10:11], v[18:19], v[10:11]
	s_delay_alu instid0(VALU_DEP_2) | instskip(NEXT) | instid1(VALU_DEP_2)
	v_add_f64 v[4:5], v[8:9], v[4:5]
	v_add_f64 v[6:7], v[10:11], v[6:7]
	ds_store_b128 v44, v[4:7]
	s_waitcnt lgkmcnt(0)
	s_barrier
	buffer_gl0_inv
	s_and_saveexec_b32 s4, s3
	s_cbranch_execz .LBB52_130
; %bb.129:
	ds_load_b128 v[4:7], v43
	ds_load_b128 v[8:11], v43 offset:16
	s_waitcnt lgkmcnt(1)
	v_add_f64 v[0:1], v[0:1], v[4:5]
	v_add_f64 v[2:3], v[2:3], v[6:7]
	s_waitcnt lgkmcnt(0)
	s_delay_alu instid0(VALU_DEP_2) | instskip(NEXT) | instid1(VALU_DEP_2)
	v_add_f64 v[8:9], v[0:1], v[8:9]
	v_add_f64 v[10:11], v[2:3], v[10:11]
	ds_load_b128 v[0:3], v43 offset:32
	ds_load_b128 v[4:7], v43 offset:48
	s_waitcnt lgkmcnt(1)
	v_add_f64 v[0:1], v[8:9], v[0:1]
	v_add_f64 v[2:3], v[10:11], v[2:3]
	s_waitcnt lgkmcnt(0)
	s_delay_alu instid0(VALU_DEP_2) | instskip(NEXT) | instid1(VALU_DEP_2)
	v_add_f64 v[8:9], v[0:1], v[4:5]
	v_add_f64 v[10:11], v[2:3], v[6:7]
	ds_load_b128 v[0:3], v43 offset:64
	;; [unrolled: 9-line block ×3, first 2 shown]
	ds_load_b128 v[4:7], v43 offset:112
	s_waitcnt lgkmcnt(1)
	v_add_f64 v[0:1], v[8:9], v[0:1]
	v_add_f64 v[2:3], v[10:11], v[2:3]
	s_waitcnt lgkmcnt(0)
	s_delay_alu instid0(VALU_DEP_2) | instskip(NEXT) | instid1(VALU_DEP_2)
	v_add_f64 v[0:1], v[0:1], v[4:5]
	v_add_f64 v[2:3], v[2:3], v[6:7]
.LBB52_130:
	s_or_b32 exec_lo, exec_lo, s4
	s_load_b64 s[0:1], s[0:1], 0x78
	s_mul_hi_u32 s3, s24, s20
	s_mul_i32 s25, s25, s20
	s_mul_i32 s4, s24, s20
	s_add_i32 s3, s3, s25
	s_mul_hi_u32 s5, s4, s15
	s_mul_i32 s3, s3, s15
	s_mul_i32 s4, s4, s15
	s_add_i32 s5, s5, s3
	s_mul_hi_i32 s7, s24, s14
	s_lshl_b64 s[4:5], s[4:5], 4
	s_mul_i32 s6, s24, s14
	v_lshlrev_b32_e32 v185, 4, v183
	s_waitcnt lgkmcnt(0)
	s_barrier
	buffer_gl0_inv
	s_add_u32 s3, s0, s4
	s_addc_u32 s4, s1, s5
	s_lshl_b64 s[0:1], s[6:7], 4
	s_delay_alu instid0(SALU_CYCLE_1) | instskip(SKIP_2) | instid1(SALU_CYCLE_1)
	s_add_u32 s3, s3, s0
	s_addc_u32 s8, s4, s1
	s_add_i32 s0, s14, 1
	s_cmp_ge_u32 s0, s15
	s_cbranch_scc1 .LBB52_188
; %bb.131:
	scratch_load_b32 v7, off, off offset:4  ; 4-byte Folded Reload
	v_and_b32_e32 v10, 48, v183
	v_lshrrev_b32_e32 v12, 4, v42
	v_and_b32_e32 v11, 15, v183
	v_or_b32_e32 v5, 0xf0, v185
	s_mul_i32 s0, s18, s11
	v_lshlrev_b32_e32 v4, 4, v10
	v_lshlrev_b32_e32 v6, 6, v12
	s_mul_hi_u32 s1, s18, s10
	s_mul_i32 s4, s19, s10
	s_add_i32 s0, s1, s0
	v_mad_u32_u24 v191, 0x430, v11, v4
	v_mad_u32_u24 v4, 0x430, v11, v5
	;; [unrolled: 1-line block ×3, first 2 shown]
	s_add_i32 s1, s0, s4
	s_mul_i32 s0, s18, s10
	v_mul_i32_i24_e32 v16, 0xffffffd0, v12
	scratch_store_b32 off, v4, off          ; 4-byte Folded Spill
	s_lshl_b64 s[0:1], s[0:1], 4
	s_add_i32 s13, s15, -2
	v_sub_co_u32 v187, vcc_lo, v38, s0
	v_subrev_co_ci_u32_e32 v188, vcc_lo, s1, v39, vcc_lo
	v_cmp_gt_u32_e64 s0, 64, v42
	v_add_nc_u32_e32 v244, v193, v16
	s_add_i32 s18, s18, 64
	s_lshl_b64 s[4:5], s[16:17], 10
	s_waitcnt vmcnt(0)
	v_lshlrev_b32_e32 v15, 6, v7
	v_mad_u32_u24 v198, 0x10c0, v7, v185
	s_delay_alu instid0(VALU_DEP_2) | instskip(NEXT) | instid1(VALU_DEP_1)
	v_add_nc_u32_e32 v13, 0x220, v15
	v_mad_u64_u32 v[5:6], null, s16, v13, 0
	s_delay_alu instid0(VALU_DEP_1) | instskip(SKIP_1) | instid1(VALU_DEP_2)
	v_mov_b32_e32 v4, v6
	v_or_b32_e32 v211, v10, v11
	v_mad_u64_u32 v[8:9], null, s17, v13, v[4:5]
	v_mov_b32_e32 v4, 0
	v_add_nc_u32_e32 v14, 0x530, v15
	v_add_nc_u32_e32 v13, 0x210, v15
	;; [unrolled: 1-line block ×5, first 2 shown]
	s_delay_alu instid0(VALU_DEP_4) | instskip(SKIP_2) | instid1(VALU_DEP_1)
	v_mad_u64_u32 v[9:10], null, s16, v13, 0
	v_lshlrev_b32_e32 v186, 2, v7
	v_mad_u64_u32 v[6:7], null, s16, v14, 0
	v_mad_u64_u32 v[11:12], null, s17, v14, v[7:8]
	v_sub_co_u32 v7, vcc_lo, v5, v36
	v_mov_b32_e32 v5, v10
	v_sub_co_ci_u32_e32 v8, vcc_lo, v8, v37, vcc_lo
	s_delay_alu instid0(VALU_DEP_4) | instskip(NEXT) | instid1(VALU_DEP_4)
	v_dual_mov_b32 v14, v11 :: v_dual_add_nc_u32 v197, 0x4300, v15
	v_add_co_u32 v212, vcc_lo, v40, v7
	v_add_nc_u32_e32 v12, 0x500, v15
	s_delay_alu instid0(VALU_DEP_4) | instskip(SKIP_2) | instid1(VALU_DEP_4)
	v_add_co_ci_u32_e32 v213, vcc_lo, v41, v8, vcc_lo
	v_mad_u64_u32 v[7:8], null, s17, v13, v[5:6]
	v_sub_co_u32 v5, vcc_lo, v6, v36
	v_mad_u64_u32 v[10:11], null, s16, v12, 0
	v_sub_co_ci_u32_e32 v6, vcc_lo, v14, v37, vcc_lo
	s_delay_alu instid0(VALU_DEP_3) | instskip(SKIP_1) | instid1(VALU_DEP_3)
	v_add_co_u32 v214, vcc_lo, v40, v5
	v_dual_mov_b32 v8, v7 :: v_dual_add_nc_u32 v253, 16, v186
	v_add_co_ci_u32_e32 v215, vcc_lo, v41, v6, vcc_lo
	v_mad_u64_u32 v[6:7], null, s16, v17, 0
	v_mov_b32_e32 v5, v11
	v_sub_co_u32 v13, vcc_lo, v9, v36
	v_sub_co_ci_u32_e32 v14, vcc_lo, v8, v37, vcc_lo
	v_or_b32_e32 v189, 1, v186
	s_delay_alu instid0(VALU_DEP_4) | instskip(SKIP_3) | instid1(VALU_DEP_4)
	v_mad_u64_u32 v[8:9], null, s17, v12, v[5:6]
	v_mad_u64_u32 v[11:12], null, s16, v18, 0
	v_mov_b32_e32 v5, v7
	v_add_co_u32 v216, vcc_lo, v40, v13
	v_dual_mov_b32 v7, v8 :: v_dual_add_nc_u32 v190, 0x4700, v185
	v_add_co_ci_u32_e32 v217, vcc_lo, v41, v14, vcc_lo
	s_delay_alu instid0(VALU_DEP_4) | instskip(SKIP_3) | instid1(VALU_DEP_3)
	v_mad_u64_u32 v[13:14], null, s17, v17, v[5:6]
	v_dual_mov_b32 v5, v12 :: v_dual_add_nc_u32 v14, 0x230, v15
	v_sub_co_u32 v10, vcc_lo, v10, v36
	v_sub_co_ci_u32_e32 v12, vcc_lo, v7, v37, vcc_lo
	v_mad_u64_u32 v[7:8], null, s17, v18, v[5:6]
	s_delay_alu instid0(VALU_DEP_4) | instskip(NEXT) | instid1(VALU_DEP_4)
	v_mad_u64_u32 v[8:9], null, s16, v14, 0
	v_add_co_u32 v218, vcc_lo, v40, v10
	s_delay_alu instid0(VALU_DEP_4)
	v_add_co_ci_u32_e32 v219, vcc_lo, v41, v12, vcc_lo
	v_sub_co_u32 v12, vcc_lo, v6, v36
	v_mov_b32_e32 v6, v7
	v_dual_mov_b32 v5, v9 :: v_dual_add_nc_u32 v254, 17, v186
	v_sub_co_ci_u32_e32 v13, vcc_lo, v13, v37, vcc_lo
	v_sub_co_u32 v11, vcc_lo, v11, v36
	v_add_nc_u32_e32 v17, 0x320, v15
	v_sub_co_ci_u32_e32 v18, vcc_lo, v6, v37, vcc_lo
	v_mad_u64_u32 v[6:7], null, s17, v14, v[5:6]
	v_add_co_u32 v220, vcc_lo, v40, v12
	v_add_co_ci_u32_e32 v221, vcc_lo, v41, v13, vcc_lo
	v_mad_u64_u32 v[9:10], null, s16, v17, 0
	v_add_co_u32 v222, vcc_lo, v40, v11
	v_add_nc_u32_e32 v12, 0x520, v15
	v_add_co_ci_u32_e32 v223, vcc_lo, v41, v18, vcc_lo
	v_sub_co_u32 v8, vcc_lo, v8, v36
	v_sub_co_ci_u32_e32 v13, vcc_lo, v6, v37, vcc_lo
	s_delay_alu instid0(VALU_DEP_4) | instskip(SKIP_4) | instid1(VALU_DEP_4)
	v_mad_u64_u32 v[6:7], null, s16, v12, 0
	v_dual_mov_b32 v5, v10 :: v_dual_add_nc_u32 v184, 19, v186
	v_add_nc_u32_e32 v14, 0x430, v15
	v_add_nc_u32_e32 v204, 33, v186
	v_add_co_u32 v224, vcc_lo, v40, v8
	v_mad_u64_u32 v[10:11], null, s17, v17, v[5:6]
	v_mov_b32_e32 v5, v7
	v_mad_u64_u32 v[7:8], null, s16, v14, 0
	v_add_nc_u32_e32 v206, 35, v186
	v_add_co_ci_u32_e32 v225, vcc_lo, v41, v13, vcc_lo
	v_mov_b32_e32 v13, v10
	v_mad_u64_u32 v[10:11], null, s17, v12, v[5:6]
	v_sub_co_u32 v9, vcc_lo, v9, v36
	s_delay_alu instid0(VALU_DEP_3) | instskip(SKIP_1) | instid1(VALU_DEP_3)
	v_sub_co_ci_u32_e32 v11, vcc_lo, v13, v37, vcc_lo
	v_dual_mov_b32 v5, v8 :: v_dual_add_nc_u32 v12, 0x310, v15
	v_add_co_u32 v226, vcc_lo, v40, v9
	v_add_nc_u32_e32 v208, 49, v186
	s_delay_alu instid0(VALU_DEP_4) | instskip(SKIP_4) | instid1(VALU_DEP_4)
	v_add_co_ci_u32_e32 v227, vcc_lo, v41, v11, vcc_lo
	v_mov_b32_e32 v11, v10
	v_mad_u64_u32 v[8:9], null, s17, v14, v[5:6]
	v_mad_u64_u32 v[9:10], null, s16, v12, 0
	v_sub_co_u32 v5, vcc_lo, v6, v36
	v_sub_co_ci_u32_e32 v6, vcc_lo, v11, v37, vcc_lo
	v_add_nc_u32_e32 v13, 0x400, v15
	s_delay_alu instid0(VALU_DEP_3)
	v_add_co_u32 v228, vcc_lo, v40, v5
	v_add_nc_u32_e32 v255, 18, v186
	v_dual_mov_b32 v5, v10 :: v_dual_add_nc_u32 v210, 51, v186
	v_add_co_ci_u32_e32 v229, vcc_lo, v41, v6, vcc_lo
	v_mov_b32_e32 v6, v8
	v_mad_u64_u32 v[10:11], null, s16, v13, 0
	v_add_nc_u32_e32 v18, 0x300, v15
	v_sub_co_u32 v14, vcc_lo, v7, v36
	s_delay_alu instid0(VALU_DEP_4) | instskip(SKIP_1) | instid1(VALU_DEP_4)
	v_sub_co_ci_u32_e32 v17, vcc_lo, v6, v37, vcc_lo
	v_mad_u64_u32 v[6:7], null, s17, v12, v[5:6]
	v_mad_u64_u32 v[7:8], null, s16, v18, 0
	v_mov_b32_e32 v5, v11
	v_add_co_u32 v230, vcc_lo, v40, v14
	v_add_nc_u32_e32 v14, 0x410, v15
	v_add_co_ci_u32_e32 v231, vcc_lo, v41, v17, vcc_lo
	s_delay_alu instid0(VALU_DEP_4) | instskip(SKIP_3) | instid1(VALU_DEP_3)
	v_mad_u64_u32 v[11:12], null, s17, v13, v[5:6]
	v_mov_b32_e32 v5, v8
	v_sub_co_u32 v12, vcc_lo, v9, v36
	v_sub_co_ci_u32_e32 v13, vcc_lo, v6, v37, vcc_lo
	v_mad_u64_u32 v[8:9], null, s17, v18, v[5:6]
	v_mad_u64_u32 v[5:6], null, s16, v14, 0
	s_delay_alu instid0(VALU_DEP_4)
	v_add_co_u32 v232, vcc_lo, v40, v12
	v_add_nc_u32_e32 v15, 0x420, v15
	v_add_co_ci_u32_e32 v233, vcc_lo, v41, v13, vcc_lo
	v_sub_co_u32 v13, vcc_lo, v10, v36
	v_dual_mov_b32 v18, v8 :: v_dual_add_nc_u32 v203, 32, v186
	v_mad_u64_u32 v[8:9], null, s17, v14, v[6:7]
	v_sub_co_ci_u32_e32 v17, vcc_lo, v11, v37, vcc_lo
	v_mad_u64_u32 v[9:10], null, s16, v19, 0
	v_mad_u64_u32 v[11:12], null, s16, v15, 0
	v_add_co_u32 v234, vcc_lo, v40, v13
	s_delay_alu instid0(VALU_DEP_4) | instskip(NEXT) | instid1(VALU_DEP_4)
	v_add_co_ci_u32_e32 v235, vcc_lo, v41, v17, vcc_lo
	v_dual_mov_b32 v6, v10 :: v_dual_add_nc_u32 v205, 34, v186
	v_sub_co_u32 v14, vcc_lo, v7, v36
	v_mov_b32_e32 v7, v12
	v_sub_co_ci_u32_e32 v17, vcc_lo, v18, v37, vcc_lo
	v_sub_co_u32 v10, vcc_lo, v5, v36
	s_delay_alu instid0(VALU_DEP_3) | instskip(SKIP_3) | instid1(VALU_DEP_3)
	v_mad_u64_u32 v[12:13], null, s17, v19, v[6:7]
	v_sub_co_ci_u32_e32 v8, vcc_lo, v8, v37, vcc_lo
	v_add_co_u32 v236, vcc_lo, v40, v14
	v_add_co_ci_u32_e32 v237, vcc_lo, v41, v17, vcc_lo
	v_mad_u64_u32 v[5:6], null, s17, v15, v[7:8]
	v_dual_mov_b32 v6, v12 :: v_dual_add_nc_u32 v207, 48, v186
	v_add_co_u32 v238, vcc_lo, v40, v10
	v_add_co_ci_u32_e32 v239, vcc_lo, v41, v8, vcc_lo
	v_sub_co_u32 v7, vcc_lo, v9, v36
	s_delay_alu instid0(VALU_DEP_4) | instskip(SKIP_2) | instid1(VALU_DEP_4)
	v_sub_co_ci_u32_e32 v6, vcc_lo, v6, v37, vcc_lo
	v_sub_co_u32 v8, vcc_lo, v11, v36
	v_sub_co_ci_u32_e32 v5, vcc_lo, v5, v37, vcc_lo
	v_add_co_u32 v240, vcc_lo, v40, v7
	s_delay_alu instid0(VALU_DEP_4) | instskip(NEXT) | instid1(VALU_DEP_4)
	v_add_co_ci_u32_e32 v241, vcc_lo, v41, v6, vcc_lo
	v_add_co_u32 v242, vcc_lo, v40, v8
	v_or_b32_e32 v192, 2, v186
	v_or_b32_e32 v196, 3, v186
	v_add_nc_u32_e32 v209, 50, v186
	v_add_co_ci_u32_e32 v243, vcc_lo, v41, v5, vcc_lo
	s_cmp_eq_u32 s13, s14
	s_cselect_b32 s16, s21, 0
	s_and_saveexec_b32 s1, s2
	s_cbranch_execz .LBB52_136
.LBB52_132:
	v_cmp_le_i32_e32 vcc_lo, s16, v183
	s_cmp_lg_u32 s16, 0
	s_cselect_b32 s6, -1, 0
	s_delay_alu instid0(SALU_CYCLE_1) | instskip(NEXT) | instid1(SALU_CYCLE_1)
	s_and_b32 s6, s6, vcc_lo
	s_and_saveexec_b32 s7, s6
	s_delay_alu instid0(SALU_CYCLE_1)
	s_xor_b32 s6, exec_lo, s7
	s_cbranch_execz .LBB52_134
; %bb.133:
	v_dual_mov_b32 v5, v4 :: v_dual_add_nc_u32 v8, 0x4300, v185
	v_mov_b32_e32 v6, v4
	v_mov_b32_e32 v7, v4
	ds_store_b128 v8, v[4:7]
.LBB52_134:
	s_and_not1_saveexec_b32 s6, s6
	s_cbranch_execz .LBB52_136
; %bb.135:
	s_mul_i32 s6, s18, s11
	s_mul_hi_u32 s7, s18, s10
	s_ashr_i32 s17, s18, 31
	s_add_i32 s6, s7, s6
	s_mul_i32 s17, s17, s10
	v_add_nc_u32_e32 v9, 0x4300, v185
	s_add_i32 s7, s6, s17
	s_mul_i32 s6, s18, s10
	s_delay_alu instid0(SALU_CYCLE_1) | instskip(NEXT) | instid1(SALU_CYCLE_1)
	s_lshl_b64 s[6:7], s[6:7], 4
	v_add_co_u32 v5, vcc_lo, v187, s6
	v_add_co_ci_u32_e32 v6, vcc_lo, s7, v188, vcc_lo
	flat_load_b128 v[5:8], v[5:6]
	s_waitcnt vmcnt(0) lgkmcnt(0)
	ds_store_2addr_b64 v9, v[5:6], v[7:8] offset1:1
.LBB52_136:                             ; =>This Inner Loop Header: Depth=1
	s_or_b32 exec_lo, exec_lo, s1
	s_cmp_eq_u32 s16, 0
	v_add_co_u32 v17, vcc_lo, v220, v185
	s_cselect_b32 s17, -1, 0
	s_cmp_lg_u32 s16, 0
	v_add_co_ci_u32_e32 v18, vcc_lo, 0, v221, vcc_lo
	s_cselect_b32 s1, -1, 0
	s_waitcnt lgkmcnt(0)
	s_waitcnt_vscnt null, 0x0
	s_and_b32 vcc_lo, exec_lo, s1
	s_barrier
	buffer_gl0_inv
	s_cbranch_vccz .LBB52_144
; %bb.137:                              ;   in Loop: Header=BB52_136 Depth=1
	v_mov_b32_e32 v5, 0
	v_mov_b32_e32 v6, 0
	s_mov_b32 s6, exec_lo
	s_delay_alu instid0(VALU_DEP_1)
	v_dual_mov_b32 v10, v6 :: v_dual_mov_b32 v9, v5
	v_dual_mov_b32 v12, v6 :: v_dual_mov_b32 v11, v5
	v_cmpx_gt_i32_e64 s16, v186
	s_cbranch_execz .LBB52_139
; %bb.138:                              ;   in Loop: Header=BB52_136 Depth=1
	flat_load_b128 v[9:12], v[17:18]
.LBB52_139:                             ;   in Loop: Header=BB52_136 Depth=1
	s_or_b32 exec_lo, exec_lo, s6
	v_dual_mov_b32 v8, v6 :: v_dual_mov_b32 v7, v5
	s_mov_b32 s6, exec_lo
	v_cmpx_gt_i32_e64 s16, v189
	s_cbranch_execz .LBB52_141
; %bb.140:                              ;   in Loop: Header=BB52_136 Depth=1
	v_add_co_u32 v5, vcc_lo, v216, v185
	v_add_co_ci_u32_e32 v6, vcc_lo, 0, v217, vcc_lo
	flat_load_b128 v[5:8], v[5:6]
.LBB52_141:                             ;   in Loop: Header=BB52_136 Depth=1
	s_or_b32 exec_lo, exec_lo, s6
	v_mov_b32_e32 v13, 0
	v_mov_b32_e32 v14, 0
	s_mov_b64 s[6:7], 0
	s_mov_b32 s19, exec_lo
	s_delay_alu instid0(VALU_DEP_1)
	v_dual_mov_b32 v16, v14 :: v_dual_mov_b32 v15, v13
	v_cmpx_gt_i32_e64 s16, v192
	s_cbranch_execz .LBB52_143
; %bb.142:                              ;   in Loop: Header=BB52_136 Depth=1
	v_add_co_u32 v13, vcc_lo, v212, v185
	v_add_co_ci_u32_e32 v14, vcc_lo, 0, v213, vcc_lo
	flat_load_b128 v[13:16], v[13:14]
.LBB52_143:                             ;   in Loop: Header=BB52_136 Depth=1
	s_or_b32 exec_lo, exec_lo, s19
	v_cmp_gt_i32_e64 s19, s16, v196
	s_branch .LBB52_146
.LBB52_144:                             ;   in Loop: Header=BB52_136 Depth=1
	s_mov_b32 s19, 0
                                        ; implicit-def: $sgpr6_sgpr7
                                        ; implicit-def: $vgpr15_vgpr16
                                        ; implicit-def: $vgpr7_vgpr8
                                        ; implicit-def: $vgpr11_vgpr12
	s_cbranch_execz .LBB52_146
; %bb.145:                              ;   in Loop: Header=BB52_136 Depth=1
	s_waitcnt vmcnt(0) lgkmcnt(0)
	v_add_co_u32 v5, vcc_lo, v216, v185
	v_add_co_ci_u32_e32 v6, vcc_lo, 0, v217, vcc_lo
	v_add_co_u32 v13, vcc_lo, v212, v185
	v_add_co_ci_u32_e32 v14, vcc_lo, 0, v213, vcc_lo
	flat_load_b128 v[9:12], v[17:18]
	flat_load_b128 v[5:8], v[5:6]
	;; [unrolled: 1-line block ×3, first 2 shown]
	s_or_b32 s19, s19, exec_lo
                                        ; implicit-def: $sgpr6_sgpr7
.LBB52_146:                             ;   in Loop: Header=BB52_136 Depth=1
	v_dual_mov_b32 v18, s7 :: v_dual_mov_b32 v17, s6
	v_dual_mov_b32 v20, s7 :: v_dual_mov_b32 v19, s6
	s_delay_alu instid0(VALU_DEP_3)
	s_and_saveexec_b32 s6, s19
	s_cbranch_execz .LBB52_148
; %bb.147:                              ;   in Loop: Header=BB52_136 Depth=1
	v_add_co_u32 v17, vcc_lo, v224, v185
	v_add_co_ci_u32_e32 v18, vcc_lo, 0, v225, vcc_lo
	flat_load_b128 v[17:20], v[17:18]
.LBB52_148:                             ;   in Loop: Header=BB52_136 Depth=1
	s_or_b32 exec_lo, exec_lo, s6
	ds_load_b128 v[25:28], v190
	ds_load_b128 v[21:24], v197
	v_add_co_u32 v49, vcc_lo, v236, v185
	v_cndmask_b32_e64 v117, 0, 1, s1
	v_add_co_ci_u32_e32 v50, vcc_lo, 0, v237, vcc_lo
	s_and_not1_b32 vcc_lo, exec_lo, s1
	s_waitcnt vmcnt(0) lgkmcnt(1)
	v_mul_f64 v[29:30], v[11:12], v[27:28]
	v_mul_f64 v[31:32], v[11:12], v[25:26]
	;; [unrolled: 1-line block ×8, first 2 shown]
	v_fma_f64 v[29:30], v[9:10], v[25:26], v[29:30]
	v_fma_f64 v[31:32], v[9:10], v[27:28], -v[31:32]
	v_fma_f64 v[37:38], v[5:6], v[25:26], v[33:34]
	v_fma_f64 v[39:40], v[5:6], v[27:28], -v[35:36]
	;; [unrolled: 2-line block ×4, first 2 shown]
	ds_store_b128 v198, v[29:32]
	ds_load_b128 v[33:36], v197 offset:16
	ds_store_b128 v198, v[37:40] offset:1072
	ds_load_b128 v[29:32], v197 offset:32
	ds_store_b128 v198, v[41:44] offset:2144
	;; [unrolled: 2-line block ×3, first 2 shown]
	s_waitcnt lgkmcnt(0)
	s_barrier
	buffer_gl0_inv
	ds_load_b128 v[93:96], v193
	ds_load_b128 v[89:92], v193 offset:16
	ds_load_b128 v[81:84], v193 offset:32
	;; [unrolled: 1-line block ×3, first 2 shown]
	s_waitcnt lgkmcnt(0)
	s_barrier
	buffer_gl0_inv
	s_cbranch_vccnz .LBB52_156
; %bb.149:                              ;   in Loop: Header=BB52_136 Depth=1
	v_mov_b32_e32 v37, 0
	v_mov_b32_e32 v38, 0
	s_mov_b32 s1, exec_lo
	s_delay_alu instid0(VALU_DEP_1)
	v_dual_mov_b32 v42, v38 :: v_dual_mov_b32 v41, v37
	v_dual_mov_b32 v44, v38 :: v_dual_mov_b32 v43, v37
	v_cmpx_gt_i32_e64 s16, v253
	s_cbranch_execz .LBB52_151
; %bb.150:                              ;   in Loop: Header=BB52_136 Depth=1
	flat_load_b128 v[41:44], v[49:50]
.LBB52_151:                             ;   in Loop: Header=BB52_136 Depth=1
	s_or_b32 exec_lo, exec_lo, s1
	v_dual_mov_b32 v40, v38 :: v_dual_mov_b32 v39, v37
	s_mov_b32 s1, exec_lo
	v_cmpx_gt_i32_e64 s16, v254
	s_cbranch_execz .LBB52_153
; %bb.152:                              ;   in Loop: Header=BB52_136 Depth=1
	v_add_co_u32 v37, vcc_lo, v232, v185
	v_add_co_ci_u32_e32 v38, vcc_lo, 0, v233, vcc_lo
	flat_load_b128 v[37:40], v[37:38]
.LBB52_153:                             ;   in Loop: Header=BB52_136 Depth=1
	s_or_b32 exec_lo, exec_lo, s1
	v_mov_b32_e32 v45, 0
	v_mov_b32_e32 v46, 0
	s_mov_b64 s[6:7], 0
	s_mov_b32 s1, exec_lo
	s_delay_alu instid0(VALU_DEP_1)
	v_dual_mov_b32 v48, v46 :: v_dual_mov_b32 v47, v45
	v_cmpx_gt_i32_e64 s16, v255
	s_cbranch_execz .LBB52_155
; %bb.154:                              ;   in Loop: Header=BB52_136 Depth=1
	v_add_co_u32 v45, vcc_lo, v226, v185
	v_add_co_ci_u32_e32 v46, vcc_lo, 0, v227, vcc_lo
	flat_load_b128 v[45:48], v[45:46]
.LBB52_155:                             ;   in Loop: Header=BB52_136 Depth=1
	s_or_b32 exec_lo, exec_lo, s1
	v_cmp_gt_i32_e64 s1, s16, v184
	s_branch .LBB52_158
.LBB52_156:                             ;   in Loop: Header=BB52_136 Depth=1
	s_mov_b32 s1, 0
                                        ; implicit-def: $sgpr6_sgpr7
                                        ; implicit-def: $vgpr47_vgpr48
                                        ; implicit-def: $vgpr39_vgpr40
                                        ; implicit-def: $vgpr43_vgpr44
	s_cbranch_execz .LBB52_158
; %bb.157:                              ;   in Loop: Header=BB52_136 Depth=1
	s_waitcnt vmcnt(0) lgkmcnt(0)
	v_add_co_u32 v37, vcc_lo, v232, v185
	v_add_co_ci_u32_e32 v38, vcc_lo, 0, v233, vcc_lo
	v_add_co_u32 v45, vcc_lo, v226, v185
	v_add_co_ci_u32_e32 v46, vcc_lo, 0, v227, vcc_lo
	flat_load_b128 v[41:44], v[49:50]
	flat_load_b128 v[37:40], v[37:38]
	;; [unrolled: 1-line block ×3, first 2 shown]
	s_or_b32 s1, s1, exec_lo
                                        ; implicit-def: $sgpr6_sgpr7
.LBB52_158:                             ;   in Loop: Header=BB52_136 Depth=1
	v_dual_mov_b32 v50, s7 :: v_dual_mov_b32 v49, s6
	v_dual_mov_b32 v52, s7 :: v_dual_mov_b32 v51, s6
	s_delay_alu instid0(VALU_DEP_3)
	s_and_saveexec_b32 s6, s1
	s_cbranch_execz .LBB52_160
; %bb.159:                              ;   in Loop: Header=BB52_136 Depth=1
	v_add_co_u32 v49, vcc_lo, v240, v185
	v_add_co_ci_u32_e32 v50, vcc_lo, 0, v241, vcc_lo
	flat_load_b128 v[49:52], v[49:50]
.LBB52_160:                             ;   in Loop: Header=BB52_136 Depth=1
	s_or_b32 exec_lo, exec_lo, s6
	ds_load_b128 v[57:60], v190
	ds_load_b128 v[53:56], v197 offset:256
	v_cmp_ne_u32_e32 vcc_lo, 1, v117
	v_add_co_u32 v97, s1, v234, v185
	s_delay_alu instid0(VALU_DEP_1)
	v_add_co_ci_u32_e64 v98, s1, 0, v235, s1
	s_and_b32 vcc_lo, exec_lo, vcc_lo
	s_waitcnt vmcnt(0) lgkmcnt(1)
	v_mul_f64 v[61:62], v[43:44], v[59:60]
	v_mul_f64 v[63:64], v[43:44], v[57:58]
	;; [unrolled: 1-line block ×8, first 2 shown]
	v_fma_f64 v[61:62], v[41:42], v[57:58], v[61:62]
	v_fma_f64 v[63:64], v[41:42], v[59:60], -v[63:64]
	v_fma_f64 v[69:70], v[37:38], v[57:58], v[65:66]
	v_fma_f64 v[71:72], v[37:38], v[59:60], -v[67:68]
	;; [unrolled: 2-line block ×4, first 2 shown]
	ds_store_b128 v198, v[61:64]
	ds_load_b128 v[65:68], v197 offset:272
	ds_store_b128 v198, v[69:72] offset:1072
	ds_load_b128 v[61:64], v197 offset:288
	ds_store_b128 v198, v[73:76] offset:2144
	;; [unrolled: 2-line block ×3, first 2 shown]
	s_waitcnt lgkmcnt(0)
	s_barrier
	buffer_gl0_inv
	ds_load_b128 v[141:144], v193
	ds_load_b128 v[137:140], v193 offset:16
	ds_load_b128 v[133:136], v193 offset:32
	ds_load_b128 v[129:132], v193 offset:48
	s_waitcnt lgkmcnt(0)
	s_barrier
	buffer_gl0_inv
	s_cbranch_vccnz .LBB52_168
; %bb.161:                              ;   in Loop: Header=BB52_136 Depth=1
	v_mov_b32_e32 v69, 0
	v_mov_b32_e32 v70, 0
	s_mov_b32 s1, exec_lo
	s_delay_alu instid0(VALU_DEP_1)
	v_dual_mov_b32 v74, v70 :: v_dual_mov_b32 v73, v69
	v_dual_mov_b32 v76, v70 :: v_dual_mov_b32 v75, v69
	v_cmpx_gt_i32_e64 s16, v203
	s_cbranch_execz .LBB52_163
; %bb.162:                              ;   in Loop: Header=BB52_136 Depth=1
	flat_load_b128 v[73:76], v[97:98]
.LBB52_163:                             ;   in Loop: Header=BB52_136 Depth=1
	s_or_b32 exec_lo, exec_lo, s1
	v_dual_mov_b32 v72, v70 :: v_dual_mov_b32 v71, v69
	s_mov_b32 s1, exec_lo
	v_cmpx_gt_i32_e64 s16, v204
	s_cbranch_execz .LBB52_165
; %bb.164:                              ;   in Loop: Header=BB52_136 Depth=1
	v_add_co_u32 v69, vcc_lo, v238, v185
	v_add_co_ci_u32_e32 v70, vcc_lo, 0, v239, vcc_lo
	flat_load_b128 v[69:72], v[69:70]
.LBB52_165:                             ;   in Loop: Header=BB52_136 Depth=1
	s_or_b32 exec_lo, exec_lo, s1
	v_mov_b32_e32 v85, 0
	v_mov_b32_e32 v86, 0
	s_mov_b64 s[6:7], 0
	s_mov_b32 s1, exec_lo
	s_delay_alu instid0(VALU_DEP_1)
	v_dual_mov_b32 v88, v86 :: v_dual_mov_b32 v87, v85
	v_cmpx_gt_i32_e64 s16, v205
	s_cbranch_execz .LBB52_167
; %bb.166:                              ;   in Loop: Header=BB52_136 Depth=1
	v_add_co_u32 v85, vcc_lo, v242, v185
	v_add_co_ci_u32_e32 v86, vcc_lo, 0, v243, vcc_lo
	flat_load_b128 v[85:88], v[85:86]
.LBB52_167:                             ;   in Loop: Header=BB52_136 Depth=1
	s_or_b32 exec_lo, exec_lo, s1
	v_cmp_gt_i32_e64 s1, s16, v206
	s_branch .LBB52_170
.LBB52_168:                             ;   in Loop: Header=BB52_136 Depth=1
	s_mov_b32 s1, 0
                                        ; implicit-def: $sgpr6_sgpr7
                                        ; implicit-def: $vgpr87_vgpr88
                                        ; implicit-def: $vgpr71_vgpr72
                                        ; implicit-def: $vgpr75_vgpr76
	s_cbranch_execz .LBB52_170
; %bb.169:                              ;   in Loop: Header=BB52_136 Depth=1
	s_waitcnt vmcnt(0) lgkmcnt(0)
	v_add_co_u32 v69, vcc_lo, v238, v185
	v_add_co_ci_u32_e32 v70, vcc_lo, 0, v239, vcc_lo
	v_add_co_u32 v85, vcc_lo, v242, v185
	v_add_co_ci_u32_e32 v86, vcc_lo, 0, v243, vcc_lo
	flat_load_b128 v[73:76], v[97:98]
	flat_load_b128 v[69:72], v[69:70]
	;; [unrolled: 1-line block ×3, first 2 shown]
	s_or_b32 s1, s1, exec_lo
                                        ; implicit-def: $sgpr6_sgpr7
.LBB52_170:                             ;   in Loop: Header=BB52_136 Depth=1
	v_dual_mov_b32 v98, s7 :: v_dual_mov_b32 v97, s6
	v_dual_mov_b32 v100, s7 :: v_dual_mov_b32 v99, s6
	s_delay_alu instid0(VALU_DEP_3)
	s_and_saveexec_b32 s6, s1
	s_cbranch_execz .LBB52_172
; %bb.171:                              ;   in Loop: Header=BB52_136 Depth=1
	v_add_co_u32 v97, vcc_lo, v230, v185
	v_add_co_ci_u32_e32 v98, vcc_lo, 0, v231, vcc_lo
	flat_load_b128 v[97:100], v[97:98]
.LBB52_172:                             ;   in Loop: Header=BB52_136 Depth=1
	s_or_b32 exec_lo, exec_lo, s6
	ds_load_b128 v[105:108], v190
	ds_load_b128 v[101:104], v197 offset:512
	v_cmp_ne_u32_e32 vcc_lo, 1, v117
	s_and_b32 vcc_lo, exec_lo, vcc_lo
	s_waitcnt vmcnt(0) lgkmcnt(1)
	v_mul_f64 v[109:110], v[75:76], v[107:108]
	v_mul_f64 v[111:112], v[75:76], v[105:106]
	;; [unrolled: 1-line block ×8, first 2 shown]
	v_fma_f64 v[109:110], v[73:74], v[105:106], v[109:110]
	v_fma_f64 v[111:112], v[73:74], v[107:108], -v[111:112]
	v_fma_f64 v[118:119], v[69:70], v[105:106], v[113:114]
	v_fma_f64 v[120:121], v[69:70], v[107:108], -v[115:116]
	;; [unrolled: 2-line block ×4, first 2 shown]
	ds_store_b128 v198, v[109:112]
	ds_load_b128 v[113:116], v197 offset:528
	ds_store_b128 v198, v[118:121] offset:1072
	ds_load_b128 v[109:112], v197 offset:544
	ds_store_b128 v198, v[122:125] offset:2144
	;; [unrolled: 2-line block ×3, first 2 shown]
	s_waitcnt lgkmcnt(0)
	s_barrier
	buffer_gl0_inv
	ds_load_b128 v[177:180], v193
	ds_load_b128 v[173:176], v193 offset:16
	ds_load_b128 v[169:172], v193 offset:32
	;; [unrolled: 1-line block ×3, first 2 shown]
	v_add_co_u32 v145, s1, v218, v185
	s_delay_alu instid0(VALU_DEP_1)
	v_add_co_ci_u32_e64 v146, s1, 0, v219, s1
	s_waitcnt lgkmcnt(0)
	s_barrier
	buffer_gl0_inv
	s_cbranch_vccnz .LBB52_180
; %bb.173:                              ;   in Loop: Header=BB52_136 Depth=1
	v_mov_b32_e32 v117, 0
	v_mov_b32_e32 v118, 0
	s_mov_b32 s1, exec_lo
	s_delay_alu instid0(VALU_DEP_1)
	v_dual_mov_b32 v122, v118 :: v_dual_mov_b32 v121, v117
	v_dual_mov_b32 v124, v118 :: v_dual_mov_b32 v123, v117
	v_cmpx_gt_i32_e64 s16, v207
	s_cbranch_execz .LBB52_175
; %bb.174:                              ;   in Loop: Header=BB52_136 Depth=1
	flat_load_b128 v[121:124], v[145:146]
.LBB52_175:                             ;   in Loop: Header=BB52_136 Depth=1
	s_or_b32 exec_lo, exec_lo, s1
	v_dual_mov_b32 v120, v118 :: v_dual_mov_b32 v119, v117
	s_mov_b32 s1, exec_lo
	v_cmpx_gt_i32_e64 s16, v208
	s_cbranch_execz .LBB52_177
; %bb.176:                              ;   in Loop: Header=BB52_136 Depth=1
	v_add_co_u32 v117, vcc_lo, v222, v185
	v_add_co_ci_u32_e32 v118, vcc_lo, 0, v223, vcc_lo
	flat_load_b128 v[117:120], v[117:118]
.LBB52_177:                             ;   in Loop: Header=BB52_136 Depth=1
	s_or_b32 exec_lo, exec_lo, s1
	v_mov_b32_e32 v125, 0
	v_mov_b32_e32 v126, 0
	s_mov_b64 s[6:7], 0
	s_mov_b32 s1, exec_lo
	s_delay_alu instid0(VALU_DEP_1)
	v_dual_mov_b32 v128, v126 :: v_dual_mov_b32 v127, v125
	v_cmpx_gt_i32_e64 s16, v209
	s_cbranch_execz .LBB52_179
; %bb.178:                              ;   in Loop: Header=BB52_136 Depth=1
	v_add_co_u32 v125, vcc_lo, v228, v185
	v_add_co_ci_u32_e32 v126, vcc_lo, 0, v229, vcc_lo
	flat_load_b128 v[125:128], v[125:126]
.LBB52_179:                             ;   in Loop: Header=BB52_136 Depth=1
	s_or_b32 exec_lo, exec_lo, s1
	v_cmp_gt_i32_e64 s1, s16, v210
	s_branch .LBB52_182
.LBB52_180:                             ;   in Loop: Header=BB52_136 Depth=1
	s_mov_b32 s1, 0
                                        ; implicit-def: $sgpr6_sgpr7
                                        ; implicit-def: $vgpr127_vgpr128
                                        ; implicit-def: $vgpr119_vgpr120
                                        ; implicit-def: $vgpr123_vgpr124
	s_cbranch_execz .LBB52_182
; %bb.181:                              ;   in Loop: Header=BB52_136 Depth=1
	s_waitcnt vmcnt(0) lgkmcnt(0)
	v_add_co_u32 v117, vcc_lo, v222, v185
	v_add_co_ci_u32_e32 v118, vcc_lo, 0, v223, vcc_lo
	v_add_co_u32 v125, vcc_lo, v228, v185
	v_add_co_ci_u32_e32 v126, vcc_lo, 0, v229, vcc_lo
	flat_load_b128 v[121:124], v[145:146]
	flat_load_b128 v[117:120], v[117:118]
	;; [unrolled: 1-line block ×3, first 2 shown]
	s_or_b32 s1, s1, exec_lo
                                        ; implicit-def: $sgpr6_sgpr7
.LBB52_182:                             ;   in Loop: Header=BB52_136 Depth=1
	v_dual_mov_b32 v146, s7 :: v_dual_mov_b32 v145, s6
	v_dual_mov_b32 v148, s7 :: v_dual_mov_b32 v147, s6
	s_delay_alu instid0(VALU_DEP_3)
	s_and_saveexec_b32 s6, s1
	s_cbranch_execz .LBB52_184
; %bb.183:                              ;   in Loop: Header=BB52_136 Depth=1
	v_add_co_u32 v145, vcc_lo, v214, v185
	v_add_co_ci_u32_e32 v146, vcc_lo, 0, v215, vcc_lo
	flat_load_b128 v[145:148], v[145:146]
.LBB52_184:                             ;   in Loop: Header=BB52_136 Depth=1
	s_or_b32 exec_lo, exec_lo, s6
	ds_load_b128 v[153:156], v190
	ds_load_b128 v[149:152], v197 offset:768
	v_add_f64 v[141:142], v[141:142], 0
	v_add_f64 v[143:144], v[143:144], 0
	;; [unrolled: 1-line block ×4, first 2 shown]
	v_cmp_gt_i32_e32 vcc_lo, s16, v183
	s_or_b32 s1, s17, vcc_lo
	s_delay_alu instid0(SALU_CYCLE_1)
	s_and_b32 s6, s0, s1
	s_waitcnt vmcnt(0) lgkmcnt(1)
	v_mul_f64 v[157:158], v[123:124], v[155:156]
	v_mul_f64 v[159:160], v[123:124], v[153:154]
	;; [unrolled: 1-line block ×8, first 2 shown]
	v_add_f64 v[137:138], v[141:142], v[137:138]
	v_add_f64 v[139:140], v[143:144], v[139:140]
	;; [unrolled: 1-line block ×4, first 2 shown]
	v_fma_f64 v[157:158], v[121:122], v[153:154], v[157:158]
	v_fma_f64 v[159:160], v[121:122], v[155:156], -v[159:160]
	v_fma_f64 v[245:246], v[117:118], v[153:154], v[161:162]
	v_fma_f64 v[247:248], v[117:118], v[155:156], -v[163:164]
	;; [unrolled: 2-line block ×4, first 2 shown]
	v_add_f64 v[181:182], v[93:94], 0
	v_add_f64 v[194:195], v[95:96], 0
	;; [unrolled: 1-line block ×6, first 2 shown]
	ds_store_b128 v198, v[157:160]
	ds_load_b128 v[161:164], v197 offset:784
	ds_store_b128 v198, v[245:248] offset:1072
	ds_load_b128 v[157:160], v197 offset:800
	ds_store_b128 v198, v[249:252] offset:2144
	;; [unrolled: 2-line block ×3, first 2 shown]
	s_waitcnt lgkmcnt(0)
	s_barrier
	buffer_gl0_inv
	ds_load_b128 v[199:202], v193
	ds_load_b128 v[93:96], v193 offset:16
	v_add_f64 v[141:142], v[181:182], v[89:90]
	v_add_f64 v[143:144], v[194:195], v[91:92]
	ds_load_b128 v[89:92], v193 offset:32
	s_waitcnt lgkmcnt(2)
	v_add_f64 v[199:200], v[199:200], 0
	v_add_f64 v[201:202], v[201:202], 0
	v_add_f64 v[137:138], v[141:142], v[81:82]
	v_add_f64 v[139:140], v[143:144], v[83:84]
	ds_load_b128 v[81:84], v193 offset:48
	s_waitcnt lgkmcnt(0)
	s_barrier
	buffer_gl0_inv
	v_add_f64 v[93:94], v[199:200], v[93:94]
	v_add_f64 v[95:96], v[201:202], v[95:96]
	;; [unrolled: 1-line block ×4, first 2 shown]
	s_delay_alu instid0(VALU_DEP_4) | instskip(NEXT) | instid1(VALU_DEP_4)
	v_add_f64 v[141:142], v[93:94], v[89:90]
	v_add_f64 v[143:144], v[95:96], v[91:92]
	;; [unrolled: 1-line block ×8, first 2 shown]
	ds_store_b128 v244, v[77:80]
	ds_store_b128 v244, v[93:96] offset:256
	ds_store_b128 v244, v[89:92] offset:512
	;; [unrolled: 1-line block ×3, first 2 shown]
	s_waitcnt lgkmcnt(0)
	s_barrier
	buffer_gl0_inv
	s_and_saveexec_b32 s1, s6
	s_cbranch_execz .LBB52_186
; %bb.185:                              ;   in Loop: Header=BB52_136 Depth=1
	ds_load_b128 v[77:80], v191
	ds_load_b128 v[81:84], v191 offset:16
	s_waitcnt lgkmcnt(0)
	v_add_f64 v[89:90], v[81:82], v[77:78]
	v_add_f64 v[91:92], v[83:84], v[79:80]
	ds_load_b128 v[77:80], v191 offset:32
	ds_load_b128 v[81:84], v191 offset:48
	s_waitcnt lgkmcnt(1)
	v_add_f64 v[77:78], v[89:90], v[77:78]
	v_add_f64 v[79:80], v[91:92], v[79:80]
	s_waitcnt lgkmcnt(0)
	s_delay_alu instid0(VALU_DEP_2) | instskip(NEXT) | instid1(VALU_DEP_2)
	v_add_f64 v[89:90], v[77:78], v[81:82]
	v_add_f64 v[91:92], v[79:80], v[83:84]
	ds_load_b128 v[77:80], v191 offset:64
	ds_load_b128 v[81:84], v191 offset:80
	s_waitcnt lgkmcnt(1)
	v_add_f64 v[77:78], v[89:90], v[77:78]
	v_add_f64 v[79:80], v[91:92], v[79:80]
	s_waitcnt lgkmcnt(0)
	s_delay_alu instid0(VALU_DEP_2) | instskip(NEXT) | instid1(VALU_DEP_2)
	;; [unrolled: 9-line block ×5, first 2 shown]
	v_add_f64 v[89:90], v[77:78], v[81:82]
	v_add_f64 v[91:92], v[79:80], v[83:84]
	ds_load_b128 v[77:80], v191 offset:192
	ds_load_b128 v[81:84], v191 offset:208
	s_waitcnt lgkmcnt(1)
	v_add_f64 v[77:78], v[89:90], v[77:78]
	v_add_f64 v[79:80], v[91:92], v[79:80]
	s_waitcnt lgkmcnt(0)
	s_delay_alu instid0(VALU_DEP_2)
	v_add_f64 v[89:90], v[77:78], v[81:82]
	scratch_load_b32 v81, off, off          ; 4-byte Folded Reload
	v_add_f64 v[91:92], v[79:80], v[83:84]
	ds_load_b128 v[77:80], v191 offset:224
	s_waitcnt vmcnt(0)
	ds_load_b128 v[81:84], v81
	s_waitcnt lgkmcnt(1)
	v_add_f64 v[77:78], v[89:90], v[77:78]
	v_add_f64 v[79:80], v[91:92], v[79:80]
	s_waitcnt lgkmcnt(0)
	s_delay_alu instid0(VALU_DEP_2) | instskip(NEXT) | instid1(VALU_DEP_2)
	v_add_f64 v[77:78], v[77:78], v[81:82]
	v_add_f64 v[79:80], v[79:80], v[83:84]
	v_add_nc_u32_e32 v81, s18, v211
	s_delay_alu instid0(VALU_DEP_1) | instskip(NEXT) | instid1(VALU_DEP_1)
	v_ashrrev_i32_e32 v82, 31, v81
	v_lshlrev_b64 v[81:82], 4, v[81:82]
	s_delay_alu instid0(VALU_DEP_1) | instskip(NEXT) | instid1(VALU_DEP_2)
	v_add_co_u32 v81, vcc_lo, s3, v81
	v_add_co_ci_u32_e32 v82, vcc_lo, s8, v82, vcc_lo
	global_store_b128 v[81:82], v[77:80], off
.LBB52_186:                             ;   in Loop: Header=BB52_136 Depth=1
	s_or_b32 exec_lo, exec_lo, s1
	v_mul_f64 v[77:78], v[11:12], v[23:24]
	v_mul_f64 v[23:24], v[9:10], v[23:24]
	;; [unrolled: 1-line block ×4, first 2 shown]
	v_add_co_u32 v212, vcc_lo, v212, s4
	v_add_co_ci_u32_e32 v213, vcc_lo, s5, v213, vcc_lo
	v_add_co_u32 v214, vcc_lo, v214, s4
	v_add_co_ci_u32_e32 v215, vcc_lo, s5, v215, vcc_lo
	;; [unrolled: 2-line block ×8, first 2 shown]
	v_add_co_u32 v228, vcc_lo, v228, s4
	v_fma_f64 v[9:10], v[9:10], v[21:22], -v[77:78]
	v_fma_f64 v[11:12], v[11:12], v[21:22], v[23:24]
	v_mul_f64 v[21:22], v[15:16], v[31:32]
	v_mul_f64 v[23:24], v[13:14], v[31:32]
	v_fma_f64 v[5:6], v[5:6], v[33:34], -v[79:80]
	v_fma_f64 v[7:8], v[7:8], v[33:34], v[35:36]
	v_add_co_ci_u32_e32 v229, vcc_lo, s5, v229, vcc_lo
	v_add_co_u32 v230, vcc_lo, v230, s4
	v_add_co_ci_u32_e32 v231, vcc_lo, s5, v231, vcc_lo
	v_add_co_u32 v232, vcc_lo, v232, s4
	;; [unrolled: 2-line block ×7, first 2 shown]
	v_add_co_ci_u32_e32 v243, vcc_lo, s5, v243, vcc_lo
	s_add_i32 s6, s14, 2
	s_add_i32 s1, s14, 1
	v_add_f64 v[0:1], v[0:1], v[9:10]
	v_add_f64 v[2:3], v[2:3], v[11:12]
	v_mul_f64 v[9:10], v[19:20], v[27:28]
	v_mul_f64 v[11:12], v[17:18], v[27:28]
	v_fma_f64 v[13:14], v[13:14], v[29:30], -v[21:22]
	v_fma_f64 v[15:16], v[15:16], v[29:30], v[23:24]
	s_add_i32 s18, s18, 64
	s_cmp_ge_u32 s6, s15
	s_waitcnt_vscnt null, 0x0
	s_barrier
	buffer_gl0_inv
	v_add_f64 v[0:1], v[0:1], v[5:6]
	v_add_f64 v[2:3], v[2:3], v[7:8]
	v_mul_f64 v[5:6], v[43:44], v[55:56]
	v_mul_f64 v[7:8], v[41:42], v[55:56]
	v_fma_f64 v[9:10], v[17:18], v[25:26], -v[9:10]
	v_fma_f64 v[11:12], v[19:20], v[25:26], v[11:12]
	v_add_f64 v[0:1], v[0:1], v[13:14]
	v_add_f64 v[2:3], v[2:3], v[15:16]
	v_mul_f64 v[13:14], v[39:40], v[67:68]
	v_mul_f64 v[15:16], v[37:38], v[67:68]
	v_fma_f64 v[5:6], v[41:42], v[53:54], -v[5:6]
	v_fma_f64 v[7:8], v[43:44], v[53:54], v[7:8]
	;; [unrolled: 6-line block ×12, first 2 shown]
	v_add_f64 v[0:1], v[0:1], v[5:6]
	v_add_f64 v[2:3], v[2:3], v[7:8]
	v_fma_f64 v[5:6], v[145:146], v[153:154], -v[9:10]
	v_fma_f64 v[7:8], v[147:148], v[153:154], v[11:12]
	s_delay_alu instid0(VALU_DEP_4) | instskip(NEXT) | instid1(VALU_DEP_4)
	v_add_f64 v[0:1], v[0:1], v[13:14]
	v_add_f64 v[2:3], v[2:3], v[15:16]
	s_delay_alu instid0(VALU_DEP_2) | instskip(NEXT) | instid1(VALU_DEP_2)
	v_add_f64 v[0:1], v[0:1], v[5:6]
	v_add_f64 v[2:3], v[2:3], v[7:8]
	s_cbranch_scc1 .LBB52_188
; %bb.187:                              ;   in Loop: Header=BB52_136 Depth=1
	s_mov_b32 s14, s1
	s_delay_alu instid0(SALU_CYCLE_1)
	s_cmp_eq_u32 s13, s14
	s_cselect_b32 s16, s21, 0
	s_and_saveexec_b32 s1, s2
	s_cbranch_execnz .LBB52_132
	s_branch .LBB52_136
.LBB52_188:
	scratch_load_b32 v4, off, off offset:4  ; 4-byte Folded Reload
	v_cmp_gt_i32_e32 vcc_lo, s12, v183
	s_or_b32 s0, s9, vcc_lo
	s_delay_alu instid0(SALU_CYCLE_1)
	s_and_b32 s0, s2, s0
	s_waitcnt vmcnt(0)
	v_mad_u32_u24 v4, 0x430, v4, v185
	ds_store_b128 v4, v[0:3]
	s_waitcnt lgkmcnt(0)
	s_barrier
	buffer_gl0_inv
	s_and_saveexec_b32 s1, s0
	s_cbranch_execz .LBB52_190
; %bb.189:
	ds_load_b128 v[0:3], v185 offset:1072
	ds_load_b128 v[4:7], v185
	s_waitcnt lgkmcnt(0)
	v_add_f64 v[8:9], v[0:1], v[4:5]
	v_add_f64 v[10:11], v[2:3], v[6:7]
	ds_load_b128 v[0:3], v185 offset:2144
	ds_load_b128 v[4:7], v185 offset:3216
	s_waitcnt lgkmcnt(1)
	v_add_f64 v[0:1], v[8:9], v[0:1]
	v_add_f64 v[2:3], v[10:11], v[2:3]
	s_waitcnt lgkmcnt(0)
	s_delay_alu instid0(VALU_DEP_2) | instskip(SKIP_4) | instid1(VALU_DEP_1)
	v_add_f64 v[0:1], v[0:1], v[4:5]
	scratch_load_b64 v[4:5], off, off offset:8 ; 8-byte Folded Reload
	v_add_f64 v[2:3], v[2:3], v[6:7]
	s_waitcnt vmcnt(0)
	v_lshlrev_b64 v[4:5], 4, v[4:5]
	v_add_co_u32 v4, vcc_lo, s3, v4
	s_delay_alu instid0(VALU_DEP_2)
	v_add_co_ci_u32_e32 v5, vcc_lo, s8, v5, vcc_lo
	global_store_b128 v[4:5], v[0:3], off
.LBB52_190:
	s_nop 0
	s_sendmsg sendmsg(MSG_DEALLOC_VGPRS)
	s_endpgm
	.section	.rodata,"a",@progbits
	.p2align	6, 0x0
	.amdhsa_kernel _ZL26rocblas_hemvn_kernel_upperILb1ELi64ELi4ELi33ELi32ELi16El19rocblas_complex_numIdEPKPKS1_PS1_EviT6_lT7_lT5_lS8_lS9_lS7_lT8_i
		.amdhsa_group_segment_fixed_size 19200
		.amdhsa_private_segment_fixed_size 20
		.amdhsa_kernarg_size 392
		.amdhsa_user_sgpr_count 14
		.amdhsa_user_sgpr_dispatch_ptr 0
		.amdhsa_user_sgpr_queue_ptr 0
		.amdhsa_user_sgpr_kernarg_segment_ptr 1
		.amdhsa_user_sgpr_dispatch_id 0
		.amdhsa_user_sgpr_private_segment_size 0
		.amdhsa_wavefront_size32 1
		.amdhsa_uses_dynamic_stack 0
		.amdhsa_enable_private_segment 1
		.amdhsa_system_sgpr_workgroup_id_x 1
		.amdhsa_system_sgpr_workgroup_id_y 0
		.amdhsa_system_sgpr_workgroup_id_z 1
		.amdhsa_system_sgpr_workgroup_info 0
		.amdhsa_system_vgpr_workitem_id 1
		.amdhsa_next_free_vgpr 256
		.amdhsa_next_free_sgpr 30
		.amdhsa_reserve_vcc 1
		.amdhsa_float_round_mode_32 0
		.amdhsa_float_round_mode_16_64 0
		.amdhsa_float_denorm_mode_32 3
		.amdhsa_float_denorm_mode_16_64 3
		.amdhsa_dx10_clamp 1
		.amdhsa_ieee_mode 1
		.amdhsa_fp16_overflow 0
		.amdhsa_workgroup_processor_mode 1
		.amdhsa_memory_ordered 1
		.amdhsa_forward_progress 0
		.amdhsa_shared_vgpr_count 0
		.amdhsa_exception_fp_ieee_invalid_op 0
		.amdhsa_exception_fp_denorm_src 0
		.amdhsa_exception_fp_ieee_div_zero 0
		.amdhsa_exception_fp_ieee_overflow 0
		.amdhsa_exception_fp_ieee_underflow 0
		.amdhsa_exception_fp_ieee_inexact 0
		.amdhsa_exception_int_div_zero 0
	.end_amdhsa_kernel
	.section	.text._ZL26rocblas_hemvn_kernel_upperILb1ELi64ELi4ELi33ELi32ELi16El19rocblas_complex_numIdEPKPKS1_PS1_EviT6_lT7_lT5_lS8_lS9_lS7_lT8_i,"axG",@progbits,_ZL26rocblas_hemvn_kernel_upperILb1ELi64ELi4ELi33ELi32ELi16El19rocblas_complex_numIdEPKPKS1_PS1_EviT6_lT7_lT5_lS8_lS9_lS7_lT8_i,comdat
.Lfunc_end52:
	.size	_ZL26rocblas_hemvn_kernel_upperILb1ELi64ELi4ELi33ELi32ELi16El19rocblas_complex_numIdEPKPKS1_PS1_EviT6_lT7_lT5_lS8_lS9_lS7_lT8_i, .Lfunc_end52-_ZL26rocblas_hemvn_kernel_upperILb1ELi64ELi4ELi33ELi32ELi16El19rocblas_complex_numIdEPKPKS1_PS1_EviT6_lT7_lT5_lS8_lS9_lS7_lT8_i
                                        ; -- End function
	.section	.AMDGPU.csdata,"",@progbits
; Kernel info:
; codeLenInByte = 12860
; NumSgprs: 32
; NumVgprs: 256
; ScratchSize: 20
; MemoryBound: 1
; FloatMode: 240
; IeeeMode: 1
; LDSByteSize: 19200 bytes/workgroup (compile time only)
; SGPRBlocks: 3
; VGPRBlocks: 31
; NumSGPRsForWavesPerEU: 32
; NumVGPRsForWavesPerEU: 256
; Occupancy: 5
; WaveLimiterHint : 0
; COMPUTE_PGM_RSRC2:SCRATCH_EN: 1
; COMPUTE_PGM_RSRC2:USER_SGPR: 14
; COMPUTE_PGM_RSRC2:TRAP_HANDLER: 0
; COMPUTE_PGM_RSRC2:TGID_X_EN: 1
; COMPUTE_PGM_RSRC2:TGID_Y_EN: 0
; COMPUTE_PGM_RSRC2:TGID_Z_EN: 1
; COMPUTE_PGM_RSRC2:TIDIG_COMP_CNT: 1
	.section	.text._ZL36rocblas_hemvn_kernel_upper_block_sumILi64El19rocblas_complex_numIdEPKPS1_S1_EviT1_lS5_lT2_lT0_lPT3_i,"axG",@progbits,_ZL36rocblas_hemvn_kernel_upper_block_sumILi64El19rocblas_complex_numIdEPKPS1_S1_EviT1_lS5_lT2_lT0_lPT3_i,comdat
	.globl	_ZL36rocblas_hemvn_kernel_upper_block_sumILi64El19rocblas_complex_numIdEPKPS1_S1_EviT1_lS5_lT2_lT0_lPT3_i ; -- Begin function _ZL36rocblas_hemvn_kernel_upper_block_sumILi64El19rocblas_complex_numIdEPKPS1_S1_EviT1_lS5_lT2_lT0_lPT3_i
	.p2align	8
	.type	_ZL36rocblas_hemvn_kernel_upper_block_sumILi64El19rocblas_complex_numIdEPKPS1_S1_EviT1_lS5_lT2_lT0_lPT3_i,@function
_ZL36rocblas_hemvn_kernel_upper_block_sumILi64El19rocblas_complex_numIdEPKPS1_S1_EviT1_lS5_lT2_lT0_lPT3_i: ; @_ZL36rocblas_hemvn_kernel_upper_block_sumILi64El19rocblas_complex_numIdEPKPS1_S1_EviT1_lS5_lT2_lT0_lPT3_i
; %bb.0:
	s_clause 0x1
	s_load_b128 s[8:11], s[0:1], 0x8
	s_load_b128 s[4:7], s[0:1], 0x20
	s_mov_b32 s12, s15
	s_waitcnt lgkmcnt(0)
	v_cmp_neq_f64_e64 s2, s[8:9], 0
	v_cmp_neq_f64_e64 s3, s[10:11], 0
	s_delay_alu instid0(VALU_DEP_1)
	s_or_b32 s2, s2, s3
	s_mov_b32 s3, -1
	s_and_b32 vcc_lo, exec_lo, s2
	s_cbranch_vccnz .LBB53_2
; %bb.1:
	v_cmp_neq_f64_e64 s3, s[4:5], 1.0
	v_cmp_neq_f64_e64 s13, s[6:7], 0
	s_delay_alu instid0(VALU_DEP_1)
	s_or_b32 s3, s3, s13
.LBB53_2:
	s_delay_alu instid0(SALU_CYCLE_1)
	s_and_not1_b32 vcc_lo, exec_lo, s3
	s_cbranch_vccnz .LBB53_22
; %bb.3:
	s_clause 0x1
	s_load_b64 s[22:23], s[0:1], 0x38
	s_load_b32 s20, s[0:1], 0x0
	s_mov_b32 s13, 0
	s_xor_b32 s21, s2, -1
	s_lshl_b64 s[24:25], s[12:13], 3
	s_load_b128 s[16:19], s[0:1], 0x40
	v_lshl_or_b32 v4, s14, 6, v0
	s_waitcnt lgkmcnt(0)
	s_add_u32 s2, s22, s24
	s_addc_u32 s3, s23, s25
	s_load_b64 s[22:23], s[2:3], 0x0
	v_cmp_gt_i32_e64 s2, s20, v4
	s_lshl_b64 s[16:17], s[16:17], 4
	s_waitcnt lgkmcnt(0)
	s_add_u32 s3, s22, s16
	s_addc_u32 s15, s23, s17
	s_and_not1_b32 vcc_lo, exec_lo, s21
	s_cbranch_vccnz .LBB53_8
; %bb.4:
	s_mov_b32 s16, 0
                                        ; implicit-def: $vgpr2_vgpr3
                                        ; implicit-def: $vgpr5_vgpr6
	s_and_saveexec_b32 s17, s2
	s_cbranch_execz .LBB53_9
; %bb.5:
	v_cmp_neq_f64_e64 s2, s[4:5], 0
	v_cmp_neq_f64_e64 s13, s[6:7], 0
	v_ashrrev_i32_e32 v0, 31, v4
	v_mul_lo_u32 v1, v4, s19
	v_mad_u64_u32 v[5:6], null, v4, s18, 0
	v_mov_b32_e32 v2, 0
	s_delay_alu instid0(VALU_DEP_4) | instskip(SKIP_1) | instid1(VALU_DEP_2)
	v_mul_lo_u32 v0, v0, s18
	v_mov_b32_e32 v3, 0
	v_add3_u32 v6, v6, v1, v0
	s_delay_alu instid0(VALU_DEP_2) | instskip(SKIP_1) | instid1(SALU_CYCLE_1)
	v_dual_mov_b32 v0, v2 :: v_dual_mov_b32 v1, v3
	s_or_b32 s2, s2, s13
	s_and_not1_b32 vcc_lo, exec_lo, s2
	s_cbranch_vccnz .LBB53_7
; %bb.6:
	v_lshlrev_b64 v[0:1], 4, v[5:6]
	s_delay_alu instid0(VALU_DEP_1) | instskip(NEXT) | instid1(VALU_DEP_2)
	v_add_co_u32 v0, vcc_lo, s3, v0
	v_add_co_ci_u32_e32 v1, vcc_lo, s15, v1, vcc_lo
	global_load_b128 v[7:10], v[0:1], off
	s_waitcnt vmcnt(0)
	v_mul_f64 v[0:1], s[6:7], v[9:10]
	v_mul_f64 v[2:3], s[4:5], v[9:10]
	s_delay_alu instid0(VALU_DEP_2) | instskip(NEXT) | instid1(VALU_DEP_2)
	v_fma_f64 v[0:1], s[4:5], v[7:8], -v[0:1]
	v_fma_f64 v[2:3], s[6:7], v[7:8], v[2:3]
.LBB53_7:
	s_mov_b32 s13, exec_lo
	s_or_b32 exec_lo, exec_lo, s17
	s_delay_alu instid0(SALU_CYCLE_1)
	s_and_b32 vcc_lo, exec_lo, s16
	s_cbranch_vccnz .LBB53_10
	s_branch .LBB53_20
.LBB53_8:
                                        ; implicit-def: $vgpr2_vgpr3
                                        ; implicit-def: $vgpr5_vgpr6
	s_cbranch_execnz .LBB53_10
	s_branch .LBB53_20
.LBB53_9:
	s_or_b32 exec_lo, exec_lo, s17
	s_delay_alu instid0(SALU_CYCLE_1)
	s_and_b32 vcc_lo, exec_lo, s16
	s_cbranch_vccz .LBB53_20
.LBB53_10:
	s_mov_b32 s2, exec_lo
                                        ; implicit-def: $vgpr2_vgpr3
                                        ; implicit-def: $vgpr5_vgpr6
	v_cmpx_gt_i32_e64 s20, v4
	s_cbranch_execz .LBB53_19
; %bb.11:
	v_mov_b32_e32 v0, 0
	v_mov_b32_e32 v1, 0
	v_ashrrev_i32_e32 v5, 31, v4
	s_cmp_lt_i32 s14, 0
	s_delay_alu instid0(VALU_DEP_2)
	v_dual_mov_b32 v3, v1 :: v_dual_mov_b32 v2, v0
	s_cbranch_scc1 .LBB53_14
; %bb.12:
	s_clause 0x1
	s_load_b32 s16, s[0:1], 0x68
	s_load_b64 s[0:1], s[0:1], 0x58
	s_ashr_i32 s21, s20, 31
	s_mul_hi_u32 s17, s20, s12
	s_mul_i32 s22, s21, s12
	s_mul_i32 s12, s20, s12
	s_add_i32 s17, s17, s22
	v_lshlrev_b64 v[2:3], 4, v[4:5]
	s_add_i32 s14, s14, 1
	v_mov_b32_e32 v0, 0
	v_mov_b32_e32 v1, 0
	s_waitcnt lgkmcnt(0)
	s_mul_i32 s17, s17, s16
	s_mul_hi_u32 s22, s12, s16
	s_mul_i32 s16, s12, s16
	s_add_i32 s17, s22, s17
	s_delay_alu instid0(SALU_CYCLE_1) | instskip(NEXT) | instid1(SALU_CYCLE_1)
	s_lshl_b64 s[16:17], s[16:17], 4
	s_add_u32 s0, s0, s16
	s_addc_u32 s1, s1, s17
	v_add_co_u32 v2, vcc_lo, s0, v2
	v_add_co_ci_u32_e32 v3, vcc_lo, s1, v3, vcc_lo
	s_lshl_b64 s[0:1], s[20:21], 4
	s_delay_alu instid0(VALU_DEP_2) | instskip(NEXT) | instid1(VALU_DEP_2)
	v_add_co_u32 v6, vcc_lo, v2, 8
	v_add_co_ci_u32_e32 v7, vcc_lo, 0, v3, vcc_lo
	v_dual_mov_b32 v3, v1 :: v_dual_mov_b32 v2, v0
.LBB53_13:                              ; =>This Inner Loop Header: Depth=1
	global_load_b128 v[8:11], v[6:7], off offset:-8
	v_add_co_u32 v6, vcc_lo, v6, s0
	v_add_co_ci_u32_e32 v7, vcc_lo, s1, v7, vcc_lo
	s_add_i32 s14, s14, -1
	s_delay_alu instid0(SALU_CYCLE_1)
	s_cmp_eq_u32 s14, 0
	s_waitcnt vmcnt(0)
	v_add_f64 v[2:3], v[2:3], v[8:9]
	v_add_f64 v[0:1], v[0:1], v[10:11]
	s_cbranch_scc0 .LBB53_13
.LBB53_14:
	s_delay_alu instid0(VALU_DEP_1) | instskip(SKIP_3) | instid1(VALU_DEP_4)
	v_mul_f64 v[6:7], s[10:11], v[0:1]
	v_mul_f64 v[8:9], s[8:9], v[0:1]
	v_cmp_neq_f64_e64 s0, s[4:5], 0
	v_cmp_neq_f64_e64 s1, s[6:7], 0
	v_fma_f64 v[0:1], s[8:9], v[2:3], -v[6:7]
	s_delay_alu instid0(VALU_DEP_4) | instskip(SKIP_3) | instid1(SALU_CYCLE_1)
	v_fma_f64 v[2:3], s[10:11], v[2:3], v[8:9]
	v_mul_lo_u32 v7, v5, s18
	v_mul_lo_u32 v8, v4, s19
	s_or_b32 s0, s0, s1
	s_and_not1_b32 vcc_lo, exec_lo, s0
	s_cbranch_vccz .LBB53_16
; %bb.15:
	v_mad_u64_u32 v[5:6], null, v4, s18, 0
	s_delay_alu instid0(VALU_DEP_1)
	v_add3_u32 v6, v6, v8, v7
	s_cbranch_execz .LBB53_17
	s_branch .LBB53_18
.LBB53_16:
                                        ; implicit-def: $vgpr5_vgpr6
.LBB53_17:
	v_mad_u64_u32 v[5:6], null, v4, s18, 0
	s_delay_alu instid0(VALU_DEP_1) | instskip(NEXT) | instid1(VALU_DEP_1)
	v_add3_u32 v6, v6, v8, v7
	v_lshlrev_b64 v[7:8], 4, v[5:6]
	s_delay_alu instid0(VALU_DEP_1) | instskip(NEXT) | instid1(VALU_DEP_2)
	v_add_co_u32 v7, vcc_lo, s3, v7
	v_add_co_ci_u32_e32 v8, vcc_lo, s15, v8, vcc_lo
	global_load_b128 v[7:10], v[7:8], off
	s_waitcnt vmcnt(0)
	v_mul_f64 v[11:12], s[6:7], v[9:10]
	v_mul_f64 v[9:10], s[4:5], v[9:10]
	s_delay_alu instid0(VALU_DEP_2) | instskip(NEXT) | instid1(VALU_DEP_2)
	v_fma_f64 v[11:12], s[4:5], v[7:8], -v[11:12]
	v_fma_f64 v[7:8], s[6:7], v[7:8], v[9:10]
	s_delay_alu instid0(VALU_DEP_2) | instskip(NEXT) | instid1(VALU_DEP_2)
	v_add_f64 v[0:1], v[0:1], v[11:12]
	v_add_f64 v[2:3], v[2:3], v[7:8]
.LBB53_18:
	s_or_b32 s13, s13, exec_lo
.LBB53_19:
	s_or_b32 exec_lo, exec_lo, s2
.LBB53_20:
	s_and_saveexec_b32 s0, s13
	s_cbranch_execz .LBB53_22
; %bb.21:
	v_lshlrev_b64 v[4:5], 4, v[5:6]
	s_delay_alu instid0(VALU_DEP_1) | instskip(NEXT) | instid1(VALU_DEP_2)
	v_add_co_u32 v4, vcc_lo, s3, v4
	v_add_co_ci_u32_e32 v5, vcc_lo, s15, v5, vcc_lo
	global_store_b128 v[4:5], v[0:3], off
.LBB53_22:
	s_nop 0
	s_sendmsg sendmsg(MSG_DEALLOC_VGPRS)
	s_endpgm
	.section	.rodata,"a",@progbits
	.p2align	6, 0x0
	.amdhsa_kernel _ZL36rocblas_hemvn_kernel_upper_block_sumILi64El19rocblas_complex_numIdEPKPS1_S1_EviT1_lS5_lT2_lT0_lPT3_i
		.amdhsa_group_segment_fixed_size 0
		.amdhsa_private_segment_fixed_size 0
		.amdhsa_kernarg_size 360
		.amdhsa_user_sgpr_count 14
		.amdhsa_user_sgpr_dispatch_ptr 0
		.amdhsa_user_sgpr_queue_ptr 0
		.amdhsa_user_sgpr_kernarg_segment_ptr 1
		.amdhsa_user_sgpr_dispatch_id 0
		.amdhsa_user_sgpr_private_segment_size 0
		.amdhsa_wavefront_size32 1
		.amdhsa_uses_dynamic_stack 0
		.amdhsa_enable_private_segment 0
		.amdhsa_system_sgpr_workgroup_id_x 1
		.amdhsa_system_sgpr_workgroup_id_y 0
		.amdhsa_system_sgpr_workgroup_id_z 1
		.amdhsa_system_sgpr_workgroup_info 0
		.amdhsa_system_vgpr_workitem_id 0
		.amdhsa_next_free_vgpr 13
		.amdhsa_next_free_sgpr 26
		.amdhsa_reserve_vcc 1
		.amdhsa_float_round_mode_32 0
		.amdhsa_float_round_mode_16_64 0
		.amdhsa_float_denorm_mode_32 3
		.amdhsa_float_denorm_mode_16_64 3
		.amdhsa_dx10_clamp 1
		.amdhsa_ieee_mode 1
		.amdhsa_fp16_overflow 0
		.amdhsa_workgroup_processor_mode 1
		.amdhsa_memory_ordered 1
		.amdhsa_forward_progress 0
		.amdhsa_shared_vgpr_count 0
		.amdhsa_exception_fp_ieee_invalid_op 0
		.amdhsa_exception_fp_denorm_src 0
		.amdhsa_exception_fp_ieee_div_zero 0
		.amdhsa_exception_fp_ieee_overflow 0
		.amdhsa_exception_fp_ieee_underflow 0
		.amdhsa_exception_fp_ieee_inexact 0
		.amdhsa_exception_int_div_zero 0
	.end_amdhsa_kernel
	.section	.text._ZL36rocblas_hemvn_kernel_upper_block_sumILi64El19rocblas_complex_numIdEPKPS1_S1_EviT1_lS5_lT2_lT0_lPT3_i,"axG",@progbits,_ZL36rocblas_hemvn_kernel_upper_block_sumILi64El19rocblas_complex_numIdEPKPS1_S1_EviT1_lS5_lT2_lT0_lPT3_i,comdat
.Lfunc_end53:
	.size	_ZL36rocblas_hemvn_kernel_upper_block_sumILi64El19rocblas_complex_numIdEPKPS1_S1_EviT1_lS5_lT2_lT0_lPT3_i, .Lfunc_end53-_ZL36rocblas_hemvn_kernel_upper_block_sumILi64El19rocblas_complex_numIdEPKPS1_S1_EviT1_lS5_lT2_lT0_lPT3_i
                                        ; -- End function
	.section	.AMDGPU.csdata,"",@progbits
; Kernel info:
; codeLenInByte = 944
; NumSgprs: 28
; NumVgprs: 13
; ScratchSize: 0
; MemoryBound: 0
; FloatMode: 240
; IeeeMode: 1
; LDSByteSize: 0 bytes/workgroup (compile time only)
; SGPRBlocks: 3
; VGPRBlocks: 1
; NumSGPRsForWavesPerEU: 28
; NumVGPRsForWavesPerEU: 13
; Occupancy: 16
; WaveLimiterHint : 1
; COMPUTE_PGM_RSRC2:SCRATCH_EN: 0
; COMPUTE_PGM_RSRC2:USER_SGPR: 14
; COMPUTE_PGM_RSRC2:TRAP_HANDLER: 0
; COMPUTE_PGM_RSRC2:TGID_X_EN: 1
; COMPUTE_PGM_RSRC2:TGID_Y_EN: 0
; COMPUTE_PGM_RSRC2:TGID_Z_EN: 1
; COMPUTE_PGM_RSRC2:TIDIG_COMP_CNT: 0
	.section	.text._ZL26rocblas_hemvn_kernel_upperILb1ELi64ELi4ELi33ELi32ELi16Ei19rocblas_complex_numIdEPKPKS1_PS1_EviT6_lT7_lT5_lS8_lS9_lS7_lT8_i,"axG",@progbits,_ZL26rocblas_hemvn_kernel_upperILb1ELi64ELi4ELi33ELi32ELi16Ei19rocblas_complex_numIdEPKPKS1_PS1_EviT6_lT7_lT5_lS8_lS9_lS7_lT8_i,comdat
	.globl	_ZL26rocblas_hemvn_kernel_upperILb1ELi64ELi4ELi33ELi32ELi16Ei19rocblas_complex_numIdEPKPKS1_PS1_EviT6_lT7_lT5_lS8_lS9_lS7_lT8_i ; -- Begin function _ZL26rocblas_hemvn_kernel_upperILb1ELi64ELi4ELi33ELi32ELi16Ei19rocblas_complex_numIdEPKPKS1_PS1_EviT6_lT7_lT5_lS8_lS9_lS7_lT8_i
	.p2align	8
	.type	_ZL26rocblas_hemvn_kernel_upperILb1ELi64ELi4ELi33ELi32ELi16Ei19rocblas_complex_numIdEPKPKS1_PS1_EviT6_lT7_lT5_lS8_lS9_lS7_lT8_i,@function
_ZL26rocblas_hemvn_kernel_upperILb1ELi64ELi4ELi33ELi32ELi16Ei19rocblas_complex_numIdEPKPKS1_PS1_EviT6_lT7_lT5_lS8_lS9_lS7_lT8_i: ; @_ZL26rocblas_hemvn_kernel_upperILb1ELi64ELi4ELi33ELi32ELi16Ei19rocblas_complex_numIdEPKPKS1_PS1_EviT6_lT7_lT5_lS8_lS9_lS7_lT8_i
; %bb.0:
	s_load_b64 s[4:5], s[0:1], 0x94
	s_add_u32 s2, s0, 0x88
	s_addc_u32 s3, s1, 0
	s_waitcnt lgkmcnt(0)
	s_lshr_b32 s6, s4, 16
	s_and_b32 s4, s4, 0xffff
	s_and_b32 s5, s5, 0xffff
	s_mul_i32 s4, s6, s4
	s_delay_alu instid0(SALU_CYCLE_1) | instskip(NEXT) | instid1(SALU_CYCLE_1)
	s_mul_i32 s4, s4, s5
	s_cmpk_lg_i32 s4, 0x100
	s_cbranch_scc1 .LBB54_190
; %bb.1:
	s_load_b128 s[4:7], s[0:1], 0x8
	s_mov_b32 s12, s15
	s_waitcnt lgkmcnt(0)
	v_cmp_neq_f64_e64 s4, s[4:5], 0
	v_cmp_neq_f64_e64 s5, s[6:7], 0
	s_delay_alu instid0(VALU_DEP_1)
	s_or_b32 s6, s4, s5
	s_mov_b64 s[4:5], 0
	s_and_b32 vcc_lo, exec_lo, s6
	s_cbranch_vccnz .LBB54_3
; %bb.2:
	s_load_b128 s[8:11], s[0:1], 0x60
	s_waitcnt lgkmcnt(0)
	v_cmp_neq_f64_e64 s7, s[8:9], 1.0
	v_cmp_neq_f64_e64 s8, s[10:11], 0
	s_delay_alu instid0(VALU_DEP_1)
	s_or_b32 s7, s7, s8
	s_cbranch_execz .LBB54_4
	s_branch .LBB54_5
.LBB54_3:
	s_mov_b32 s7, 0
                                        ; implicit-def: $sgpr4_sgpr5
.LBB54_4:
	s_load_b128 s[8:11], s[0:1], 0x20
	s_mov_b32 s13, 0
	s_mov_b32 s7, -1
	s_lshl_b64 s[4:5], s[12:13], 3
	s_waitcnt lgkmcnt(0)
	s_add_u32 s4, s8, s4
	s_addc_u32 s5, s9, s5
	s_lshl_b64 s[8:9], s[10:11], 4
	s_load_b64 s[4:5], s[4:5], 0x0
	s_waitcnt lgkmcnt(0)
	s_add_u32 s4, s4, s8
	s_addc_u32 s5, s5, s9
.LBB54_5:
	s_and_not1_b32 vcc_lo, exec_lo, s7
	s_cbranch_vccnz .LBB54_190
; %bb.6:
	v_cndmask_b32_e64 v1, 0, 1, s6
	s_and_not1_b32 vcc_lo, exec_lo, s6
	s_mov_b64 s[6:7], 0
	s_cbranch_vccnz .LBB54_8
; %bb.7:
	s_load_b128 s[8:11], s[0:1], 0x40
	s_mov_b32 s13, 0
	s_delay_alu instid0(SALU_CYCLE_1)
	s_lshl_b64 s[6:7], s[12:13], 3
	s_waitcnt lgkmcnt(0)
	s_add_u32 s6, s8, s6
	s_addc_u32 s7, s9, s7
	s_lshl_b64 s[8:9], s[10:11], 4
	s_load_b64 s[6:7], s[6:7], 0x0
	s_waitcnt lgkmcnt(0)
	s_add_u32 s6, s6, s8
	s_addc_u32 s7, s7, s9
.LBB54_8:
	s_delay_alu instid0(VALU_DEP_1)
	v_cmp_ne_u32_e32 vcc_lo, 1, v1
	s_cbranch_vccnz .LBB54_190
; %bb.9:
	s_clause 0x1
	s_load_b32 s9, s[0:1], 0x50
	s_load_b32 s13, s[0:1], 0x0
	v_and_b32_e32 v170, 0x3ff, v0
	s_lshl_b32 s16, s14, 6
	s_load_b32 s15, s[2:3], 0x0
	v_bfe_u32 v0, v0, 10, 10
	s_delay_alu instid0(VALU_DEP_2)
	v_add_nc_u32_e32 v2, s16, v170
	scratch_store_b32 off, v0, off offset:8 ; 4-byte Folded Spill
	v_mov_b32_e32 v1, v2
	scratch_store_b64 off, v[1:2], off offset:12 ; 8-byte Folded Spill
	s_waitcnt lgkmcnt(0)
	v_mul_lo_u32 v1, v2, s9
	s_ashr_i32 s28, s13, 31
	s_delay_alu instid0(SALU_CYCLE_1) | instskip(SKIP_2) | instid1(SALU_CYCLE_1)
	s_lshr_b32 s2, s28, 26
	s_add_i32 s3, s15, -1
	s_add_i32 s2, s13, s2
	s_and_not1_b32 s2, s2, 63
	s_delay_alu instid0(VALU_DEP_1)
	v_ashrrev_i32_e32 v2, 31, v1
	s_sub_i32 s26, s13, s2
	v_cmp_eq_u32_e64 s2, 0, v0
	s_cmp_eq_u32 s14, s3
	s_cselect_b32 s10, s26, 0
	v_lshlrev_b64 v[1:2], 4, v[1:2]
	s_delay_alu instid0(VALU_DEP_1) | instskip(NEXT) | instid1(VALU_DEP_2)
	v_add_co_u32 v36, vcc_lo, s6, v1
	v_add_co_ci_u32_e32 v37, vcc_lo, s7, v2, vcc_lo
	s_mov_b32 s6, -1
	s_and_saveexec_b32 s3, s2
	s_cbranch_execz .LBB54_14
; %bb.10:
	v_cmp_le_i32_e32 vcc_lo, s10, v170
	s_cmp_lg_u32 s10, 0
	v_lshl_add_u32 v0, v170, 4, 0x4700
	s_cselect_b32 s7, -1, 0
	s_delay_alu instid0(SALU_CYCLE_1) | instskip(NEXT) | instid1(SALU_CYCLE_1)
	s_and_b32 s7, s7, vcc_lo
	s_and_saveexec_b32 s8, s7
	s_delay_alu instid0(SALU_CYCLE_1)
	s_xor_b32 s7, exec_lo, s8
	s_cbranch_execz .LBB54_12
; %bb.11:
	v_mov_b32_e32 v1, 0
	s_delay_alu instid0(VALU_DEP_1)
	v_mov_b32_e32 v2, v1
	v_mov_b32_e32 v3, v1
	;; [unrolled: 1-line block ×3, first 2 shown]
	ds_store_b128 v0, v[1:4]
                                        ; implicit-def: $vgpr0
.LBB54_12:
	s_and_not1_saveexec_b32 s7, s7
	s_cbranch_execz .LBB54_14
; %bb.13:
	flat_load_b128 v[1:4], v[36:37]
	s_waitcnt vmcnt(0) lgkmcnt(0)
	ds_store_2addr_b64 v0, v[1:2], v[3:4] offset1:1
.LBB54_14:
	s_or_b32 exec_lo, exec_lo, s3
	scratch_load_b32 v0, off, off offset:8  ; 4-byte Folded Reload
	s_load_b32 s18, s[0:1], 0x30
	v_and_b32_e32 v4, 31, v170
	s_ashr_i32 s17, s16, 31
	s_delay_alu instid0(SALU_CYCLE_1) | instskip(NEXT) | instid1(SALU_CYCLE_1)
	s_lshl_b64 s[20:21], s[16:17], 4
	s_add_u32 s3, s4, s20
	s_addc_u32 s7, s5, s21
	v_lshlrev_b32_e32 v11, 4, v4
	s_waitcnt lgkmcnt(0)
	s_mul_i32 s4, s16, s18
	s_delay_alu instid0(SALU_CYCLE_1) | instskip(NEXT) | instid1(SALU_CYCLE_1)
	s_ashr_i32 s5, s4, 31
	s_lshl_b64 s[4:5], s[4:5], 4
	s_delay_alu instid0(SALU_CYCLE_1)
	s_add_u32 s4, s4, s3
	s_addc_u32 s5, s5, s7
	s_cmp_eq_u32 s10, 0
	v_cmp_gt_i32_e64 s3, s10, v4
	s_cselect_b32 s27, -1, 0
	s_cmp_lg_u32 s10, 0
	s_cselect_b32 s17, -1, 0
	s_delay_alu instid0(SALU_CYCLE_1) | instskip(SKIP_2) | instid1(VALU_DEP_1)
	s_and_b32 vcc_lo, exec_lo, s17
	s_waitcnt vmcnt(0)
	v_lshl_add_u32 v42, v0, 6, v170
	v_lshrrev_b32_e32 v9, 5, v42
	s_delay_alu instid0(VALU_DEP_1) | instskip(SKIP_1) | instid1(VALU_DEP_2)
	v_mad_u64_u32 v[0:1], null, v9, s18, v[4:5]
	v_mul_u32_u24_e32 v10, 33, v9
	v_ashrrev_i32_e32 v1, 31, v0
	s_delay_alu instid0(VALU_DEP_1) | instskip(NEXT) | instid1(VALU_DEP_1)
	v_lshlrev_b64 v[38:39], 4, v[0:1]
	v_add_co_u32 v0, s4, s4, v38
	s_delay_alu instid0(VALU_DEP_1)
	v_add_co_ci_u32_e64 v1, s4, s5, v39, s4
	s_cbranch_vccz .LBB54_32
; %bb.15:
	s_delay_alu instid0(VALU_DEP_2) | instskip(SKIP_1) | instid1(VALU_DEP_2)
	v_sub_co_u32 v2, vcc_lo, v0, v11
	s_ashr_i32 s11, s10, 31
	v_subrev_co_ci_u32_e32 v3, vcc_lo, 0, v1, vcc_lo
	s_lshl_b64 s[4:5], s[10:11], 4
	v_add_lshl_u32 v5, v10, v4, 4
	v_add_co_u32 v2, vcc_lo, v2, s4
	s_delay_alu instid0(VALU_DEP_3) | instskip(SKIP_1) | instid1(VALU_DEP_2)
	v_add_co_ci_u32_e32 v3, vcc_lo, s5, v3, vcc_lo
	s_mov_b32 s6, exec_lo
	v_add_co_u32 v2, vcc_lo, v2, -16
	s_delay_alu instid0(VALU_DEP_2) | instskip(NEXT) | instid1(VALU_DEP_2)
	v_add_co_ci_u32_e32 v3, vcc_lo, -1, v3, vcc_lo
	v_cndmask_b32_e64 v2, v2, v0, s3
	s_delay_alu instid0(VALU_DEP_2)
	v_cndmask_b32_e64 v3, v3, v1, s3
	v_cmpx_le_i32_e64 s10, v9
	s_xor_b32 s6, exec_lo, s6
	s_cbranch_execz .LBB54_17
; %bb.16:
	v_mov_b32_e32 v12, 0
	s_delay_alu instid0(VALU_DEP_1)
	v_mov_b32_e32 v13, v12
	v_mov_b32_e32 v14, v12
	;; [unrolled: 1-line block ×3, first 2 shown]
	ds_store_b128 v5, v[12:15]
.LBB54_17:
	s_and_not1_saveexec_b32 s6, s6
	s_cbranch_execz .LBB54_19
; %bb.18:
	flat_load_b128 v[12:15], v[2:3]
	s_waitcnt vmcnt(0) lgkmcnt(0)
	ds_store_2addr_b64 v5, v[12:13], v[14:15] offset1:1
.LBB54_19:
	s_or_b32 exec_lo, exec_lo, s6
	v_add_nc_u32_e32 v6, 8, v9
	s_mov_b32 s6, exec_lo
	s_delay_alu instid0(VALU_DEP_1)
	v_cmpx_le_i32_e64 s10, v6
	s_xor_b32 s6, exec_lo, s6
	s_cbranch_execz .LBB54_21
; %bb.20:
	v_mul_u32_u24_e32 v6, 33, v6
	v_mov_b32_e32 v12, 0
	s_delay_alu instid0(VALU_DEP_2) | instskip(NEXT) | instid1(VALU_DEP_2)
	v_add_lshl_u32 v6, v6, v4, 4
	v_mov_b32_e32 v13, v12
	v_mov_b32_e32 v14, v12
	;; [unrolled: 1-line block ×3, first 2 shown]
	ds_store_b128 v6, v[12:15]
.LBB54_21:
	s_and_not1_saveexec_b32 s6, s6
	s_cbranch_execz .LBB54_23
; %bb.22:
	s_lshl_b32 s20, s18, 3
	s_delay_alu instid0(SALU_CYCLE_1) | instskip(NEXT) | instid1(SALU_CYCLE_1)
	s_ashr_i32 s21, s20, 31
	s_lshl_b64 s[20:21], s[20:21], 4
	s_delay_alu instid0(SALU_CYCLE_1)
	v_add_co_u32 v6, vcc_lo, v2, s20
	v_add_co_ci_u32_e32 v7, vcc_lo, s21, v3, vcc_lo
	flat_load_b128 v[12:15], v[6:7]
	v_add_nc_u32_e32 v6, 0x1080, v5
	s_waitcnt vmcnt(0) lgkmcnt(0)
	ds_store_2addr_b64 v6, v[12:13], v[14:15] offset1:1
.LBB54_23:
	s_or_b32 exec_lo, exec_lo, s6
	v_add_nc_u32_e32 v6, 16, v9
	s_mov_b32 s6, exec_lo
	s_delay_alu instid0(VALU_DEP_1)
	v_cmpx_le_i32_e64 s10, v6
	s_xor_b32 s6, exec_lo, s6
	s_cbranch_execz .LBB54_25
; %bb.24:
	v_mul_u32_u24_e32 v6, 33, v6
	v_mov_b32_e32 v12, 0
	s_delay_alu instid0(VALU_DEP_2) | instskip(NEXT) | instid1(VALU_DEP_2)
	v_add_lshl_u32 v6, v6, v4, 4
	v_mov_b32_e32 v13, v12
	v_mov_b32_e32 v14, v12
	;; [unrolled: 1-line block ×3, first 2 shown]
	ds_store_b128 v6, v[12:15]
.LBB54_25:
	s_and_not1_saveexec_b32 s6, s6
	s_cbranch_execz .LBB54_27
; %bb.26:
	s_lshl_b32 s20, s18, 4
	s_delay_alu instid0(SALU_CYCLE_1) | instskip(NEXT) | instid1(SALU_CYCLE_1)
	s_ashr_i32 s21, s20, 31
	s_lshl_b64 s[20:21], s[20:21], 4
	s_delay_alu instid0(SALU_CYCLE_1)
	v_add_co_u32 v6, vcc_lo, v2, s20
	v_add_co_ci_u32_e32 v7, vcc_lo, s21, v3, vcc_lo
	flat_load_b128 v[12:15], v[6:7]
	v_add_nc_u32_e32 v6, 0x2100, v5
	s_waitcnt vmcnt(0) lgkmcnt(0)
	ds_store_2addr_b64 v6, v[12:13], v[14:15] offset1:1
.LBB54_27:
	s_or_b32 exec_lo, exec_lo, s6
	v_add_nc_u32_e32 v6, 24, v9
	s_mov_b32 s6, exec_lo
	s_delay_alu instid0(VALU_DEP_1)
	v_cmpx_le_i32_e64 s10, v6
	s_xor_b32 s6, exec_lo, s6
	s_cbranch_execz .LBB54_29
; %bb.28:
	v_mov_b32_e32 v12, 0
	s_delay_alu instid0(VALU_DEP_1)
	v_mov_b32_e32 v13, v12
	v_mov_b32_e32 v14, v12
	;; [unrolled: 1-line block ×3, first 2 shown]
	ds_store_b128 v5, v[12:15] offset:12672
                                        ; implicit-def: $vgpr5
.LBB54_29:
	s_and_not1_saveexec_b32 s6, s6
	s_cbranch_execz .LBB54_31
; %bb.30:
	s_mul_i32 s20, s18, 24
	v_add_nc_u32_e32 v5, 0x3180, v5
	s_ashr_i32 s21, s20, 31
	s_delay_alu instid0(SALU_CYCLE_1) | instskip(NEXT) | instid1(SALU_CYCLE_1)
	s_lshl_b64 s[20:21], s[20:21], 4
	v_add_co_u32 v6, vcc_lo, v2, s20
	v_add_co_ci_u32_e32 v7, vcc_lo, s21, v3, vcc_lo
	flat_load_b128 v[12:15], v[6:7]
	s_waitcnt vmcnt(0) lgkmcnt(0)
	ds_store_2addr_b64 v5, v[12:13], v[14:15] offset1:1
.LBB54_31:
	s_or_b32 exec_lo, exec_lo, s6
	v_add_co_u32 v2, vcc_lo, v2, v11
	v_add_co_ci_u32_e32 v3, vcc_lo, 0, v3, vcc_lo
	s_delay_alu instid0(VALU_DEP_2) | instskip(NEXT) | instid1(VALU_DEP_2)
	v_sub_co_u32 v2, vcc_lo, v2, s4
	v_subrev_co_ci_u32_e32 v3, vcc_lo, s5, v3, vcc_lo
	s_delay_alu instid0(VALU_DEP_2) | instskip(NEXT) | instid1(VALU_DEP_2)
	v_add_co_u32 v2, vcc_lo, v2, 16
	v_add_co_ci_u32_e32 v3, vcc_lo, 0, v3, vcc_lo
	s_delay_alu instid0(VALU_DEP_2) | instskip(NEXT) | instid1(VALU_DEP_2)
	v_cndmask_b32_e64 v5, v2, v0, s3
	v_cndmask_b32_e64 v6, v3, v1, s3
	s_branch .LBB54_34
.LBB54_32:
                                        ; implicit-def: $vgpr5_vgpr6
	s_and_b32 vcc_lo, exec_lo, s6
	s_cbranch_vccz .LBB54_34
; %bb.33:
	flat_load_b128 v[5:8], v[0:1]
	s_lshl_b32 s4, s18, 3
	v_add_lshl_u32 v16, v10, v4, 4
	s_ashr_i32 s5, s4, 31
	s_ashr_i32 s19, s18, 31
	s_lshl_b64 s[4:5], s[4:5], 4
	s_delay_alu instid0(SALU_CYCLE_1)
	v_add_co_u32 v2, vcc_lo, v0, s4
	v_add_co_ci_u32_e32 v3, vcc_lo, s5, v1, vcc_lo
	s_lshl_b64 s[4:5], s[18:19], 7
	v_add_nc_u32_e32 v12, 0x1080, v16
	s_waitcnt vmcnt(0) lgkmcnt(0)
	ds_store_2addr_b64 v16, v[5:6], v[7:8] offset1:1
	flat_load_b128 v[5:8], v[2:3]
	v_add_co_u32 v2, vcc_lo, v2, s4
	v_add_co_ci_u32_e32 v3, vcc_lo, s5, v3, vcc_lo
	s_waitcnt vmcnt(0) lgkmcnt(0)
	ds_store_2addr_b64 v12, v[5:6], v[7:8] offset1:1
	flat_load_b128 v[5:8], v[2:3]
	v_add_co_u32 v2, vcc_lo, v2, s4
	v_add_nc_u32_e32 v12, 0x2100, v16
	v_add_co_ci_u32_e32 v3, vcc_lo, s5, v3, vcc_lo
	s_waitcnt vmcnt(0) lgkmcnt(0)
	ds_store_2addr_b64 v12, v[5:6], v[7:8] offset1:1
	flat_load_b128 v[12:15], v[2:3]
	v_dual_mov_b32 v6, v1 :: v_dual_mov_b32 v5, v0
	v_add_nc_u32_e32 v2, 0x3180, v16
	s_waitcnt vmcnt(0) lgkmcnt(0)
	ds_store_2addr_b64 v2, v[12:13], v[14:15] offset1:1
.LBB54_34:
	v_lshlrev_b32_e32 v17, 2, v9
	s_waitcnt lgkmcnt(0)
	s_waitcnt_vscnt null, 0x0
	s_barrier
	buffer_gl0_inv
	v_cmp_le_u32_e64 s4, v17, v4
	s_delay_alu instid0(VALU_DEP_1) | instskip(NEXT) | instid1(SALU_CYCLE_1)
	s_and_saveexec_b32 s3, s4
	s_xor_b32 s3, exec_lo, s3
	s_cbranch_execz .LBB54_38
; %bb.35:
	s_mov_b32 s5, exec_lo
	v_cmpx_eq_u32_e64 v17, v4
	s_cbranch_execz .LBB54_37
; %bb.36:
	v_mul_u32_u24_e32 v1, 34, v4
	v_mov_b32_e32 v0, 0
	s_delay_alu instid0(VALU_DEP_1)
	v_dual_mov_b32 v1, v0 :: v_dual_lshlrev_b32 v2, 4, v1
	ds_store_b64 v2, v[0:1] offset:8
.LBB54_37:
	s_or_b32 exec_lo, exec_lo, s5
.LBB54_38:
	s_or_saveexec_b32 s3, s3
	v_mul_u32_u24_e32 v12, 33, v4
	v_mul_u32_u24_e32 v1, 0x84, v9
	s_delay_alu instid0(VALU_DEP_2)
	v_add_lshl_u32 v15, v17, v12, 4
	s_xor_b32 exec_lo, exec_lo, s3
	s_cbranch_execz .LBB54_40
; %bb.39:
	s_delay_alu instid0(VALU_DEP_2)
	v_add_lshl_u32 v0, v1, v4, 4
	ds_load_b128 v[18:21], v0
	s_waitcnt lgkmcnt(0)
	v_xor_b32_e32 v21, 0x80000000, v21
	ds_store_b128 v15, v[18:21]
.LBB54_40:
	s_or_b32 exec_lo, exec_lo, s3
	v_or_b32_e32 v16, 1, v17
	v_cmp_ge_u32_e64 s5, v17, v4
	s_delay_alu instid0(VALU_DEP_2) | instskip(NEXT) | instid1(VALU_DEP_2)
	v_mul_u32_u24_e32 v0, 33, v16
	s_and_saveexec_b32 s3, s5
	s_delay_alu instid0(SALU_CYCLE_1)
	s_xor_b32 s3, exec_lo, s3
	s_cbranch_execz .LBB54_42
; %bb.41:
	s_delay_alu instid0(VALU_DEP_1)
	v_add_lshl_u32 v2, v0, v4, 4
	ds_load_b128 v[18:21], v2
	s_waitcnt lgkmcnt(0)
	v_xor_b32_e32 v21, 0x80000000, v21
	ds_store_b128 v15, v[18:21] offset:16
.LBB54_42:
	s_and_not1_saveexec_b32 s3, s3
	s_cbranch_execz .LBB54_46
; %bb.43:
	s_mov_b32 s6, exec_lo
	v_cmpx_eq_u32_e64 v16, v4
	s_cbranch_execz .LBB54_45
; %bb.44:
	v_mul_u32_u24_e32 v3, 34, v4
	s_delay_alu instid0(VALU_DEP_1) | instskip(NEXT) | instid1(VALU_DEP_1)
	v_dual_mov_b32 v2, 0 :: v_dual_lshlrev_b32 v7, 4, v3
	v_mov_b32_e32 v3, v2
	ds_store_b64 v7, v[2:3] offset:8
.LBB54_45:
	s_or_b32 exec_lo, exec_lo, s6
.LBB54_46:
	s_delay_alu instid0(SALU_CYCLE_1) | instskip(SKIP_1) | instid1(VALU_DEP_1)
	s_or_b32 exec_lo, exec_lo, s3
	v_or_b32_e32 v18, 2, v17
	v_cmp_le_u32_e64 s6, v18, v4
	s_delay_alu instid0(VALU_DEP_1) | instskip(NEXT) | instid1(SALU_CYCLE_1)
	s_and_saveexec_b32 s3, s6
	s_xor_b32 s3, exec_lo, s3
	s_cbranch_execz .LBB54_50
; %bb.47:
	s_mov_b32 s7, exec_lo
	v_cmpx_eq_u32_e64 v18, v4
	s_cbranch_execz .LBB54_49
; %bb.48:
	v_mul_u32_u24_e32 v3, 34, v4
	s_delay_alu instid0(VALU_DEP_1) | instskip(NEXT) | instid1(VALU_DEP_1)
	v_dual_mov_b32 v2, 0 :: v_dual_lshlrev_b32 v7, 4, v3
	v_mov_b32_e32 v3, v2
	ds_store_b64 v7, v[2:3] offset:8
.LBB54_49:
	s_or_b32 exec_lo, exec_lo, s7
.LBB54_50:
	s_and_not1_saveexec_b32 s3, s3
	s_cbranch_execz .LBB54_52
; %bb.51:
	v_mul_u32_u24_e32 v2, 33, v18
	s_delay_alu instid0(VALU_DEP_1)
	v_add_lshl_u32 v2, v2, v4, 4
	ds_load_b128 v[19:22], v2
	s_waitcnt lgkmcnt(0)
	v_xor_b32_e32 v22, 0x80000000, v22
	ds_store_b128 v15, v[19:22] offset:32
.LBB54_52:
	s_or_b32 exec_lo, exec_lo, s3
	v_or_b32_e32 v19, 3, v17
	s_delay_alu instid0(VALU_DEP_1) | instskip(NEXT) | instid1(VALU_DEP_1)
	v_cmp_le_u32_e64 s7, v19, v4
	s_and_saveexec_b32 s3, s7
	s_delay_alu instid0(SALU_CYCLE_1)
	s_xor_b32 s3, exec_lo, s3
	s_cbranch_execz .LBB54_56
; %bb.53:
	s_mov_b32 s8, exec_lo
	v_cmpx_eq_u32_e64 v19, v4
	s_cbranch_execz .LBB54_55
; %bb.54:
	v_mul_u32_u24_e32 v3, 34, v4
	s_delay_alu instid0(VALU_DEP_1) | instskip(NEXT) | instid1(VALU_DEP_1)
	v_dual_mov_b32 v2, 0 :: v_dual_lshlrev_b32 v7, 4, v3
	v_mov_b32_e32 v3, v2
	ds_store_b64 v7, v[2:3] offset:8
.LBB54_55:
	s_or_b32 exec_lo, exec_lo, s8
.LBB54_56:
	s_and_not1_saveexec_b32 s3, s3
	s_cbranch_execz .LBB54_58
; %bb.57:
	v_mul_u32_u24_e32 v2, 33, v19
	s_delay_alu instid0(VALU_DEP_1)
	v_add_lshl_u32 v2, v2, v4, 4
	ds_load_b128 v[20:23], v2
	s_waitcnt lgkmcnt(0)
	v_xor_b32_e32 v23, 0x80000000, v23
	ds_store_b128 v15, v[20:23] offset:48
.LBB54_58:
	s_or_b32 exec_lo, exec_lo, s3
	v_add_lshl_u32 v13, v1, v4, 4
	v_lshlrev_b32_e32 v20, 4, v17
	s_waitcnt lgkmcnt(0)
	s_barrier
	buffer_gl0_inv
	ds_load_b128 v[21:24], v13
	ds_load_b128 v[25:28], v20 offset:18176
	v_add_lshl_u32 v14, v0, v4, 4
	ds_load_b128 v[0:3], v20 offset:18192
	ds_load_b128 v[29:32], v14
	v_cmp_gt_u32_e64 s3, 32, v42
	s_waitcnt lgkmcnt(2)
	v_mul_f64 v[7:8], v[27:28], v[23:24]
	v_mul_f64 v[23:24], v[25:26], v[23:24]
	s_waitcnt lgkmcnt(0)
	v_mul_f64 v[40:41], v[2:3], v[31:32]
	v_mul_f64 v[47:48], v[0:1], v[31:32]
	s_delay_alu instid0(VALU_DEP_4) | instskip(NEXT) | instid1(VALU_DEP_4)
	v_fma_f64 v[7:8], v[25:26], v[21:22], -v[7:8]
	v_fma_f64 v[49:50], v[27:28], v[21:22], v[23:24]
	ds_load_b128 v[21:24], v14 offset:528
	ds_load_b128 v[25:28], v20 offset:18208
	;; [unrolled: 1-line block ×4, first 2 shown]
	s_waitcnt lgkmcnt(0)
	s_barrier
	v_fma_f64 v[0:1], v[0:1], v[29:30], -v[40:41]
	v_fma_f64 v[2:3], v[2:3], v[29:30], v[47:48]
	buffer_gl0_inv
	v_mul_f64 v[51:52], v[27:28], v[23:24]
	v_mul_f64 v[23:24], v[25:26], v[23:24]
	;; [unrolled: 1-line block ×4, first 2 shown]
	v_add_f64 v[7:8], v[7:8], 0
	v_add_f64 v[29:30], v[49:50], 0
	v_fma_f64 v[25:26], v[25:26], v[21:22], -v[51:52]
	v_fma_f64 v[21:22], v[27:28], v[21:22], v[23:24]
	v_fma_f64 v[23:24], v[33:34], v[43:44], v[45:46]
	v_add_f64 v[0:1], v[7:8], v[0:1]
	v_add_f64 v[2:3], v[29:30], v[2:3]
	v_fma_f64 v[7:8], v[31:32], v[43:44], -v[40:41]
	v_add_lshl_u32 v44, v9, v12, 4
	v_lshlrev_b32_e32 v43, 4, v12
	v_add_f64 v[0:1], v[0:1], v[25:26]
	v_add_f64 v[2:3], v[2:3], v[21:22]
	s_delay_alu instid0(VALU_DEP_2) | instskip(NEXT) | instid1(VALU_DEP_2)
	v_add_f64 v[21:22], v[0:1], v[7:8]
	v_add_f64 v[23:24], v[2:3], v[23:24]
	v_mov_b32_e32 v0, 0
	v_mov_b32_e32 v1, 0
	s_delay_alu instid0(VALU_DEP_1)
	v_dual_mov_b32 v3, v1 :: v_dual_mov_b32 v2, v0
	ds_store_b128 v44, v[21:24]
	s_waitcnt lgkmcnt(0)
	s_barrier
	buffer_gl0_inv
	s_and_saveexec_b32 s8, s3
	s_cbranch_execz .LBB54_60
; %bb.59:
	ds_load_b128 v[0:3], v43
	ds_load_b128 v[21:24], v43 offset:16
	s_waitcnt lgkmcnt(0)
	v_add_f64 v[7:8], v[21:22], v[0:1]
	v_add_f64 v[25:26], v[23:24], v[2:3]
	ds_load_b128 v[0:3], v43 offset:32
	ds_load_b128 v[21:24], v43 offset:48
	s_waitcnt lgkmcnt(1)
	v_add_f64 v[0:1], v[7:8], v[0:1]
	v_add_f64 v[2:3], v[25:26], v[2:3]
	s_waitcnt lgkmcnt(0)
	s_delay_alu instid0(VALU_DEP_2) | instskip(NEXT) | instid1(VALU_DEP_2)
	v_add_f64 v[7:8], v[0:1], v[21:22]
	v_add_f64 v[25:26], v[2:3], v[23:24]
	ds_load_b128 v[0:3], v43 offset:64
	ds_load_b128 v[21:24], v43 offset:80
	s_waitcnt lgkmcnt(1)
	v_add_f64 v[0:1], v[7:8], v[0:1]
	v_add_f64 v[2:3], v[25:26], v[2:3]
	s_waitcnt lgkmcnt(0)
	s_delay_alu instid0(VALU_DEP_2) | instskip(NEXT) | instid1(VALU_DEP_2)
	;; [unrolled: 9-line block ×3, first 2 shown]
	v_add_f64 v[0:1], v[0:1], v[21:22]
	v_add_f64 v[2:3], v[2:3], v[23:24]
.LBB54_60:
	s_or_b32 exec_lo, exec_lo, s8
	s_lshl_b32 s22, s18, 5
	s_delay_alu instid0(SALU_CYCLE_1)
	s_ashr_i32 s23, s22, 31
	s_barrier
	s_lshl_b64 s[20:21], s[22:23], 4
	buffer_gl0_inv
	v_add_co_u32 v21, vcc_lo, v5, s20
	v_add_co_ci_u32_e32 v22, vcc_lo, s21, v6, vcc_lo
	s_delay_alu instid0(VALU_DEP_2) | instskip(NEXT) | instid1(VALU_DEP_2)
	v_add_co_u32 v7, vcc_lo, 0x200, v21
	v_add_co_ci_u32_e32 v8, vcc_lo, 0, v22, vcc_lo
	s_and_b32 vcc_lo, exec_lo, s17
	s_cbranch_vccz .LBB54_78
; %bb.61:
	v_or_b32_e32 v5, 32, v4
	s_ashr_i32 s11, s10, 31
	s_delay_alu instid0(SALU_CYCLE_1) | instskip(SKIP_1) | instid1(VALU_DEP_1)
	s_lshl_b64 s[24:25], s[10:11], 4
	s_sub_i32 s11, s10, 32
	v_lshlrev_b32_e32 v6, 4, v5
	v_cmp_le_i32_e64 s8, s11, v9
	s_delay_alu instid0(VALU_DEP_2) | instskip(SKIP_1) | instid1(VALU_DEP_2)
	v_sub_co_u32 v6, vcc_lo, v7, v6
	v_subrev_co_ci_u32_e32 v23, vcc_lo, 0, v8, vcc_lo
	v_add_co_u32 v6, vcc_lo, v6, s24
	s_delay_alu instid0(VALU_DEP_2) | instskip(NEXT) | instid1(VALU_DEP_2)
	v_add_co_ci_u32_e32 v23, vcc_lo, s25, v23, vcc_lo
	v_add_co_u32 v24, vcc_lo, v6, -16
	s_delay_alu instid0(VALU_DEP_2) | instskip(SKIP_2) | instid1(VALU_DEP_3)
	v_add_co_ci_u32_e32 v6, vcc_lo, -1, v23, vcc_lo
	v_cmp_gt_i32_e32 vcc_lo, s10, v5
	v_add_lshl_u32 v23, v10, v4, 4
	v_dual_cndmask_b32 v5, v24, v7 :: v_dual_cndmask_b32 v6, v6, v8
	s_and_saveexec_b32 s19, s8
	s_delay_alu instid0(SALU_CYCLE_1)
	s_xor_b32 s8, exec_lo, s19
	s_cbranch_execz .LBB54_63
; %bb.62:
	v_mov_b32_e32 v24, 0
	s_delay_alu instid0(VALU_DEP_1)
	v_mov_b32_e32 v25, v24
	v_mov_b32_e32 v26, v24
	;; [unrolled: 1-line block ×3, first 2 shown]
	ds_store_b128 v23, v[24:27]
.LBB54_63:
	s_and_not1_saveexec_b32 s8, s8
	s_cbranch_execz .LBB54_65
; %bb.64:
	flat_load_b128 v[24:27], v[5:6]
	s_waitcnt vmcnt(0) lgkmcnt(0)
	ds_store_2addr_b64 v23, v[24:25], v[26:27] offset1:1
.LBB54_65:
	s_or_b32 exec_lo, exec_lo, s8
	v_add_nc_u32_e32 v24, 8, v9
	s_delay_alu instid0(VALU_DEP_1) | instskip(NEXT) | instid1(VALU_DEP_1)
	v_cmp_le_i32_e64 s8, s11, v24
	s_and_saveexec_b32 s19, s8
	s_delay_alu instid0(SALU_CYCLE_1)
	s_xor_b32 s8, exec_lo, s19
	s_cbranch_execz .LBB54_67
; %bb.66:
	v_mul_u32_u24_e32 v25, 33, v24
	v_mov_b32_e32 v24, 0
	s_delay_alu instid0(VALU_DEP_2) | instskip(NEXT) | instid1(VALU_DEP_2)
	v_add_lshl_u32 v28, v25, v4, 4
	v_mov_b32_e32 v25, v24
	v_mov_b32_e32 v26, v24
	;; [unrolled: 1-line block ×3, first 2 shown]
	ds_store_b128 v28, v[24:27]
.LBB54_67:
	s_and_not1_saveexec_b32 s19, s8
	s_cbranch_execz .LBB54_69
; %bb.68:
	s_lshl_b32 s30, s18, 3
	v_add_nc_u32_e32 v28, 0x1080, v23
	s_ashr_i32 s31, s30, 31
	s_delay_alu instid0(SALU_CYCLE_1) | instskip(NEXT) | instid1(SALU_CYCLE_1)
	s_lshl_b64 s[30:31], s[30:31], 4
	v_add_co_u32 v24, s8, v5, s30
	s_delay_alu instid0(VALU_DEP_1)
	v_add_co_ci_u32_e64 v25, s8, s31, v6, s8
	flat_load_b128 v[24:27], v[24:25]
	s_waitcnt vmcnt(0) lgkmcnt(0)
	ds_store_2addr_b64 v28, v[24:25], v[26:27] offset1:1
.LBB54_69:
	s_or_b32 exec_lo, exec_lo, s19
	v_add_nc_u32_e32 v24, 16, v9
	s_delay_alu instid0(VALU_DEP_1) | instskip(NEXT) | instid1(VALU_DEP_1)
	v_cmp_le_i32_e64 s8, s11, v24
	s_and_saveexec_b32 s19, s8
	s_delay_alu instid0(SALU_CYCLE_1)
	s_xor_b32 s8, exec_lo, s19
	s_cbranch_execz .LBB54_71
; %bb.70:
	v_mul_u32_u24_e32 v25, 33, v24
	v_mov_b32_e32 v24, 0
	s_delay_alu instid0(VALU_DEP_2) | instskip(NEXT) | instid1(VALU_DEP_2)
	v_add_lshl_u32 v28, v25, v4, 4
	v_mov_b32_e32 v25, v24
	v_mov_b32_e32 v26, v24
	;; [unrolled: 1-line block ×3, first 2 shown]
	ds_store_b128 v28, v[24:27]
.LBB54_71:
	s_and_not1_saveexec_b32 s19, s8
	s_cbranch_execz .LBB54_73
; %bb.72:
	s_lshl_b32 s30, s18, 4
	v_add_nc_u32_e32 v28, 0x2100, v23
	s_ashr_i32 s31, s30, 31
	s_delay_alu instid0(SALU_CYCLE_1) | instskip(NEXT) | instid1(SALU_CYCLE_1)
	s_lshl_b64 s[30:31], s[30:31], 4
	v_add_co_u32 v24, s8, v5, s30
	s_delay_alu instid0(VALU_DEP_1)
	v_add_co_ci_u32_e64 v25, s8, s31, v6, s8
	flat_load_b128 v[24:27], v[24:25]
	s_waitcnt vmcnt(0) lgkmcnt(0)
	ds_store_2addr_b64 v28, v[24:25], v[26:27] offset1:1
.LBB54_73:
	s_or_b32 exec_lo, exec_lo, s19
	v_add_nc_u32_e32 v24, 24, v9
	s_delay_alu instid0(VALU_DEP_1) | instskip(NEXT) | instid1(VALU_DEP_1)
	v_cmp_le_i32_e64 s8, s11, v24
	s_and_saveexec_b32 s11, s8
	s_delay_alu instid0(SALU_CYCLE_1)
	s_xor_b32 s8, exec_lo, s11
	s_cbranch_execz .LBB54_75
; %bb.74:
	v_mov_b32_e32 v24, 0
	s_delay_alu instid0(VALU_DEP_1)
	v_mov_b32_e32 v25, v24
	v_mov_b32_e32 v26, v24
	;; [unrolled: 1-line block ×3, first 2 shown]
	ds_store_b128 v23, v[24:27] offset:12672
                                        ; implicit-def: $vgpr23
.LBB54_75:
	s_and_not1_saveexec_b32 s11, s8
	s_cbranch_execz .LBB54_77
; %bb.76:
	s_mul_i32 s30, s18, 24
	v_add_nc_u32_e32 v23, 0x3180, v23
	s_ashr_i32 s31, s30, 31
	s_delay_alu instid0(SALU_CYCLE_1) | instskip(NEXT) | instid1(SALU_CYCLE_1)
	s_lshl_b64 s[30:31], s[30:31], 4
	v_add_co_u32 v24, s8, v5, s30
	s_delay_alu instid0(VALU_DEP_1)
	v_add_co_ci_u32_e64 v25, s8, s31, v6, s8
	flat_load_b128 v[24:27], v[24:25]
	s_waitcnt vmcnt(0) lgkmcnt(0)
	ds_store_2addr_b64 v23, v[24:25], v[26:27] offset1:1
.LBB54_77:
	s_or_b32 exec_lo, exec_lo, s11
	v_add_co_u32 v5, s8, v5, v11
	s_delay_alu instid0(VALU_DEP_1) | instskip(NEXT) | instid1(VALU_DEP_2)
	v_add_co_ci_u32_e64 v6, s8, 0, v6, s8
	v_sub_co_u32 v5, s8, v5, s24
	s_delay_alu instid0(VALU_DEP_1) | instskip(NEXT) | instid1(VALU_DEP_2)
	v_subrev_co_ci_u32_e64 v6, s8, s25, v6, s8
	v_add_co_u32 v5, s8, 0x210, v5
	s_delay_alu instid0(VALU_DEP_1) | instskip(NEXT) | instid1(VALU_DEP_1)
	v_add_co_ci_u32_e64 v6, s8, 0, v6, s8
	v_dual_cndmask_b32 v5, v5, v7 :: v_dual_cndmask_b32 v6, v6, v8
	s_branch .LBB54_80
.LBB54_78:
                                        ; implicit-def: $vgpr5_vgpr6
	s_cbranch_execz .LBB54_80
; %bb.79:
	flat_load_b128 v[23:26], v[7:8]
	s_lshl_b32 s24, s18, 3
	v_add_lshl_u32 v27, v10, v4, 4
	s_ashr_i32 s25, s24, 31
	s_ashr_i32 s19, s18, 31
	s_lshl_b64 s[24:25], s[24:25], 4
	s_delay_alu instid0(SALU_CYCLE_1)
	v_add_co_u32 v5, vcc_lo, v21, s24
	v_add_co_ci_u32_e32 v6, vcc_lo, s25, v22, vcc_lo
	s_lshl_b64 s[24:25], s[18:19], 7
	s_waitcnt vmcnt(0) lgkmcnt(0)
	ds_store_2addr_b64 v27, v[23:24], v[25:26] offset1:1
	flat_load_b128 v[21:24], v[5:6] offset:512
	v_add_co_u32 v5, vcc_lo, v5, s24
	v_add_nc_u32_e32 v25, 0x1080, v27
	v_add_co_ci_u32_e32 v6, vcc_lo, s25, v6, vcc_lo
	s_waitcnt vmcnt(0) lgkmcnt(0)
	ds_store_2addr_b64 v25, v[21:22], v[23:24] offset1:1
	flat_load_b128 v[21:24], v[5:6] offset:512
	v_add_co_u32 v5, vcc_lo, v5, s24
	v_add_nc_u32_e32 v25, 0x2100, v27
	v_add_co_ci_u32_e32 v6, vcc_lo, s25, v6, vcc_lo
	s_waitcnt vmcnt(0) lgkmcnt(0)
	ds_store_2addr_b64 v25, v[21:22], v[23:24] offset1:1
	flat_load_b128 v[21:24], v[5:6] offset:512
	v_dual_mov_b32 v5, v7 :: v_dual_mov_b32 v6, v8
	v_add_nc_u32_e32 v25, 0x3180, v27
	s_waitcnt vmcnt(0) lgkmcnt(0)
	ds_store_2addr_b64 v25, v[21:22], v[23:24] offset1:1
.LBB54_80:
	s_waitcnt lgkmcnt(0)
	s_barrier
	buffer_gl0_inv
	s_and_saveexec_b32 s8, s4
	s_delay_alu instid0(SALU_CYCLE_1)
	s_xor_b32 s4, exec_lo, s8
	s_cbranch_execnz .LBB54_109
; %bb.81:
	s_and_not1_saveexec_b32 s4, s4
	s_cbranch_execnz .LBB54_112
.LBB54_82:
	s_or_b32 exec_lo, exec_lo, s4
	s_and_saveexec_b32 s4, s5
	s_delay_alu instid0(SALU_CYCLE_1)
	s_xor_b32 s4, exec_lo, s4
	s_cbranch_execnz .LBB54_113
.LBB54_83:
	s_and_not1_saveexec_b32 s4, s4
	s_cbranch_execnz .LBB54_114
.LBB54_84:
	s_or_b32 exec_lo, exec_lo, s4
	s_and_saveexec_b32 s4, s6
	s_delay_alu instid0(SALU_CYCLE_1)
	s_xor_b32 s4, exec_lo, s4
	s_cbranch_execnz .LBB54_117
.LBB54_85:
	s_and_not1_saveexec_b32 s4, s4
	s_cbranch_execnz .LBB54_120
.LBB54_86:
	s_or_b32 exec_lo, exec_lo, s4
	s_and_saveexec_b32 s4, s7
	s_delay_alu instid0(SALU_CYCLE_1)
	s_xor_b32 s4, exec_lo, s4
	s_cbranch_execnz .LBB54_121
.LBB54_87:
	s_or_saveexec_b32 s4, s4
	v_add_nc_u32_e32 v16, 0x4700, v20
	s_xor_b32 exec_lo, exec_lo, s4
	s_cbranch_execz .LBB54_89
.LBB54_88:
	ds_load_b128 v[17:20], v14 offset:1056
	s_waitcnt lgkmcnt(0)
	v_xor_b32_e32 v20, 0x80000000, v20
	ds_store_b128 v15, v[17:20] offset:48
.LBB54_89:
	s_or_b32 exec_lo, exec_lo, s4
	s_waitcnt lgkmcnt(0)
	s_barrier
	buffer_gl0_inv
	ds_load_b128 v[17:20], v16 offset:512
	ds_load_b128 v[21:24], v13
	v_cmp_eq_u32_e64 s4, 1, v9
	s_waitcnt lgkmcnt(0)
	v_mul_f64 v[7:8], v[19:20], v[23:24]
	v_mul_f64 v[40:41], v[17:18], v[23:24]
	ds_load_b128 v[23:26], v14
	ds_load_b128 v[27:30], v16 offset:528
	ds_load_b128 v[31:34], v16 offset:544
	s_waitcnt lgkmcnt(1)
	v_mul_f64 v[49:50], v[29:30], v[25:26]
	v_mul_f64 v[25:26], v[27:28], v[25:26]
	v_fma_f64 v[7:8], v[17:18], v[21:22], -v[7:8]
	v_fma_f64 v[21:22], v[19:20], v[21:22], v[40:41]
	ds_load_b128 v[17:20], v14 offset:528
	ds_load_b128 v[45:48], v14 offset:1056
	s_waitcnt lgkmcnt(1)
	v_mul_f64 v[40:41], v[33:34], v[19:20]
	v_mul_f64 v[51:52], v[31:32], v[19:20]
	v_fma_f64 v[27:28], v[27:28], v[23:24], -v[49:50]
	v_fma_f64 v[23:24], v[29:30], v[23:24], v[25:26]
	v_add_f64 v[7:8], v[7:8], 0
	v_add_f64 v[25:26], v[21:22], 0
	ds_load_b128 v[19:22], v16 offset:560
	s_waitcnt lgkmcnt(0)
	s_barrier
	buffer_gl0_inv
	v_fma_f64 v[31:32], v[31:32], v[17:18], -v[40:41]
	v_mul_f64 v[29:30], v[21:22], v[47:48]
	v_mul_f64 v[47:48], v[19:20], v[47:48]
	v_fma_f64 v[17:18], v[33:34], v[17:18], v[51:52]
	v_add_f64 v[7:8], v[7:8], v[27:28]
	v_add_f64 v[23:24], v[25:26], v[23:24]
	v_fma_f64 v[19:20], v[19:20], v[45:46], -v[29:30]
	v_fma_f64 v[21:22], v[21:22], v[45:46], v[47:48]
	s_delay_alu instid0(VALU_DEP_4) | instskip(NEXT) | instid1(VALU_DEP_4)
	v_add_f64 v[7:8], v[7:8], v[31:32]
	v_add_f64 v[23:24], v[23:24], v[17:18]
	s_delay_alu instid0(VALU_DEP_2) | instskip(NEXT) | instid1(VALU_DEP_2)
	v_add_f64 v[17:18], v[7:8], v[19:20]
	v_add_f64 v[19:20], v[23:24], v[21:22]
	ds_store_b128 v44, v[17:20]
	s_waitcnt lgkmcnt(0)
	s_barrier
	buffer_gl0_inv
	s_and_saveexec_b32 s5, s4
	s_cbranch_execz .LBB54_91
; %bb.90:
	ds_load_b128 v[0:3], v43
	ds_load_b128 v[17:20], v43 offset:16
	s_waitcnt lgkmcnt(0)
	v_add_f64 v[7:8], v[17:18], v[0:1]
	v_add_f64 v[21:22], v[19:20], v[2:3]
	ds_load_b128 v[0:3], v43 offset:32
	ds_load_b128 v[17:20], v43 offset:48
	s_waitcnt lgkmcnt(1)
	v_add_f64 v[0:1], v[7:8], v[0:1]
	v_add_f64 v[2:3], v[21:22], v[2:3]
	s_waitcnt lgkmcnt(0)
	s_delay_alu instid0(VALU_DEP_2) | instskip(NEXT) | instid1(VALU_DEP_2)
	v_add_f64 v[7:8], v[0:1], v[17:18]
	v_add_f64 v[21:22], v[2:3], v[19:20]
	ds_load_b128 v[0:3], v43 offset:64
	ds_load_b128 v[17:20], v43 offset:80
	s_waitcnt lgkmcnt(1)
	v_add_f64 v[0:1], v[7:8], v[0:1]
	v_add_f64 v[2:3], v[21:22], v[2:3]
	s_waitcnt lgkmcnt(0)
	s_delay_alu instid0(VALU_DEP_2) | instskip(NEXT) | instid1(VALU_DEP_2)
	;; [unrolled: 9-line block ×3, first 2 shown]
	v_add_f64 v[0:1], v[0:1], v[17:18]
	v_add_f64 v[2:3], v[2:3], v[19:20]
.LBB54_91:
	s_or_b32 exec_lo, exec_lo, s5
	v_add_co_u32 v5, vcc_lo, 0xfffffe00, v5
	v_add_co_ci_u32_e32 v6, vcc_lo, -1, v6, vcc_lo
	s_and_b32 vcc_lo, exec_lo, s17
	s_barrier
	buffer_gl0_inv
	s_cbranch_vccz .LBB54_124
; %bb.92:
	v_sub_co_u32 v7, vcc_lo, v5, v11
	s_ashr_i32 s11, s10, 31
	v_subrev_co_ci_u32_e32 v8, vcc_lo, 0, v6, vcc_lo
	s_lshl_b64 s[6:7], s[10:11], 4
	s_sub_i32 s8, s10, 32
	v_add_co_u32 v7, vcc_lo, v7, s6
	s_delay_alu instid0(VALU_DEP_2) | instskip(SKIP_1) | instid1(VALU_DEP_3)
	v_add_co_ci_u32_e32 v8, vcc_lo, s7, v8, vcc_lo
	v_cmp_le_i32_e64 s5, s8, v9
	v_add_co_u32 v7, vcc_lo, v7, -16
	s_delay_alu instid0(VALU_DEP_3) | instskip(SKIP_2) | instid1(VALU_DEP_3)
	v_add_co_ci_u32_e32 v8, vcc_lo, -1, v8, vcc_lo
	v_cmp_gt_i32_e32 vcc_lo, s10, v4
	v_add_lshl_u32 v19, v10, v4, 4
	v_dual_cndmask_b32 v8, v8, v6 :: v_dual_cndmask_b32 v7, v7, v5
	s_and_saveexec_b32 s11, s5
	s_delay_alu instid0(SALU_CYCLE_1)
	s_xor_b32 s5, exec_lo, s11
	s_cbranch_execz .LBB54_94
; %bb.93:
	v_mov_b32_e32 v20, 0
	s_delay_alu instid0(VALU_DEP_1)
	v_mov_b32_e32 v21, v20
	v_mov_b32_e32 v22, v20
	v_mov_b32_e32 v23, v20
	ds_store_b128 v19, v[20:23]
.LBB54_94:
	s_and_not1_saveexec_b32 s5, s5
	s_cbranch_execz .LBB54_96
; %bb.95:
	flat_load_b128 v[20:23], v[7:8]
	s_waitcnt vmcnt(0) lgkmcnt(0)
	ds_store_2addr_b64 v19, v[20:21], v[22:23] offset1:1
.LBB54_96:
	s_or_b32 exec_lo, exec_lo, s5
	v_add_nc_u32_e32 v18, 8, v9
	s_delay_alu instid0(VALU_DEP_1) | instskip(NEXT) | instid1(VALU_DEP_1)
	v_cmp_le_i32_e64 s5, s8, v18
	s_and_saveexec_b32 s11, s5
	s_delay_alu instid0(SALU_CYCLE_1)
	s_xor_b32 s5, exec_lo, s11
	s_cbranch_execz .LBB54_98
; %bb.97:
	v_mul_u32_u24_e32 v15, 33, v18
	v_mov_b32_e32 v20, 0
	s_delay_alu instid0(VALU_DEP_2) | instskip(NEXT) | instid1(VALU_DEP_2)
	v_add_lshl_u32 v15, v15, v4, 4
	v_mov_b32_e32 v21, v20
	v_mov_b32_e32 v22, v20
	;; [unrolled: 1-line block ×3, first 2 shown]
	ds_store_b128 v15, v[20:23]
.LBB54_98:
	s_and_not1_saveexec_b32 s11, s5
	s_cbranch_execz .LBB54_100
; %bb.99:
	s_lshl_b32 s24, s18, 3
	v_add_nc_u32_e32 v15, 0x1080, v19
	s_ashr_i32 s25, s24, 31
	s_delay_alu instid0(SALU_CYCLE_1) | instskip(NEXT) | instid1(SALU_CYCLE_1)
	s_lshl_b64 s[24:25], s[24:25], 4
	v_add_co_u32 v20, s5, v7, s24
	s_delay_alu instid0(VALU_DEP_1)
	v_add_co_ci_u32_e64 v21, s5, s25, v8, s5
	flat_load_b128 v[20:23], v[20:21]
	s_waitcnt vmcnt(0) lgkmcnt(0)
	ds_store_2addr_b64 v15, v[20:21], v[22:23] offset1:1
.LBB54_100:
	s_or_b32 exec_lo, exec_lo, s11
	v_add_nc_u32_e32 v15, 16, v9
	s_delay_alu instid0(VALU_DEP_1) | instskip(NEXT) | instid1(VALU_DEP_1)
	v_cmp_le_i32_e64 s5, s8, v15
	s_and_saveexec_b32 s11, s5
	s_delay_alu instid0(SALU_CYCLE_1)
	s_xor_b32 s5, exec_lo, s11
	s_cbranch_execz .LBB54_102
; %bb.101:
	v_mul_u32_u24_e32 v17, 33, v15
	v_mov_b32_e32 v20, 0
	s_delay_alu instid0(VALU_DEP_2) | instskip(NEXT) | instid1(VALU_DEP_2)
	v_add_lshl_u32 v17, v17, v4, 4
	v_mov_b32_e32 v21, v20
	v_mov_b32_e32 v22, v20
	;; [unrolled: 1-line block ×3, first 2 shown]
	ds_store_b128 v17, v[20:23]
.LBB54_102:
	s_and_not1_saveexec_b32 s11, s5
	s_cbranch_execz .LBB54_104
; %bb.103:
	s_lshl_b32 s24, s18, 4
	v_add_nc_u32_e32 v17, 0x2100, v19
	s_ashr_i32 s25, s24, 31
	s_delay_alu instid0(SALU_CYCLE_1) | instskip(NEXT) | instid1(SALU_CYCLE_1)
	s_lshl_b64 s[24:25], s[24:25], 4
	v_add_co_u32 v20, s5, v7, s24
	s_delay_alu instid0(VALU_DEP_1)
	v_add_co_ci_u32_e64 v21, s5, s25, v8, s5
	flat_load_b128 v[20:23], v[20:21]
	s_waitcnt vmcnt(0) lgkmcnt(0)
	ds_store_2addr_b64 v17, v[20:21], v[22:23] offset1:1
.LBB54_104:
	s_or_b32 exec_lo, exec_lo, s11
	v_add_nc_u32_e32 v17, 24, v9
	s_delay_alu instid0(VALU_DEP_1) | instskip(NEXT) | instid1(VALU_DEP_1)
	v_cmp_le_i32_e64 s5, s8, v17
	s_and_saveexec_b32 s8, s5
	s_delay_alu instid0(SALU_CYCLE_1)
	s_xor_b32 s5, exec_lo, s8
	s_cbranch_execz .LBB54_106
; %bb.105:
	v_mov_b32_e32 v20, 0
	s_delay_alu instid0(VALU_DEP_1)
	v_mov_b32_e32 v21, v20
	v_mov_b32_e32 v22, v20
	;; [unrolled: 1-line block ×3, first 2 shown]
	ds_store_b128 v19, v[20:23] offset:12672
                                        ; implicit-def: $vgpr19
.LBB54_106:
	s_and_not1_saveexec_b32 s8, s5
	s_cbranch_execz .LBB54_108
; %bb.107:
	s_mul_i32 s24, s18, 24
	v_add_nc_u32_e32 v19, 0x3180, v19
	s_ashr_i32 s25, s24, 31
	s_delay_alu instid0(SALU_CYCLE_1) | instskip(NEXT) | instid1(SALU_CYCLE_1)
	s_lshl_b64 s[24:25], s[24:25], 4
	v_add_co_u32 v20, s5, v7, s24
	s_delay_alu instid0(VALU_DEP_1)
	v_add_co_ci_u32_e64 v21, s5, s25, v8, s5
	flat_load_b128 v[20:23], v[20:21]
	s_waitcnt vmcnt(0) lgkmcnt(0)
	ds_store_2addr_b64 v19, v[20:21], v[22:23] offset1:1
.LBB54_108:
	s_or_b32 exec_lo, exec_lo, s8
	v_add_co_u32 v7, s5, v7, v11
	s_delay_alu instid0(VALU_DEP_1) | instskip(NEXT) | instid1(VALU_DEP_2)
	v_add_co_ci_u32_e64 v8, s5, 0, v8, s5
	v_sub_co_u32 v7, s5, v7, s6
	s_delay_alu instid0(VALU_DEP_1) | instskip(NEXT) | instid1(VALU_DEP_2)
	v_subrev_co_ci_u32_e64 v8, s5, s7, v8, s5
	v_add_co_u32 v7, s5, v7, 16
	s_delay_alu instid0(VALU_DEP_1) | instskip(NEXT) | instid1(VALU_DEP_1)
	v_add_co_ci_u32_e64 v8, s5, 0, v8, s5
	v_dual_cndmask_b32 v40, v7, v5 :: v_dual_cndmask_b32 v41, v8, v6
	s_branch .LBB54_126
.LBB54_109:
	s_mov_b32 s8, exec_lo
	v_cmpx_eq_u32_e64 v17, v4
	s_cbranch_execz .LBB54_111
; %bb.110:
	v_mul_u32_u24_e32 v8, 34, v4
	v_mov_b32_e32 v7, 0
	s_delay_alu instid0(VALU_DEP_1)
	v_dual_mov_b32 v8, v7 :: v_dual_lshlrev_b32 v17, 4, v8
	ds_store_b64 v17, v[7:8] offset:8
.LBB54_111:
	s_or_b32 exec_lo, exec_lo, s8
	s_and_not1_saveexec_b32 s4, s4
	s_cbranch_execz .LBB54_82
.LBB54_112:
	ds_load_b128 v[21:24], v13
	s_waitcnt lgkmcnt(0)
	v_xor_b32_e32 v24, 0x80000000, v24
	ds_store_b128 v15, v[21:24]
	s_or_b32 exec_lo, exec_lo, s4
	s_and_saveexec_b32 s4, s5
	s_delay_alu instid0(SALU_CYCLE_1)
	s_xor_b32 s4, exec_lo, s4
	s_cbranch_execz .LBB54_83
.LBB54_113:
	ds_load_b128 v[21:24], v14
                                        ; implicit-def: $vgpr16
	s_waitcnt lgkmcnt(0)
	v_xor_b32_e32 v24, 0x80000000, v24
	ds_store_b128 v15, v[21:24] offset:16
	s_and_not1_saveexec_b32 s4, s4
	s_cbranch_execz .LBB54_84
.LBB54_114:
	s_mov_b32 s5, exec_lo
	v_cmpx_eq_u32_e64 v16, v4
	s_cbranch_execz .LBB54_116
; %bb.115:
	v_mul_u32_u24_e32 v8, 34, v4
	s_delay_alu instid0(VALU_DEP_1) | instskip(NEXT) | instid1(VALU_DEP_1)
	v_dual_mov_b32 v7, 0 :: v_dual_lshlrev_b32 v16, 4, v8
	v_mov_b32_e32 v8, v7
	ds_store_b64 v16, v[7:8] offset:8
.LBB54_116:
	s_or_b32 exec_lo, exec_lo, s5
	s_delay_alu instid0(SALU_CYCLE_1) | instskip(SKIP_1) | instid1(SALU_CYCLE_1)
	s_or_b32 exec_lo, exec_lo, s4
	s_and_saveexec_b32 s4, s6
	s_xor_b32 s4, exec_lo, s4
	s_cbranch_execz .LBB54_85
.LBB54_117:
	s_mov_b32 s5, exec_lo
	v_cmpx_eq_u32_e64 v18, v4
	s_cbranch_execz .LBB54_119
; %bb.118:
	v_mul_u32_u24_e32 v8, 34, v4
	s_delay_alu instid0(VALU_DEP_1) | instskip(NEXT) | instid1(VALU_DEP_1)
	v_dual_mov_b32 v7, 0 :: v_dual_lshlrev_b32 v16, 4, v8
	v_mov_b32_e32 v8, v7
	ds_store_b64 v16, v[7:8] offset:8
.LBB54_119:
	s_or_b32 exec_lo, exec_lo, s5
	s_and_not1_saveexec_b32 s4, s4
	s_cbranch_execz .LBB54_86
.LBB54_120:
	ds_load_b128 v[21:24], v14 offset:528
	s_waitcnt lgkmcnt(0)
	v_xor_b32_e32 v24, 0x80000000, v24
	ds_store_b128 v15, v[21:24] offset:32
	s_or_b32 exec_lo, exec_lo, s4
	s_and_saveexec_b32 s4, s7
	s_delay_alu instid0(SALU_CYCLE_1)
	s_xor_b32 s4, exec_lo, s4
	s_cbranch_execz .LBB54_87
.LBB54_121:
	s_mov_b32 s5, exec_lo
	v_cmpx_eq_u32_e64 v19, v4
	s_cbranch_execz .LBB54_123
; %bb.122:
	v_mul_u32_u24_e32 v8, 34, v4
	v_mov_b32_e32 v7, 0
	s_delay_alu instid0(VALU_DEP_1)
	v_dual_mov_b32 v8, v7 :: v_dual_lshlrev_b32 v15, 4, v8
	ds_store_b64 v15, v[7:8] offset:8
.LBB54_123:
	s_or_b32 exec_lo, exec_lo, s5
                                        ; implicit-def: $vgpr15
	s_or_saveexec_b32 s4, s4
	v_add_nc_u32_e32 v16, 0x4700, v20
	s_xor_b32 exec_lo, exec_lo, s4
	s_cbranch_execnz .LBB54_88
	s_branch .LBB54_89
.LBB54_124:
                                        ; implicit-def: $vgpr40_vgpr41
                                        ; implicit-def: $vgpr18
                                        ; implicit-def: $vgpr15
                                        ; implicit-def: $vgpr17
	s_cbranch_execz .LBB54_126
; %bb.125:
	flat_load_b128 v[17:20], v[5:6]
	s_lshl_b32 s6, s18, 3
	v_add_lshl_u32 v4, v10, v4, 4
	s_ashr_i32 s7, s6, 31
	s_ashr_i32 s19, s18, 31
	s_lshl_b64 s[6:7], s[6:7], 4
	v_mov_b32_e32 v41, v6
	v_add_co_u32 v7, vcc_lo, v5, s6
	v_add_co_ci_u32_e32 v8, vcc_lo, s7, v6, vcc_lo
	s_lshl_b64 s[6:7], s[18:19], 7
	v_add_nc_u32_e32 v10, 0x1080, v4
	v_dual_mov_b32 v40, v5 :: v_dual_add_nc_u32 v15, 16, v9
	s_waitcnt vmcnt(0) lgkmcnt(0)
	ds_store_2addr_b64 v4, v[17:18], v[19:20] offset1:1
	flat_load_b128 v[17:20], v[7:8]
	v_add_co_u32 v7, vcc_lo, v7, s6
	v_add_co_ci_u32_e32 v8, vcc_lo, s7, v8, vcc_lo
	s_waitcnt vmcnt(0) lgkmcnt(0)
	ds_store_2addr_b64 v10, v[17:18], v[19:20] offset1:1
	flat_load_b128 v[17:20], v[7:8]
	v_add_co_u32 v7, vcc_lo, v7, s6
	v_add_nc_u32_e32 v10, 0x2100, v4
	v_add_co_ci_u32_e32 v8, vcc_lo, s7, v8, vcc_lo
	v_add_nc_u32_e32 v4, 0x3180, v4
	s_waitcnt vmcnt(0) lgkmcnt(0)
	ds_store_2addr_b64 v10, v[17:18], v[19:20] offset1:1
	flat_load_b128 v[19:22], v[7:8]
	v_add_nc_u32_e32 v18, 8, v9
	v_add_nc_u32_e32 v17, 24, v9
	s_waitcnt vmcnt(0) lgkmcnt(0)
	ds_store_2addr_b64 v4, v[19:20], v[21:22] offset1:1
.LBB54_126:
	v_lshlrev_b32_e32 v8, 4, v9
	s_waitcnt lgkmcnt(0)
	s_barrier
	buffer_gl0_inv
	ds_load_b128 v[4:7], v44
	ds_load_b128 v[8:11], v8 offset:18176
	v_add_lshl_u32 v19, v18, v12, 4
	v_lshlrev_b32_e32 v22, 4, v18
	ds_load_b128 v[18:21], v19
	ds_load_b128 v[22:25], v22 offset:18176
	s_waitcnt lgkmcnt(2)
	v_mul_f64 v[26:27], v[6:7], v[10:11]
	v_mul_f64 v[6:7], v[6:7], v[8:9]
	s_waitcnt lgkmcnt(0)
	v_mul_f64 v[28:29], v[20:21], v[24:25]
	v_mul_f64 v[20:21], v[20:21], v[22:23]
	s_delay_alu instid0(VALU_DEP_4) | instskip(NEXT) | instid1(VALU_DEP_4)
	v_fma_f64 v[26:27], v[4:5], v[8:9], v[26:27]
	v_fma_f64 v[30:31], v[4:5], v[10:11], -v[6:7]
	v_add_lshl_u32 v4, v15, v12, 4
	v_lshlrev_b32_e32 v8, 4, v15
	v_add_lshl_u32 v12, v17, v12, 4
	ds_load_b128 v[4:7], v4
	ds_load_b128 v[8:11], v8 offset:18176
	v_fma_f64 v[28:29], v[18:19], v[22:23], v[28:29]
	v_fma_f64 v[34:35], v[18:19], v[24:25], -v[20:21]
	v_lshlrev_b32_e32 v15, 4, v17
	ds_load_b128 v[17:20], v12
	ds_load_b128 v[21:24], v15 offset:18176
	s_waitcnt lgkmcnt(2)
	v_mul_f64 v[32:33], v[6:7], v[10:11]
	v_mul_f64 v[6:7], v[6:7], v[8:9]
	s_waitcnt lgkmcnt(0)
	v_mul_f64 v[45:46], v[19:20], v[23:24]
	v_mul_f64 v[19:20], v[19:20], v[21:22]
	v_add_f64 v[25:26], v[26:27], 0
	v_add_f64 v[30:31], v[30:31], 0
	v_fma_f64 v[8:9], v[4:5], v[8:9], v[32:33]
	v_fma_f64 v[4:5], v[4:5], v[10:11], -v[6:7]
	v_fma_f64 v[21:22], v[17:18], v[21:22], v[45:46]
	v_fma_f64 v[17:18], v[17:18], v[23:24], -v[19:20]
	v_add_f64 v[6:7], v[25:26], v[28:29]
	v_add_f64 v[10:11], v[30:31], v[34:35]
	s_delay_alu instid0(VALU_DEP_2) | instskip(NEXT) | instid1(VALU_DEP_2)
	v_add_f64 v[6:7], v[6:7], v[8:9]
	v_add_f64 v[4:5], v[10:11], v[4:5]
	s_delay_alu instid0(VALU_DEP_2) | instskip(NEXT) | instid1(VALU_DEP_2)
	v_add_f64 v[45:46], v[6:7], v[21:22]
	v_add_f64 v[47:48], v[4:5], v[17:18]
	ds_load_b128 v[20:23], v16 offset:528
	ds_load_b128 v[8:11], v16 offset:544
	;; [unrolled: 1-line block ×3, first 2 shown]
	ds_load_b128 v[32:35], v13
	ds_load_b128 v[4:7], v16 offset:560
	ds_load_b128 v[24:27], v14
	ds_load_b128 v[16:19], v14 offset:528
	ds_load_b128 v[12:15], v14 offset:1056
	s_waitcnt lgkmcnt(0)
	s_barrier
	buffer_gl0_inv
	ds_store_b128 v44, v[45:48]
	s_waitcnt lgkmcnt(0)
	s_barrier
	buffer_gl0_inv
	s_and_saveexec_b32 s5, s4
	s_cbranch_execz .LBB54_128
; %bb.127:
	ds_load_b128 v[45:48], v43
	ds_load_b128 v[49:52], v43 offset:16
	s_waitcnt lgkmcnt(1)
	v_add_f64 v[0:1], v[0:1], v[45:46]
	v_add_f64 v[2:3], v[2:3], v[47:48]
	s_waitcnt lgkmcnt(0)
	s_delay_alu instid0(VALU_DEP_2) | instskip(NEXT) | instid1(VALU_DEP_2)
	v_add_f64 v[49:50], v[0:1], v[49:50]
	v_add_f64 v[51:52], v[2:3], v[51:52]
	ds_load_b128 v[0:3], v43 offset:32
	ds_load_b128 v[45:48], v43 offset:48
	s_waitcnt lgkmcnt(1)
	v_add_f64 v[0:1], v[49:50], v[0:1]
	v_add_f64 v[2:3], v[51:52], v[2:3]
	s_waitcnt lgkmcnt(0)
	s_delay_alu instid0(VALU_DEP_2) | instskip(NEXT) | instid1(VALU_DEP_2)
	v_add_f64 v[49:50], v[0:1], v[45:46]
	v_add_f64 v[51:52], v[2:3], v[47:48]
	ds_load_b128 v[0:3], v43 offset:64
	;; [unrolled: 9-line block ×3, first 2 shown]
	ds_load_b128 v[45:48], v43 offset:112
	s_waitcnt lgkmcnt(1)
	v_add_f64 v[0:1], v[49:50], v[0:1]
	v_add_f64 v[2:3], v[51:52], v[2:3]
	s_waitcnt lgkmcnt(0)
	s_delay_alu instid0(VALU_DEP_2) | instskip(NEXT) | instid1(VALU_DEP_2)
	v_add_f64 v[0:1], v[0:1], v[45:46]
	v_add_f64 v[2:3], v[2:3], v[47:48]
.LBB54_128:
	s_or_b32 exec_lo, exec_lo, s5
	v_mul_f64 v[45:46], v[30:31], v[34:35]
	v_mul_f64 v[34:35], v[28:29], v[34:35]
	;; [unrolled: 1-line block ×4, first 2 shown]
	s_barrier
	buffer_gl0_inv
	v_fma_f64 v[28:29], v[28:29], v[32:33], -v[45:46]
	v_fma_f64 v[30:31], v[30:31], v[32:33], v[34:35]
	v_mul_f64 v[32:33], v[10:11], v[18:19]
	v_mul_f64 v[18:19], v[8:9], v[18:19]
	v_fma_f64 v[20:21], v[20:21], v[24:25], -v[47:48]
	v_fma_f64 v[22:23], v[22:23], v[24:25], v[26:27]
	v_add_f64 v[24:25], v[28:29], 0
	v_add_f64 v[26:27], v[30:31], 0
	v_mul_f64 v[28:29], v[6:7], v[14:15]
	v_mul_f64 v[14:15], v[4:5], v[14:15]
	v_fma_f64 v[8:9], v[8:9], v[16:17], -v[32:33]
	v_fma_f64 v[10:11], v[10:11], v[16:17], v[18:19]
	v_add_f64 v[16:17], v[24:25], v[20:21]
	v_add_f64 v[18:19], v[26:27], v[22:23]
	v_fma_f64 v[4:5], v[4:5], v[12:13], -v[28:29]
	v_fma_f64 v[6:7], v[6:7], v[12:13], v[14:15]
	s_delay_alu instid0(VALU_DEP_4) | instskip(NEXT) | instid1(VALU_DEP_4)
	v_add_f64 v[8:9], v[16:17], v[8:9]
	v_add_f64 v[10:11], v[18:19], v[10:11]
	s_delay_alu instid0(VALU_DEP_2) | instskip(NEXT) | instid1(VALU_DEP_2)
	v_add_f64 v[4:5], v[8:9], v[4:5]
	v_add_f64 v[6:7], v[10:11], v[6:7]
	ds_store_b128 v44, v[4:7]
	s_waitcnt lgkmcnt(0)
	s_barrier
	buffer_gl0_inv
	s_and_saveexec_b32 s4, s3
	s_cbranch_execz .LBB54_130
; %bb.129:
	ds_load_b128 v[4:7], v43
	ds_load_b128 v[8:11], v43 offset:16
	s_waitcnt lgkmcnt(1)
	v_add_f64 v[0:1], v[0:1], v[4:5]
	v_add_f64 v[2:3], v[2:3], v[6:7]
	s_waitcnt lgkmcnt(0)
	s_delay_alu instid0(VALU_DEP_2) | instskip(NEXT) | instid1(VALU_DEP_2)
	v_add_f64 v[8:9], v[0:1], v[8:9]
	v_add_f64 v[10:11], v[2:3], v[10:11]
	ds_load_b128 v[0:3], v43 offset:32
	ds_load_b128 v[4:7], v43 offset:48
	s_waitcnt lgkmcnt(1)
	v_add_f64 v[0:1], v[8:9], v[0:1]
	v_add_f64 v[2:3], v[10:11], v[2:3]
	s_waitcnt lgkmcnt(0)
	s_delay_alu instid0(VALU_DEP_2) | instskip(NEXT) | instid1(VALU_DEP_2)
	v_add_f64 v[8:9], v[0:1], v[4:5]
	v_add_f64 v[10:11], v[2:3], v[6:7]
	ds_load_b128 v[0:3], v43 offset:64
	;; [unrolled: 9-line block ×3, first 2 shown]
	ds_load_b128 v[4:7], v43 offset:112
	s_waitcnt lgkmcnt(1)
	v_add_f64 v[0:1], v[8:9], v[0:1]
	v_add_f64 v[2:3], v[10:11], v[2:3]
	s_waitcnt lgkmcnt(0)
	s_delay_alu instid0(VALU_DEP_2) | instskip(NEXT) | instid1(VALU_DEP_2)
	v_add_f64 v[0:1], v[0:1], v[4:5]
	v_add_f64 v[2:3], v[2:3], v[6:7]
.LBB54_130:
	s_or_b32 exec_lo, exec_lo, s4
	s_load_b64 s[0:1], s[0:1], 0x78
	s_mul_hi_u32 s3, s13, s12
	s_mul_i32 s28, s28, s12
	s_mul_i32 s4, s13, s12
	s_add_i32 s3, s3, s28
	s_mul_hi_u32 s5, s4, s15
	s_mul_i32 s3, s3, s15
	s_mul_i32 s4, s4, s15
	s_add_i32 s5, s5, s3
	s_mul_hi_i32 s7, s13, s14
	s_lshl_b64 s[4:5], s[4:5], 4
	s_mul_i32 s6, s13, s14
	v_lshlrev_b32_e32 v13, 4, v170
	s_waitcnt lgkmcnt(0)
	s_barrier
	buffer_gl0_inv
	s_add_u32 s3, s0, s4
	s_addc_u32 s4, s1, s5
	s_lshl_b64 s[0:1], s[6:7], 4
	s_delay_alu instid0(SALU_CYCLE_1) | instskip(SKIP_2) | instid1(SALU_CYCLE_1)
	s_add_u32 s3, s3, s0
	s_addc_u32 s11, s4, s1
	s_add_i32 s1, s14, 1
	s_cmp_ge_u32 s1, s15
	s_cbranch_scc1 .LBB54_188
; %bb.131:
	scratch_load_b32 v12, off, off offset:8 ; 4-byte Folded Reload
	v_and_b32_e32 v8, 48, v170
	v_add_nc_u32_e32 v9, 0x4300, v13
	v_and_b32_e32 v6, 15, v170
	v_lshrrev_b32_e32 v7, 4, v42
	v_or_b32_e32 v10, 0xf0, v13
	s_mul_i32 s4, s16, s9
	scratch_store_b32 off, v9, off          ; 4-byte Folded Spill
	v_lshlrev_b32_e32 v9, 4, v8
	s_ashr_i32 s5, s4, 31
	v_lshlrev_b32_e32 v11, 6, v7
	s_lshl_b64 s[4:5], s[4:5], 4
	s_ashr_i32 s19, s18, 31
	v_mad_u32_u24 v180, 0x430, v6, v9
	v_mad_u32_u24 v9, 0x430, v6, v10
	v_mul_i32_i24_e32 v10, 0xffffffd0, v7
	v_add_nc_u32_e32 v7, s16, v8
	v_sub_co_u32 v176, vcc_lo, v36, s4
	v_subrev_co_ci_u32_e32 v177, vcc_lo, s5, v37, vcc_lo
	v_mad_u32_u24 v182, 0x430, v6, v11
	s_lshl_b32 s12, s18, 4
	s_lshl_b32 s28, s18, 1
	s_mul_i32 s30, s18, 3
	s_mul_i32 s1, s9, s1
	s_lshl_b64 s[34:35], s[18:19], 5
	s_add_i32 s24, s15, -2
	s_lshl_b32 s25, s9, 6
	s_ashr_i32 s13, s12, 31
	s_ashr_i32 s29, s28, 31
	;; [unrolled: 1-line block ×3, first 2 shown]
	s_lshl_b64 s[8:9], s[18:19], 4
	s_lshl_b32 s4, s1, 6
	s_add_u32 s1, s34, s20
	scratch_store_b32 off, v9, off offset:4 ; 4-byte Folded Spill
	s_addc_u32 s5, s35, s21
	s_lshl_b64 s[16:17], s[30:31], 4
	s_lshl_b64 s[6:7], s[12:13], 6
	s_add_u32 s30, s8, s20
	v_add_nc_u32_e32 v179, 0x4700, v13
	s_addc_u32 s31, s9, s21
	s_mul_i32 s33, s18, 0x300
	s_mul_hi_i32 s36, s12, 48
	v_cmp_gt_u32_e64 s0, 64, v42
	v_add_nc_u32_e32 v242, v182, v10
	s_waitcnt vmcnt(0)
	v_lshlrev_b32_e32 v175, 2, v12
	v_lshl_add_u32 v186, v12, 6, 0x4300
	v_mad_u32_u24 v187, 0x10c0, v12, v13
	s_delay_alu instid0(VALU_DEP_3) | instskip(SKIP_2) | instid1(VALU_DEP_2)
	v_mad_u64_u32 v[4:5], null, v175, s18, v[170:171]
	v_add3_u32 v171, v7, v6, 64
	s_lshl_b64 s[18:19], s[28:29], 4
	v_ashrrev_i32_e32 v5, 31, v4
	s_delay_alu instid0(VALU_DEP_1) | instskip(SKIP_4) | instid1(VALU_DEP_3)
	v_lshlrev_b64 v[6:7], 4, v[4:5]
	v_add_co_u32 v4, vcc_lo, s22, v4
	v_add_co_ci_u32_e32 v5, vcc_lo, s23, v5, vcc_lo
	v_sub_co_u32 v200, vcc_lo, 0, v38
	v_sub_co_ci_u32_e32 v201, vcc_lo, 0, v39, vcc_lo
	v_lshlrev_b64 v[4:5], 4, v[4:5]
	v_add_co_u32 v11, vcc_lo, s1, v6
	v_add_co_ci_u32_e32 v12, vcc_lo, s5, v7, vcc_lo
	s_add_u32 s22, s20, s18
	s_delay_alu instid0(VALU_DEP_3) | instskip(NEXT) | instid1(VALU_DEP_3)
	v_mad_i64_i32 v[8:9], null, s12, 48, v[4:5]
	v_add_co_u32 v202, vcc_lo, v40, v11
	s_delay_alu instid0(VALU_DEP_3) | instskip(SKIP_2) | instid1(VALU_DEP_3)
	v_add_co_ci_u32_e32 v203, vcc_lo, v41, v12, vcc_lo
	s_addc_u32 s23, s21, s19
	s_add_u32 s28, s20, s16
	v_add_co_u32 v11, vcc_lo, v8, s16
	s_delay_alu instid0(VALU_DEP_4) | instskip(SKIP_2) | instid1(VALU_DEP_4)
	v_add_co_ci_u32_e32 v12, vcc_lo, s17, v9, vcc_lo
	v_add_co_u32 v13, vcc_lo, s30, v6
	v_add_co_ci_u32_e32 v14, vcc_lo, s31, v7, vcc_lo
	v_add_co_u32 v204, vcc_lo, v40, v11
	s_delay_alu instid0(VALU_DEP_4) | instskip(NEXT) | instid1(VALU_DEP_4)
	v_add_co_ci_u32_e32 v205, vcc_lo, v41, v12, vcc_lo
	v_add_co_u32 v206, vcc_lo, v40, v13
	s_delay_alu instid0(VALU_DEP_4) | instskip(SKIP_4) | instid1(VALU_DEP_4)
	v_add_co_ci_u32_e32 v207, vcc_lo, v41, v14, vcc_lo
	v_add_co_u32 v11, vcc_lo, v8, s18
	v_add_co_ci_u32_e32 v12, vcc_lo, s19, v9, vcc_lo
	v_add_co_u32 v13, vcc_lo, s20, v6
	;; [unrolled: 2-line block ×3, first 2 shown]
	s_delay_alu instid0(VALU_DEP_4) | instskip(NEXT) | instid1(VALU_DEP_4)
	v_add_co_ci_u32_e32 v209, vcc_lo, v41, v12, vcc_lo
	v_add_co_u32 v210, vcc_lo, v40, v13
	s_delay_alu instid0(VALU_DEP_4)
	v_add_co_ci_u32_e32 v211, vcc_lo, v41, v14, vcc_lo
	v_add_co_u32 v212, vcc_lo, v40, v8
	v_add_co_ci_u32_e32 v213, vcc_lo, v41, v9, vcc_lo
	v_add_co_u32 v11, vcc_lo, s22, v6
	;; [unrolled: 2-line block ×3, first 2 shown]
	v_add_co_ci_u32_e32 v9, vcc_lo, s9, v9, vcc_lo
	s_delay_alu instid0(VALU_DEP_4) | instskip(NEXT) | instid1(VALU_DEP_4)
	v_add_co_u32 v214, vcc_lo, v40, v11
	v_add_co_ci_u32_e32 v215, vcc_lo, v41, v12, vcc_lo
	s_delay_alu instid0(VALU_DEP_4) | instskip(NEXT) | instid1(VALU_DEP_4)
	v_add_co_u32 v216, vcc_lo, v40, v8
	v_add_co_ci_u32_e32 v217, vcc_lo, v41, v9, vcc_lo
	s_addc_u32 s29, s21, s17
	s_lshl_b64 s[22:23], s[12:13], 4
	v_add_co_u32 v8, vcc_lo, s28, v6
	s_add_u32 s28, s1, s22
	v_add_co_ci_u32_e32 v9, vcc_lo, s29, v7, vcc_lo
	s_addc_u32 s29, s5, s23
	v_add_co_u32 v11, vcc_lo, s28, v6
	v_add_co_ci_u32_e32 v12, vcc_lo, s29, v7, vcc_lo
	v_add_co_u32 v218, vcc_lo, v40, v8
	v_add_co_ci_u32_e32 v219, vcc_lo, v41, v9, vcc_lo
	s_delay_alu instid0(VALU_DEP_4)
	v_add_co_u32 v220, vcc_lo, v40, v11
	s_add_u32 s28, s33, s34
	v_add_co_ci_u32_e32 v221, vcc_lo, v41, v12, vcc_lo
	s_addc_u32 s29, s36, s35
	s_lshl_b64 s[12:13], s[12:13], 5
	v_add_co_u32 v4, vcc_lo, s28, v4
	s_add_u32 s28, s12, s20
	v_add_co_ci_u32_e32 v5, vcc_lo, s29, v5, vcc_lo
	s_addc_u32 s29, s13, s21
	s_add_u32 s33, s28, s16
	s_addc_u32 s34, s29, s17
	v_add_co_u32 v8, vcc_lo, s33, v6
	v_add_co_ci_u32_e32 v9, vcc_lo, s34, v7, vcc_lo
	v_add_co_u32 v222, vcc_lo, v40, v4
	v_add_co_ci_u32_e32 v223, vcc_lo, v41, v5, vcc_lo
	s_delay_alu instid0(VALU_DEP_4)
	v_add_co_u32 v224, vcc_lo, v40, v8
	s_add_u32 s30, s30, s22
	v_add_co_ci_u32_e32 v225, vcc_lo, v41, v9, vcc_lo
	s_addc_u32 s31, s31, s23
	v_add_co_u32 v4, vcc_lo, s30, v6
	s_add_u32 s30, s28, s18
	v_add_co_ci_u32_e32 v5, vcc_lo, s31, v7, vcc_lo
	s_addc_u32 s31, s29, s19
	v_add_co_u32 v8, vcc_lo, s30, v6
	v_add_co_ci_u32_e32 v9, vcc_lo, s31, v7, vcc_lo
	v_add_co_u32 v226, vcc_lo, v40, v4
	v_add_co_ci_u32_e32 v227, vcc_lo, v41, v5, vcc_lo
	s_delay_alu instid0(VALU_DEP_4)
	v_add_co_u32 v228, vcc_lo, v40, v8
	s_add_u32 s20, s20, s22
	v_add_co_ci_u32_e32 v229, vcc_lo, v41, v9, vcc_lo
	s_addc_u32 s21, s21, s23
	v_add_co_u32 v4, vcc_lo, s20, v6
	v_add_co_ci_u32_e32 v5, vcc_lo, s21, v7, vcc_lo
	v_add_co_u32 v8, vcc_lo, s28, v6
	v_add_co_ci_u32_e32 v9, vcc_lo, s29, v7, vcc_lo
	s_delay_alu instid0(VALU_DEP_4) | instskip(NEXT) | instid1(VALU_DEP_4)
	v_add_co_u32 v230, vcc_lo, v40, v4
	v_add_co_ci_u32_e32 v231, vcc_lo, v41, v5, vcc_lo
	s_delay_alu instid0(VALU_DEP_4)
	v_add_co_u32 v232, vcc_lo, v40, v8
	s_add_u32 s18, s20, s18
	v_add_co_ci_u32_e32 v233, vcc_lo, v41, v9, vcc_lo
	s_addc_u32 s19, s21, s19
	v_add_co_u32 v4, vcc_lo, s18, v6
	s_add_u32 s8, s28, s8
	v_add_co_ci_u32_e32 v5, vcc_lo, s19, v7, vcc_lo
	s_addc_u32 s9, s29, s9
	v_add_co_u32 v8, vcc_lo, s8, v6
	v_add_co_ci_u32_e32 v9, vcc_lo, s9, v7, vcc_lo
	v_add_co_u32 v234, vcc_lo, v40, v4
	v_add_co_ci_u32_e32 v235, vcc_lo, v41, v5, vcc_lo
	s_delay_alu instid0(VALU_DEP_4)
	v_add_co_u32 v236, vcc_lo, v40, v8
	s_add_u32 s8, s20, s16
	v_add_co_ci_u32_e32 v237, vcc_lo, v41, v9, vcc_lo
	s_addc_u32 s9, s21, s17
	v_add_co_u32 v4, vcc_lo, s8, v6
	s_add_u32 s1, s1, s12
	v_add_co_ci_u32_e32 v5, vcc_lo, s9, v7, vcc_lo
	s_addc_u32 s5, s5, s13
	v_add_co_u32 v6, vcc_lo, s1, v6
	v_add_co_ci_u32_e32 v7, vcc_lo, s5, v7, vcc_lo
	v_add_co_u32 v238, vcc_lo, v40, v4
	v_mov_b32_e32 v4, 0
	v_add_co_ci_u32_e32 v239, vcc_lo, v41, v5, vcc_lo
	v_add_co_u32 v240, vcc_lo, v40, v6
	v_or_b32_e32 v181, 2, v175
	v_or_b32_e32 v185, 3, v175
	v_add_nc_u32_e32 v255, 16, v175
	v_add_nc_u32_e32 v169, 17, v175
	;; [unrolled: 1-line block ×12, first 2 shown]
	v_add_co_ci_u32_e32 v241, vcc_lo, v41, v7, vcc_lo
	s_cmp_eq_u32 s24, s14
	s_cselect_b32 s12, s26, 0
	s_and_saveexec_b32 s1, s2
	s_cbranch_execz .LBB54_136
.LBB54_132:
	v_cmp_le_i32_e32 vcc_lo, s12, v170
	s_cmp_lg_u32 s12, 0
	s_cselect_b32 s5, -1, 0
	s_delay_alu instid0(SALU_CYCLE_1) | instskip(NEXT) | instid1(SALU_CYCLE_1)
	s_and_b32 s5, s5, vcc_lo
	s_and_saveexec_b32 s8, s5
	s_delay_alu instid0(SALU_CYCLE_1)
	s_xor_b32 s5, exec_lo, s8
	s_cbranch_execz .LBB54_134
; %bb.133:
	scratch_load_b32 v8, off, off           ; 4-byte Folded Reload
	v_mov_b32_e32 v5, v4
	v_mov_b32_e32 v6, v4
	;; [unrolled: 1-line block ×3, first 2 shown]
	s_waitcnt vmcnt(0)
	ds_store_b128 v8, v[4:7]
.LBB54_134:
	s_and_not1_saveexec_b32 s5, s5
	s_cbranch_execz .LBB54_136
; %bb.135:
	s_ashr_i32 s5, s4, 31
	s_delay_alu instid0(SALU_CYCLE_1) | instskip(NEXT) | instid1(SALU_CYCLE_1)
	s_lshl_b64 s[8:9], s[4:5], 4
	v_add_co_u32 v5, vcc_lo, v176, s8
	v_add_co_ci_u32_e32 v6, vcc_lo, s9, v177, vcc_lo
	flat_load_b128 v[5:8], v[5:6]
	scratch_load_b32 v9, off, off           ; 4-byte Folded Reload
	s_waitcnt vmcnt(0) lgkmcnt(0)
	ds_store_2addr_b64 v9, v[5:6], v[7:8] offset1:1
.LBB54_136:                             ; =>This Inner Loop Header: Depth=1
	s_or_b32 exec_lo, exec_lo, s1
	s_cmp_eq_u32 s12, 0
	v_add_co_u32 v17, vcc_lo, v210, v200
	s_cselect_b32 s5, -1, 0
	s_cmp_lg_u32 s12, 0
	v_add_co_ci_u32_e32 v18, vcc_lo, v211, v201, vcc_lo
	s_cselect_b32 s1, -1, 0
	s_waitcnt lgkmcnt(0)
	s_waitcnt_vscnt null, 0x0
	s_and_b32 vcc_lo, exec_lo, s1
	s_barrier
	buffer_gl0_inv
	s_cbranch_vccz .LBB54_144
; %bb.137:                              ;   in Loop: Header=BB54_136 Depth=1
	v_mov_b32_e32 v5, 0
	v_mov_b32_e32 v6, 0
	s_mov_b32 s8, exec_lo
	s_delay_alu instid0(VALU_DEP_1)
	v_dual_mov_b32 v10, v6 :: v_dual_mov_b32 v9, v5
	v_dual_mov_b32 v12, v6 :: v_dual_mov_b32 v11, v5
	v_cmpx_gt_i32_e64 s12, v175
	s_cbranch_execz .LBB54_139
; %bb.138:                              ;   in Loop: Header=BB54_136 Depth=1
	flat_load_b128 v[9:12], v[17:18]
.LBB54_139:                             ;   in Loop: Header=BB54_136 Depth=1
	s_or_b32 exec_lo, exec_lo, s8
	v_or_b32_e32 v7, 1, v175
	s_delay_alu instid0(VALU_DEP_1)
	v_cmp_gt_i32_e32 vcc_lo, s12, v7
	v_dual_mov_b32 v8, v6 :: v_dual_mov_b32 v7, v5
	s_and_saveexec_b32 s8, vcc_lo
	s_cbranch_execz .LBB54_141
; %bb.140:                              ;   in Loop: Header=BB54_136 Depth=1
	v_add_co_u32 v5, vcc_lo, v206, v200
	v_add_co_ci_u32_e32 v6, vcc_lo, v207, v201, vcc_lo
	flat_load_b128 v[5:8], v[5:6]
.LBB54_141:                             ;   in Loop: Header=BB54_136 Depth=1
	s_or_b32 exec_lo, exec_lo, s8
	v_mov_b32_e32 v13, 0
	v_mov_b32_e32 v14, 0
	s_mov_b64 s[8:9], 0
	s_mov_b32 s13, exec_lo
	s_delay_alu instid0(VALU_DEP_1)
	v_dual_mov_b32 v16, v14 :: v_dual_mov_b32 v15, v13
	v_cmpx_gt_i32_e64 s12, v181
	s_cbranch_execz .LBB54_143
; %bb.142:                              ;   in Loop: Header=BB54_136 Depth=1
	v_add_co_u32 v13, vcc_lo, v214, v200
	v_add_co_ci_u32_e32 v14, vcc_lo, v215, v201, vcc_lo
	flat_load_b128 v[13:16], v[13:14]
.LBB54_143:                             ;   in Loop: Header=BB54_136 Depth=1
	s_or_b32 exec_lo, exec_lo, s13
	v_cmp_gt_i32_e64 s13, s12, v185
	s_branch .LBB54_146
.LBB54_144:                             ;   in Loop: Header=BB54_136 Depth=1
	s_mov_b32 s13, 0
                                        ; implicit-def: $sgpr8_sgpr9
                                        ; implicit-def: $vgpr15_vgpr16
                                        ; implicit-def: $vgpr7_vgpr8
                                        ; implicit-def: $vgpr11_vgpr12
	s_cbranch_execz .LBB54_146
; %bb.145:                              ;   in Loop: Header=BB54_136 Depth=1
	s_waitcnt vmcnt(0) lgkmcnt(0)
	v_add_co_u32 v5, vcc_lo, v206, v200
	v_add_co_ci_u32_e32 v6, vcc_lo, v207, v201, vcc_lo
	v_add_co_u32 v13, vcc_lo, v202, v200
	v_add_co_ci_u32_e32 v14, vcc_lo, v203, v201, vcc_lo
	flat_load_b128 v[9:12], v[17:18]
	flat_load_b128 v[5:8], v[5:6]
	;; [unrolled: 1-line block ×3, first 2 shown]
	s_or_b32 s13, s13, exec_lo
                                        ; implicit-def: $sgpr8_sgpr9
.LBB54_146:                             ;   in Loop: Header=BB54_136 Depth=1
	v_dual_mov_b32 v18, s9 :: v_dual_mov_b32 v17, s8
	v_dual_mov_b32 v20, s9 :: v_dual_mov_b32 v19, s8
	s_delay_alu instid0(VALU_DEP_3)
	s_and_saveexec_b32 s8, s13
	s_cbranch_execz .LBB54_148
; %bb.147:                              ;   in Loop: Header=BB54_136 Depth=1
	v_add_co_u32 v17, vcc_lo, v218, v200
	v_add_co_ci_u32_e32 v18, vcc_lo, v219, v201, vcc_lo
	flat_load_b128 v[17:20], v[17:18]
.LBB54_148:                             ;   in Loop: Header=BB54_136 Depth=1
	s_or_b32 exec_lo, exec_lo, s8
	ds_load_b128 v[25:28], v179
	ds_load_b128 v[21:24], v186
	v_add_co_u32 v49, vcc_lo, v230, v200
	v_cndmask_b32_e64 v117, 0, 1, s1
	v_add_co_ci_u32_e32 v50, vcc_lo, v231, v201, vcc_lo
	s_and_not1_b32 vcc_lo, exec_lo, s1
	s_waitcnt vmcnt(0) lgkmcnt(1)
	v_mul_f64 v[29:30], v[11:12], v[27:28]
	v_mul_f64 v[31:32], v[11:12], v[25:26]
	;; [unrolled: 1-line block ×8, first 2 shown]
	v_fma_f64 v[29:30], v[9:10], v[25:26], v[29:30]
	v_fma_f64 v[31:32], v[9:10], v[27:28], -v[31:32]
	v_fma_f64 v[37:38], v[5:6], v[25:26], v[33:34]
	v_fma_f64 v[39:40], v[5:6], v[27:28], -v[35:36]
	;; [unrolled: 2-line block ×4, first 2 shown]
	ds_store_b128 v187, v[29:32]
	ds_load_b128 v[33:36], v186 offset:16
	ds_store_b128 v187, v[37:40] offset:1072
	ds_load_b128 v[29:32], v186 offset:32
	ds_store_b128 v187, v[41:44] offset:2144
	ds_load_b128 v[25:28], v186 offset:48
	ds_store_b128 v187, v[45:48] offset:3216
	s_waitcnt lgkmcnt(0)
	s_barrier
	buffer_gl0_inv
	ds_load_b128 v[93:96], v182
	ds_load_b128 v[89:92], v182 offset:16
	ds_load_b128 v[85:88], v182 offset:32
	;; [unrolled: 1-line block ×3, first 2 shown]
	s_waitcnt lgkmcnt(0)
	s_barrier
	buffer_gl0_inv
	s_cbranch_vccnz .LBB54_156
; %bb.149:                              ;   in Loop: Header=BB54_136 Depth=1
	v_mov_b32_e32 v37, 0
	v_mov_b32_e32 v38, 0
	s_mov_b32 s1, exec_lo
	s_delay_alu instid0(VALU_DEP_1)
	v_dual_mov_b32 v42, v38 :: v_dual_mov_b32 v41, v37
	v_dual_mov_b32 v44, v38 :: v_dual_mov_b32 v43, v37
	v_cmpx_gt_i32_e64 s12, v255
	s_cbranch_execz .LBB54_151
; %bb.150:                              ;   in Loop: Header=BB54_136 Depth=1
	flat_load_b128 v[41:44], v[49:50]
.LBB54_151:                             ;   in Loop: Header=BB54_136 Depth=1
	s_or_b32 exec_lo, exec_lo, s1
	v_dual_mov_b32 v40, v38 :: v_dual_mov_b32 v39, v37
	s_mov_b32 s1, exec_lo
	v_cmpx_gt_i32_e64 s12, v169
	s_cbranch_execz .LBB54_153
; %bb.152:                              ;   in Loop: Header=BB54_136 Depth=1
	v_add_co_u32 v37, vcc_lo, v226, v200
	v_add_co_ci_u32_e32 v38, vcc_lo, v227, v201, vcc_lo
	flat_load_b128 v[37:40], v[37:38]
.LBB54_153:                             ;   in Loop: Header=BB54_136 Depth=1
	s_or_b32 exec_lo, exec_lo, s1
	v_mov_b32_e32 v45, 0
	v_mov_b32_e32 v46, 0
	s_mov_b64 s[8:9], 0
	s_mov_b32 s1, exec_lo
	s_delay_alu instid0(VALU_DEP_1)
	v_dual_mov_b32 v48, v46 :: v_dual_mov_b32 v47, v45
	v_cmpx_gt_i32_e64 s12, v178
	s_cbranch_execz .LBB54_155
; %bb.154:                              ;   in Loop: Header=BB54_136 Depth=1
	v_add_co_u32 v45, vcc_lo, v234, v200
	v_add_co_ci_u32_e32 v46, vcc_lo, v235, v201, vcc_lo
	flat_load_b128 v[45:48], v[45:46]
.LBB54_155:                             ;   in Loop: Header=BB54_136 Depth=1
	s_or_b32 exec_lo, exec_lo, s1
	v_cmp_gt_i32_e64 s1, s12, v174
	s_branch .LBB54_158
.LBB54_156:                             ;   in Loop: Header=BB54_136 Depth=1
	s_mov_b32 s1, 0
                                        ; implicit-def: $sgpr8_sgpr9
                                        ; implicit-def: $vgpr47_vgpr48
                                        ; implicit-def: $vgpr39_vgpr40
                                        ; implicit-def: $vgpr43_vgpr44
	s_cbranch_execz .LBB54_158
; %bb.157:                              ;   in Loop: Header=BB54_136 Depth=1
	s_waitcnt vmcnt(0) lgkmcnt(0)
	v_add_co_u32 v37, vcc_lo, v226, v200
	v_add_co_ci_u32_e32 v38, vcc_lo, v227, v201, vcc_lo
	v_add_co_u32 v45, vcc_lo, v220, v200
	v_add_co_ci_u32_e32 v46, vcc_lo, v221, v201, vcc_lo
	flat_load_b128 v[41:44], v[49:50]
	flat_load_b128 v[37:40], v[37:38]
	;; [unrolled: 1-line block ×3, first 2 shown]
	s_or_b32 s1, s1, exec_lo
                                        ; implicit-def: $sgpr8_sgpr9
.LBB54_158:                             ;   in Loop: Header=BB54_136 Depth=1
	v_dual_mov_b32 v50, s9 :: v_dual_mov_b32 v49, s8
	v_dual_mov_b32 v52, s9 :: v_dual_mov_b32 v51, s8
	s_delay_alu instid0(VALU_DEP_3)
	s_and_saveexec_b32 s8, s1
	s_cbranch_execz .LBB54_160
; %bb.159:                              ;   in Loop: Header=BB54_136 Depth=1
	v_add_co_u32 v49, vcc_lo, v238, v200
	v_add_co_ci_u32_e32 v50, vcc_lo, v239, v201, vcc_lo
	flat_load_b128 v[49:52], v[49:50]
.LBB54_160:                             ;   in Loop: Header=BB54_136 Depth=1
	s_or_b32 exec_lo, exec_lo, s8
	ds_load_b128 v[57:60], v179
	ds_load_b128 v[53:56], v186 offset:256
	v_cmp_ne_u32_e32 vcc_lo, 1, v117
	v_add_co_u32 v97, s1, v232, v200
	s_delay_alu instid0(VALU_DEP_1)
	v_add_co_ci_u32_e64 v98, s1, v233, v201, s1
	s_and_b32 vcc_lo, exec_lo, vcc_lo
	s_waitcnt vmcnt(0) lgkmcnt(1)
	v_mul_f64 v[61:62], v[43:44], v[59:60]
	v_mul_f64 v[63:64], v[43:44], v[57:58]
	;; [unrolled: 1-line block ×8, first 2 shown]
	v_fma_f64 v[61:62], v[41:42], v[57:58], v[61:62]
	v_fma_f64 v[63:64], v[41:42], v[59:60], -v[63:64]
	v_fma_f64 v[69:70], v[37:38], v[57:58], v[65:66]
	v_fma_f64 v[71:72], v[37:38], v[59:60], -v[67:68]
	;; [unrolled: 2-line block ×4, first 2 shown]
	ds_store_b128 v187, v[61:64]
	ds_load_b128 v[65:68], v186 offset:272
	ds_store_b128 v187, v[69:72] offset:1072
	ds_load_b128 v[61:64], v186 offset:288
	ds_store_b128 v187, v[73:76] offset:2144
	;; [unrolled: 2-line block ×3, first 2 shown]
	s_waitcnt lgkmcnt(0)
	s_barrier
	buffer_gl0_inv
	ds_load_b128 v[141:144], v182
	ds_load_b128 v[137:140], v182 offset:16
	ds_load_b128 v[133:136], v182 offset:32
	;; [unrolled: 1-line block ×3, first 2 shown]
	s_waitcnt lgkmcnt(0)
	s_barrier
	buffer_gl0_inv
	s_cbranch_vccnz .LBB54_168
; %bb.161:                              ;   in Loop: Header=BB54_136 Depth=1
	v_mov_b32_e32 v69, 0
	v_mov_b32_e32 v70, 0
	s_mov_b32 s1, exec_lo
	s_delay_alu instid0(VALU_DEP_1)
	v_dual_mov_b32 v74, v70 :: v_dual_mov_b32 v73, v69
	v_dual_mov_b32 v76, v70 :: v_dual_mov_b32 v75, v69
	v_cmpx_gt_i32_e64 s12, v192
	s_cbranch_execz .LBB54_163
; %bb.162:                              ;   in Loop: Header=BB54_136 Depth=1
	flat_load_b128 v[73:76], v[97:98]
.LBB54_163:                             ;   in Loop: Header=BB54_136 Depth=1
	s_or_b32 exec_lo, exec_lo, s1
	v_dual_mov_b32 v72, v70 :: v_dual_mov_b32 v71, v69
	s_mov_b32 s1, exec_lo
	v_cmpx_gt_i32_e64 s12, v193
	s_cbranch_execz .LBB54_165
; %bb.164:                              ;   in Loop: Header=BB54_136 Depth=1
	v_add_co_u32 v69, vcc_lo, v236, v200
	v_add_co_ci_u32_e32 v70, vcc_lo, v237, v201, vcc_lo
	flat_load_b128 v[69:72], v[69:70]
.LBB54_165:                             ;   in Loop: Header=BB54_136 Depth=1
	s_or_b32 exec_lo, exec_lo, s1
	v_mov_b32_e32 v77, 0
	v_mov_b32_e32 v78, 0
	s_mov_b64 s[8:9], 0
	s_mov_b32 s1, exec_lo
	s_delay_alu instid0(VALU_DEP_1)
	v_dual_mov_b32 v80, v78 :: v_dual_mov_b32 v79, v77
	v_cmpx_gt_i32_e64 s12, v194
	s_cbranch_execz .LBB54_167
; %bb.166:                              ;   in Loop: Header=BB54_136 Depth=1
	v_add_co_u32 v77, vcc_lo, v228, v200
	v_add_co_ci_u32_e32 v78, vcc_lo, v229, v201, vcc_lo
	flat_load_b128 v[77:80], v[77:78]
.LBB54_167:                             ;   in Loop: Header=BB54_136 Depth=1
	s_or_b32 exec_lo, exec_lo, s1
	v_cmp_gt_i32_e64 s1, s12, v195
	s_branch .LBB54_170
.LBB54_168:                             ;   in Loop: Header=BB54_136 Depth=1
	s_mov_b32 s1, 0
                                        ; implicit-def: $sgpr8_sgpr9
                                        ; implicit-def: $vgpr79_vgpr80
                                        ; implicit-def: $vgpr71_vgpr72
                                        ; implicit-def: $vgpr75_vgpr76
	s_cbranch_execz .LBB54_170
; %bb.169:                              ;   in Loop: Header=BB54_136 Depth=1
	s_waitcnt vmcnt(0) lgkmcnt(0)
	v_add_co_u32 v69, vcc_lo, v236, v200
	v_add_co_ci_u32_e32 v70, vcc_lo, v237, v201, vcc_lo
	v_add_co_u32 v77, vcc_lo, v240, v200
	v_add_co_ci_u32_e32 v78, vcc_lo, v241, v201, vcc_lo
	flat_load_b128 v[73:76], v[97:98]
	flat_load_b128 v[69:72], v[69:70]
	;; [unrolled: 1-line block ×3, first 2 shown]
	s_or_b32 s1, s1, exec_lo
                                        ; implicit-def: $sgpr8_sgpr9
.LBB54_170:                             ;   in Loop: Header=BB54_136 Depth=1
	v_dual_mov_b32 v98, s9 :: v_dual_mov_b32 v97, s8
	v_dual_mov_b32 v100, s9 :: v_dual_mov_b32 v99, s8
	s_delay_alu instid0(VALU_DEP_3)
	s_and_saveexec_b32 s8, s1
	s_cbranch_execz .LBB54_172
; %bb.171:                              ;   in Loop: Header=BB54_136 Depth=1
	v_add_co_u32 v97, vcc_lo, v224, v200
	v_add_co_ci_u32_e32 v98, vcc_lo, v225, v201, vcc_lo
	flat_load_b128 v[97:100], v[97:98]
.LBB54_172:                             ;   in Loop: Header=BB54_136 Depth=1
	s_or_b32 exec_lo, exec_lo, s8
	ds_load_b128 v[105:108], v179
	ds_load_b128 v[101:104], v186 offset:512
	v_cmp_ne_u32_e32 vcc_lo, 1, v117
	s_and_b32 vcc_lo, exec_lo, vcc_lo
	s_waitcnt vmcnt(0) lgkmcnt(1)
	v_mul_f64 v[109:110], v[75:76], v[107:108]
	v_mul_f64 v[111:112], v[75:76], v[105:106]
	;; [unrolled: 1-line block ×8, first 2 shown]
	v_fma_f64 v[109:110], v[73:74], v[105:106], v[109:110]
	v_fma_f64 v[111:112], v[73:74], v[107:108], -v[111:112]
	v_fma_f64 v[118:119], v[69:70], v[105:106], v[113:114]
	v_fma_f64 v[120:121], v[69:70], v[107:108], -v[115:116]
	;; [unrolled: 2-line block ×4, first 2 shown]
	ds_store_b128 v187, v[109:112]
	ds_load_b128 v[113:116], v186 offset:528
	ds_store_b128 v187, v[118:121] offset:1072
	ds_load_b128 v[109:112], v186 offset:544
	ds_store_b128 v187, v[122:125] offset:2144
	;; [unrolled: 2-line block ×3, first 2 shown]
	s_waitcnt lgkmcnt(0)
	s_barrier
	buffer_gl0_inv
	ds_load_b128 v[165:168], v182
	ds_load_b128 v[161:164], v182 offset:16
	ds_load_b128 v[153:156], v182 offset:32
	;; [unrolled: 1-line block ×3, first 2 shown]
	v_add_co_u32 v145, s1, v212, v200
	s_delay_alu instid0(VALU_DEP_1)
	v_add_co_ci_u32_e64 v146, s1, v213, v201, s1
	s_waitcnt lgkmcnt(0)
	s_barrier
	buffer_gl0_inv
	s_cbranch_vccnz .LBB54_180
; %bb.173:                              ;   in Loop: Header=BB54_136 Depth=1
	v_mov_b32_e32 v117, 0
	v_mov_b32_e32 v118, 0
	s_mov_b32 s1, exec_lo
	s_delay_alu instid0(VALU_DEP_1)
	v_dual_mov_b32 v122, v118 :: v_dual_mov_b32 v121, v117
	v_dual_mov_b32 v124, v118 :: v_dual_mov_b32 v123, v117
	v_cmpx_gt_i32_e64 s12, v196
	s_cbranch_execz .LBB54_175
; %bb.174:                              ;   in Loop: Header=BB54_136 Depth=1
	flat_load_b128 v[121:124], v[145:146]
.LBB54_175:                             ;   in Loop: Header=BB54_136 Depth=1
	s_or_b32 exec_lo, exec_lo, s1
	v_dual_mov_b32 v120, v118 :: v_dual_mov_b32 v119, v117
	s_mov_b32 s1, exec_lo
	v_cmpx_gt_i32_e64 s12, v197
	s_cbranch_execz .LBB54_177
; %bb.176:                              ;   in Loop: Header=BB54_136 Depth=1
	v_add_co_u32 v117, vcc_lo, v216, v200
	v_add_co_ci_u32_e32 v118, vcc_lo, v217, v201, vcc_lo
	flat_load_b128 v[117:120], v[117:118]
.LBB54_177:                             ;   in Loop: Header=BB54_136 Depth=1
	s_or_b32 exec_lo, exec_lo, s1
	v_mov_b32_e32 v125, 0
	v_mov_b32_e32 v126, 0
	s_mov_b64 s[8:9], 0
	s_mov_b32 s1, exec_lo
	s_delay_alu instid0(VALU_DEP_1)
	v_dual_mov_b32 v128, v126 :: v_dual_mov_b32 v127, v125
	v_cmpx_gt_i32_e64 s12, v198
	s_cbranch_execz .LBB54_179
; %bb.178:                              ;   in Loop: Header=BB54_136 Depth=1
	v_add_co_u32 v125, vcc_lo, v208, v200
	v_add_co_ci_u32_e32 v126, vcc_lo, v209, v201, vcc_lo
	flat_load_b128 v[125:128], v[125:126]
.LBB54_179:                             ;   in Loop: Header=BB54_136 Depth=1
	s_or_b32 exec_lo, exec_lo, s1
	v_cmp_gt_i32_e64 s1, s12, v199
	s_branch .LBB54_182
.LBB54_180:                             ;   in Loop: Header=BB54_136 Depth=1
	s_mov_b32 s1, 0
                                        ; implicit-def: $sgpr8_sgpr9
                                        ; implicit-def: $vgpr127_vgpr128
                                        ; implicit-def: $vgpr119_vgpr120
                                        ; implicit-def: $vgpr123_vgpr124
	s_cbranch_execz .LBB54_182
; %bb.181:                              ;   in Loop: Header=BB54_136 Depth=1
	s_waitcnt vmcnt(0) lgkmcnt(0)
	v_add_co_u32 v117, vcc_lo, v216, v200
	v_add_co_ci_u32_e32 v118, vcc_lo, v217, v201, vcc_lo
	v_add_co_u32 v125, vcc_lo, v222, v200
	v_add_co_ci_u32_e32 v126, vcc_lo, v223, v201, vcc_lo
	flat_load_b128 v[121:124], v[145:146]
	flat_load_b128 v[117:120], v[117:118]
	;; [unrolled: 1-line block ×3, first 2 shown]
	s_or_b32 s1, s1, exec_lo
                                        ; implicit-def: $sgpr8_sgpr9
.LBB54_182:                             ;   in Loop: Header=BB54_136 Depth=1
	v_dual_mov_b32 v146, s9 :: v_dual_mov_b32 v145, s8
	v_dual_mov_b32 v148, s9 :: v_dual_mov_b32 v147, s8
	s_delay_alu instid0(VALU_DEP_3)
	s_and_saveexec_b32 s8, s1
	s_cbranch_execz .LBB54_184
; %bb.183:                              ;   in Loop: Header=BB54_136 Depth=1
	v_add_co_u32 v145, vcc_lo, v204, v200
	v_add_co_ci_u32_e32 v146, vcc_lo, v205, v201, vcc_lo
	flat_load_b128 v[145:148], v[145:146]
.LBB54_184:                             ;   in Loop: Header=BB54_136 Depth=1
	s_or_b32 exec_lo, exec_lo, s8
	v_add_f64 v[93:94], v[93:94], 0
	v_add_f64 v[95:96], v[95:96], 0
	ds_load_b128 v[243:246], v179
	ds_load_b128 v[157:160], v186 offset:768
	v_add_f64 v[165:166], v[165:166], 0
	v_add_f64 v[167:168], v[167:168], 0
	v_cmp_gt_i32_e32 vcc_lo, s12, v170
	s_or_b32 s1, s5, vcc_lo
	s_delay_alu instid0(SALU_CYCLE_1)
	s_and_b32 s5, s0, s1
	s_waitcnt vmcnt(0) lgkmcnt(1)
	v_mul_f64 v[188:189], v[123:124], v[245:246]
	v_mul_f64 v[190:191], v[123:124], v[243:244]
	;; [unrolled: 1-line block ×4, first 2 shown]
	v_add_f64 v[89:90], v[93:94], v[89:90]
	v_add_f64 v[91:92], v[95:96], v[91:92]
	v_add_f64 v[161:162], v[165:166], v[161:162]
	v_add_f64 v[163:164], v[167:168], v[163:164]
	v_fma_f64 v[247:248], v[121:122], v[243:244], v[188:189]
	v_fma_f64 v[249:250], v[121:122], v[245:246], -v[190:191]
	v_mul_f64 v[188:189], v[119:120], v[245:246]
	v_mul_f64 v[190:191], v[119:120], v[243:244]
	v_add_f64 v[85:86], v[89:90], v[85:86]
	v_add_f64 v[87:88], v[91:92], v[87:88]
	;; [unrolled: 1-line block ×4, first 2 shown]
	ds_store_b128 v187, v[247:250]
	v_fma_f64 v[251:252], v[117:118], v[243:244], v[188:189]
	v_fma_f64 v[253:254], v[117:118], v[245:246], -v[190:191]
	v_mul_f64 v[188:189], v[127:128], v[245:246]
	v_mul_f64 v[190:191], v[127:128], v[243:244]
	ds_load_b128 v[89:92], v186 offset:784
	v_add_f64 v[93:94], v[85:86], v[81:82]
	v_add_f64 v[95:96], v[87:88], v[83:84]
	;; [unrolled: 1-line block ×6, first 2 shown]
	ds_store_b128 v187, v[251:254] offset:1072
	v_fma_f64 v[188:189], v[125:126], v[243:244], v[188:189]
	v_fma_f64 v[190:191], v[125:126], v[245:246], -v[190:191]
	v_fma_f64 v[243:244], v[145:146], v[243:244], v[183:184]
	v_fma_f64 v[245:246], v[145:146], v[245:246], -v[172:173]
	ds_load_b128 v[85:88], v186 offset:800
	v_add_f64 v[81:82], v[81:82], v[137:138]
	v_add_f64 v[83:84], v[83:84], v[139:140]
	ds_store_b128 v187, v[188:191] offset:2144
	v_add_f64 v[81:82], v[81:82], v[133:134]
	v_add_f64 v[83:84], v[83:84], v[135:136]
	s_delay_alu instid0(VALU_DEP_2) | instskip(NEXT) | instid1(VALU_DEP_2)
	v_add_f64 v[129:130], v[81:82], v[129:130]
	v_add_f64 v[131:132], v[83:84], v[131:132]
	ds_load_b128 v[81:84], v186 offset:816
	ds_store_b128 v187, v[243:246] offset:3216
	s_waitcnt lgkmcnt(0)
	s_barrier
	buffer_gl0_inv
	ds_load_b128 v[133:136], v182
	ds_load_b128 v[137:140], v182 offset:16
	s_waitcnt lgkmcnt(1)
	v_add_f64 v[133:134], v[133:134], 0
	v_add_f64 v[135:136], v[135:136], 0
	s_waitcnt lgkmcnt(0)
	s_delay_alu instid0(VALU_DEP_2) | instskip(NEXT) | instid1(VALU_DEP_2)
	v_add_f64 v[141:142], v[133:134], v[137:138]
	v_add_f64 v[143:144], v[135:136], v[139:140]
	ds_load_b128 v[133:136], v182 offset:32
	ds_load_b128 v[137:140], v182 offset:48
	s_waitcnt lgkmcnt(0)
	s_barrier
	buffer_gl0_inv
	ds_store_b128 v242, v[93:96]
	ds_store_b128 v242, v[129:132] offset:256
	ds_store_b128 v242, v[149:152] offset:512
	v_add_f64 v[133:134], v[141:142], v[133:134]
	v_add_f64 v[135:136], v[143:144], v[135:136]
	s_delay_alu instid0(VALU_DEP_2) | instskip(NEXT) | instid1(VALU_DEP_2)
	v_add_f64 v[133:134], v[133:134], v[137:138]
	v_add_f64 v[135:136], v[135:136], v[139:140]
	ds_store_b128 v242, v[133:136] offset:768
	s_waitcnt lgkmcnt(0)
	s_barrier
	buffer_gl0_inv
	s_and_saveexec_b32 s1, s5
	s_cbranch_execz .LBB54_186
; %bb.185:                              ;   in Loop: Header=BB54_136 Depth=1
	ds_load_b128 v[93:96], v180
	ds_load_b128 v[129:132], v180 offset:16
	v_ashrrev_i32_e32 v172, 31, v171
	s_waitcnt lgkmcnt(0)
	v_add_f64 v[133:134], v[129:130], v[93:94]
	v_add_f64 v[135:136], v[131:132], v[95:96]
	ds_load_b128 v[93:96], v180 offset:32
	ds_load_b128 v[129:132], v180 offset:48
	s_waitcnt lgkmcnt(1)
	v_add_f64 v[93:94], v[133:134], v[93:94]
	v_add_f64 v[95:96], v[135:136], v[95:96]
	s_waitcnt lgkmcnt(0)
	s_delay_alu instid0(VALU_DEP_2) | instskip(NEXT) | instid1(VALU_DEP_2)
	v_add_f64 v[133:134], v[93:94], v[129:130]
	v_add_f64 v[135:136], v[95:96], v[131:132]
	ds_load_b128 v[93:96], v180 offset:64
	ds_load_b128 v[129:132], v180 offset:80
	s_waitcnt lgkmcnt(1)
	v_add_f64 v[93:94], v[133:134], v[93:94]
	v_add_f64 v[95:96], v[135:136], v[95:96]
	s_waitcnt lgkmcnt(0)
	s_delay_alu instid0(VALU_DEP_2) | instskip(NEXT) | instid1(VALU_DEP_2)
	;; [unrolled: 9-line block ×5, first 2 shown]
	v_add_f64 v[133:134], v[93:94], v[129:130]
	v_add_f64 v[135:136], v[95:96], v[131:132]
	ds_load_b128 v[93:96], v180 offset:192
	ds_load_b128 v[129:132], v180 offset:208
	s_waitcnt lgkmcnt(1)
	v_add_f64 v[93:94], v[133:134], v[93:94]
	v_add_f64 v[95:96], v[135:136], v[95:96]
	s_waitcnt lgkmcnt(0)
	s_delay_alu instid0(VALU_DEP_2)
	v_add_f64 v[133:134], v[93:94], v[129:130]
	scratch_load_b32 v129, off, off offset:4 ; 4-byte Folded Reload
	v_add_f64 v[135:136], v[95:96], v[131:132]
	ds_load_b128 v[93:96], v180 offset:224
	s_waitcnt vmcnt(0)
	ds_load_b128 v[129:132], v129
	s_waitcnt lgkmcnt(1)
	v_add_f64 v[93:94], v[133:134], v[93:94]
	v_add_f64 v[95:96], v[135:136], v[95:96]
	s_waitcnt lgkmcnt(0)
	s_delay_alu instid0(VALU_DEP_2) | instskip(NEXT) | instid1(VALU_DEP_2)
	v_add_f64 v[93:94], v[93:94], v[129:130]
	v_add_f64 v[95:96], v[95:96], v[131:132]
	v_lshlrev_b64 v[129:130], 4, v[171:172]
	s_delay_alu instid0(VALU_DEP_1) | instskip(NEXT) | instid1(VALU_DEP_2)
	v_add_co_u32 v129, vcc_lo, s3, v129
	v_add_co_ci_u32_e32 v130, vcc_lo, s11, v130, vcc_lo
	global_store_b128 v[129:130], v[93:96], off
.LBB54_186:                             ;   in Loop: Header=BB54_136 Depth=1
	s_or_b32 exec_lo, exec_lo, s1
	v_mul_f64 v[93:94], v[11:12], v[23:24]
	v_mul_f64 v[23:24], v[9:10], v[23:24]
	;; [unrolled: 1-line block ×4, first 2 shown]
	v_add_co_u32 v202, vcc_lo, v202, s6
	v_add_co_ci_u32_e32 v203, vcc_lo, s7, v203, vcc_lo
	v_add_co_u32 v204, vcc_lo, v204, s6
	v_add_co_ci_u32_e32 v205, vcc_lo, s7, v205, vcc_lo
	;; [unrolled: 2-line block ×8, first 2 shown]
	v_add_co_u32 v218, vcc_lo, v218, s6
	v_fma_f64 v[9:10], v[9:10], v[21:22], -v[93:94]
	v_fma_f64 v[11:12], v[11:12], v[21:22], v[23:24]
	v_mul_f64 v[21:22], v[15:16], v[31:32]
	v_mul_f64 v[23:24], v[13:14], v[31:32]
	v_fma_f64 v[5:6], v[5:6], v[33:34], -v[95:96]
	v_fma_f64 v[7:8], v[7:8], v[33:34], v[35:36]
	v_add_co_ci_u32_e32 v219, vcc_lo, s7, v219, vcc_lo
	v_add_co_u32 v220, vcc_lo, v220, s6
	v_add_co_ci_u32_e32 v221, vcc_lo, s7, v221, vcc_lo
	v_add_co_u32 v222, vcc_lo, v222, s6
	;; [unrolled: 2-line block ×8, first 2 shown]
	v_add_f64 v[0:1], v[0:1], v[9:10]
	v_add_f64 v[2:3], v[2:3], v[11:12]
	v_mul_f64 v[9:10], v[19:20], v[27:28]
	v_mul_f64 v[11:12], v[17:18], v[27:28]
	v_fma_f64 v[13:14], v[13:14], v[29:30], -v[21:22]
	v_fma_f64 v[15:16], v[15:16], v[29:30], v[23:24]
	v_add_co_ci_u32_e32 v235, vcc_lo, s7, v235, vcc_lo
	v_add_co_u32 v236, vcc_lo, v236, s6
	v_add_co_ci_u32_e32 v237, vcc_lo, s7, v237, vcc_lo
	v_add_co_u32 v238, vcc_lo, v238, s6
	;; [unrolled: 2-line block ×3, first 2 shown]
	v_add_nc_u32_e32 v171, 64, v171
	v_add_co_ci_u32_e32 v241, vcc_lo, s7, v241, vcc_lo
	s_add_i32 s5, s14, 2
	s_add_i32 s1, s14, 1
	;; [unrolled: 1-line block ×3, first 2 shown]
	s_cmp_ge_u32 s5, s15
	s_waitcnt_vscnt null, 0x0
	s_barrier
	buffer_gl0_inv
	v_add_f64 v[0:1], v[0:1], v[5:6]
	v_add_f64 v[2:3], v[2:3], v[7:8]
	v_mul_f64 v[5:6], v[43:44], v[55:56]
	v_mul_f64 v[7:8], v[41:42], v[55:56]
	v_fma_f64 v[9:10], v[17:18], v[25:26], -v[9:10]
	v_fma_f64 v[11:12], v[19:20], v[25:26], v[11:12]
	v_add_f64 v[0:1], v[0:1], v[13:14]
	v_add_f64 v[2:3], v[2:3], v[15:16]
	v_mul_f64 v[13:14], v[39:40], v[67:68]
	v_mul_f64 v[15:16], v[37:38], v[67:68]
	v_fma_f64 v[5:6], v[41:42], v[53:54], -v[5:6]
	v_fma_f64 v[7:8], v[43:44], v[53:54], v[7:8]
	;; [unrolled: 6-line block ×12, first 2 shown]
	v_add_f64 v[0:1], v[0:1], v[5:6]
	v_add_f64 v[2:3], v[2:3], v[7:8]
	v_fma_f64 v[5:6], v[145:146], v[81:82], -v[9:10]
	v_fma_f64 v[7:8], v[147:148], v[81:82], v[11:12]
	s_delay_alu instid0(VALU_DEP_4) | instskip(NEXT) | instid1(VALU_DEP_4)
	v_add_f64 v[0:1], v[0:1], v[13:14]
	v_add_f64 v[2:3], v[2:3], v[15:16]
	s_delay_alu instid0(VALU_DEP_2) | instskip(NEXT) | instid1(VALU_DEP_2)
	v_add_f64 v[0:1], v[0:1], v[5:6]
	v_add_f64 v[2:3], v[2:3], v[7:8]
	s_cbranch_scc1 .LBB54_188
; %bb.187:                              ;   in Loop: Header=BB54_136 Depth=1
	s_mov_b32 s14, s1
	s_delay_alu instid0(SALU_CYCLE_1)
	s_cmp_eq_u32 s24, s14
	s_cselect_b32 s12, s26, 0
	s_and_saveexec_b32 s1, s2
	s_cbranch_execnz .LBB54_132
	s_branch .LBB54_136
.LBB54_188:
	scratch_load_b32 v4, off, off offset:8  ; 4-byte Folded Reload
	v_lshlrev_b32_e32 v12, 4, v170
	v_cmp_gt_i32_e32 vcc_lo, s10, v170
	s_or_b32 s0, s27, vcc_lo
	s_delay_alu instid0(SALU_CYCLE_1)
	s_and_b32 s0, s2, s0
	s_waitcnt vmcnt(0)
	v_mad_u32_u24 v4, 0x430, v4, v12
	ds_store_b128 v4, v[0:3]
	s_waitcnt lgkmcnt(0)
	s_barrier
	buffer_gl0_inv
	s_and_saveexec_b32 s1, s0
	s_cbranch_execz .LBB54_190
; %bb.189:
	ds_load_b128 v[0:3], v12 offset:1072
	ds_load_b128 v[4:7], v12
	s_waitcnt lgkmcnt(0)
	v_add_f64 v[8:9], v[0:1], v[4:5]
	v_add_f64 v[10:11], v[2:3], v[6:7]
	ds_load_b128 v[0:3], v12 offset:2144
	ds_load_b128 v[4:7], v12 offset:3216
	s_waitcnt lgkmcnt(1)
	v_add_f64 v[0:1], v[8:9], v[0:1]
	v_add_f64 v[2:3], v[10:11], v[2:3]
	s_waitcnt lgkmcnt(0)
	s_delay_alu instid0(VALU_DEP_2) | instskip(SKIP_4) | instid1(VALU_DEP_1)
	v_add_f64 v[0:1], v[0:1], v[4:5]
	scratch_load_b64 v[4:5], off, off offset:12 ; 8-byte Folded Reload
	v_add_f64 v[2:3], v[2:3], v[6:7]
	s_waitcnt vmcnt(0)
	v_ashrrev_i32_e32 v5, 31, v4
	v_lshlrev_b64 v[4:5], 4, v[4:5]
	s_delay_alu instid0(VALU_DEP_1) | instskip(NEXT) | instid1(VALU_DEP_2)
	v_add_co_u32 v4, vcc_lo, s3, v4
	v_add_co_ci_u32_e32 v5, vcc_lo, s11, v5, vcc_lo
	global_store_b128 v[4:5], v[0:3], off
.LBB54_190:
	s_nop 0
	s_sendmsg sendmsg(MSG_DEALLOC_VGPRS)
	s_endpgm
	.section	.rodata,"a",@progbits
	.p2align	6, 0x0
	.amdhsa_kernel _ZL26rocblas_hemvn_kernel_upperILb1ELi64ELi4ELi33ELi32ELi16Ei19rocblas_complex_numIdEPKPKS1_PS1_EviT6_lT7_lT5_lS8_lS9_lS7_lT8_i
		.amdhsa_group_segment_fixed_size 19200
		.amdhsa_private_segment_fixed_size 24
		.amdhsa_kernarg_size 392
		.amdhsa_user_sgpr_count 14
		.amdhsa_user_sgpr_dispatch_ptr 0
		.amdhsa_user_sgpr_queue_ptr 0
		.amdhsa_user_sgpr_kernarg_segment_ptr 1
		.amdhsa_user_sgpr_dispatch_id 0
		.amdhsa_user_sgpr_private_segment_size 0
		.amdhsa_wavefront_size32 1
		.amdhsa_uses_dynamic_stack 0
		.amdhsa_enable_private_segment 1
		.amdhsa_system_sgpr_workgroup_id_x 1
		.amdhsa_system_sgpr_workgroup_id_y 0
		.amdhsa_system_sgpr_workgroup_id_z 1
		.amdhsa_system_sgpr_workgroup_info 0
		.amdhsa_system_vgpr_workitem_id 1
		.amdhsa_next_free_vgpr 256
		.amdhsa_next_free_sgpr 37
		.amdhsa_reserve_vcc 1
		.amdhsa_float_round_mode_32 0
		.amdhsa_float_round_mode_16_64 0
		.amdhsa_float_denorm_mode_32 3
		.amdhsa_float_denorm_mode_16_64 3
		.amdhsa_dx10_clamp 1
		.amdhsa_ieee_mode 1
		.amdhsa_fp16_overflow 0
		.amdhsa_workgroup_processor_mode 1
		.amdhsa_memory_ordered 1
		.amdhsa_forward_progress 0
		.amdhsa_shared_vgpr_count 0
		.amdhsa_exception_fp_ieee_invalid_op 0
		.amdhsa_exception_fp_denorm_src 0
		.amdhsa_exception_fp_ieee_div_zero 0
		.amdhsa_exception_fp_ieee_overflow 0
		.amdhsa_exception_fp_ieee_underflow 0
		.amdhsa_exception_fp_ieee_inexact 0
		.amdhsa_exception_int_div_zero 0
	.end_amdhsa_kernel
	.section	.text._ZL26rocblas_hemvn_kernel_upperILb1ELi64ELi4ELi33ELi32ELi16Ei19rocblas_complex_numIdEPKPKS1_PS1_EviT6_lT7_lT5_lS8_lS9_lS7_lT8_i,"axG",@progbits,_ZL26rocblas_hemvn_kernel_upperILb1ELi64ELi4ELi33ELi32ELi16Ei19rocblas_complex_numIdEPKPKS1_PS1_EviT6_lT7_lT5_lS8_lS9_lS7_lT8_i,comdat
.Lfunc_end54:
	.size	_ZL26rocblas_hemvn_kernel_upperILb1ELi64ELi4ELi33ELi32ELi16Ei19rocblas_complex_numIdEPKPKS1_PS1_EviT6_lT7_lT5_lS8_lS9_lS7_lT8_i, .Lfunc_end54-_ZL26rocblas_hemvn_kernel_upperILb1ELi64ELi4ELi33ELi32ELi16Ei19rocblas_complex_numIdEPKPKS1_PS1_EviT6_lT7_lT5_lS8_lS9_lS7_lT8_i
                                        ; -- End function
	.section	.AMDGPU.csdata,"",@progbits
; Kernel info:
; codeLenInByte = 12824
; NumSgprs: 39
; NumVgprs: 256
; ScratchSize: 24
; MemoryBound: 1
; FloatMode: 240
; IeeeMode: 1
; LDSByteSize: 19200 bytes/workgroup (compile time only)
; SGPRBlocks: 4
; VGPRBlocks: 31
; NumSGPRsForWavesPerEU: 39
; NumVGPRsForWavesPerEU: 256
; Occupancy: 5
; WaveLimiterHint : 1
; COMPUTE_PGM_RSRC2:SCRATCH_EN: 1
; COMPUTE_PGM_RSRC2:USER_SGPR: 14
; COMPUTE_PGM_RSRC2:TRAP_HANDLER: 0
; COMPUTE_PGM_RSRC2:TGID_X_EN: 1
; COMPUTE_PGM_RSRC2:TGID_Y_EN: 0
; COMPUTE_PGM_RSRC2:TGID_Z_EN: 1
; COMPUTE_PGM_RSRC2:TIDIG_COMP_CNT: 1
	.section	.text._ZL36rocblas_hemvn_kernel_upper_block_sumILi64Ei19rocblas_complex_numIdEPKPS1_S1_EviT1_lS5_lT2_lT0_lPT3_i,"axG",@progbits,_ZL36rocblas_hemvn_kernel_upper_block_sumILi64Ei19rocblas_complex_numIdEPKPS1_S1_EviT1_lS5_lT2_lT0_lPT3_i,comdat
	.globl	_ZL36rocblas_hemvn_kernel_upper_block_sumILi64Ei19rocblas_complex_numIdEPKPS1_S1_EviT1_lS5_lT2_lT0_lPT3_i ; -- Begin function _ZL36rocblas_hemvn_kernel_upper_block_sumILi64Ei19rocblas_complex_numIdEPKPS1_S1_EviT1_lS5_lT2_lT0_lPT3_i
	.p2align	8
	.type	_ZL36rocblas_hemvn_kernel_upper_block_sumILi64Ei19rocblas_complex_numIdEPKPS1_S1_EviT1_lS5_lT2_lT0_lPT3_i,@function
_ZL36rocblas_hemvn_kernel_upper_block_sumILi64Ei19rocblas_complex_numIdEPKPS1_S1_EviT1_lS5_lT2_lT0_lPT3_i: ; @_ZL36rocblas_hemvn_kernel_upper_block_sumILi64Ei19rocblas_complex_numIdEPKPS1_S1_EviT1_lS5_lT2_lT0_lPT3_i
; %bb.0:
	s_clause 0x1
	s_load_b128 s[8:11], s[0:1], 0x8
	s_load_b128 s[4:7], s[0:1], 0x20
	s_mov_b32 s12, s15
	s_waitcnt lgkmcnt(0)
	v_cmp_neq_f64_e64 s2, s[8:9], 0
	v_cmp_neq_f64_e64 s3, s[10:11], 0
	s_delay_alu instid0(VALU_DEP_1)
	s_or_b32 s2, s2, s3
	s_mov_b32 s3, -1
	s_and_b32 vcc_lo, exec_lo, s2
	s_cbranch_vccnz .LBB55_2
; %bb.1:
	v_cmp_neq_f64_e64 s3, s[4:5], 1.0
	v_cmp_neq_f64_e64 s13, s[6:7], 0
	s_delay_alu instid0(VALU_DEP_1)
	s_or_b32 s3, s3, s13
.LBB55_2:
	s_delay_alu instid0(SALU_CYCLE_1)
	s_and_not1_b32 vcc_lo, exec_lo, s3
	s_cbranch_vccnz .LBB55_22
; %bb.3:
	s_clause 0x1
	s_load_b128 s[20:23], s[0:1], 0x38
	s_load_b32 s18, s[0:1], 0x48
	s_mov_b32 s13, 0
	s_xor_b32 s17, s2, -1
	s_lshl_b64 s[24:25], s[12:13], 3
	s_load_b32 s16, s[0:1], 0x0
	v_lshl_or_b32 v4, s14, 6, v0
	s_waitcnt lgkmcnt(0)
	s_add_u32 s2, s20, s24
	s_addc_u32 s3, s21, s25
	s_lshl_b64 s[22:23], s[22:23], 4
	s_load_b64 s[20:21], s[2:3], 0x0
	v_cmp_gt_i32_e64 s2, s16, v4
	s_waitcnt lgkmcnt(0)
	s_add_u32 s3, s20, s22
	s_addc_u32 s15, s21, s23
	s_and_not1_b32 vcc_lo, exec_lo, s17
	s_cbranch_vccnz .LBB55_8
; %bb.4:
	s_mov_b32 s17, 0
                                        ; implicit-def: $vgpr2_vgpr3
                                        ; implicit-def: $vgpr5_vgpr6
	s_and_saveexec_b32 s19, s2
	s_cbranch_execz .LBB55_9
; %bb.5:
	v_cmp_neq_f64_e64 s2, s[4:5], 0
	v_cmp_neq_f64_e64 s13, s[6:7], 0
	v_mul_lo_u32 v5, v4, s18
	v_mov_b32_e32 v2, 0
	v_mov_b32_e32 v3, 0
	s_delay_alu instid0(VALU_DEP_1) | instskip(NEXT) | instid1(VALU_DEP_4)
	v_dual_mov_b32 v0, v2 :: v_dual_mov_b32 v1, v3
	v_ashrrev_i32_e32 v6, 31, v5
	s_or_b32 s2, s2, s13
	s_delay_alu instid0(SALU_CYCLE_1)
	s_and_not1_b32 vcc_lo, exec_lo, s2
	s_cbranch_vccnz .LBB55_7
; %bb.6:
	s_delay_alu instid0(VALU_DEP_1) | instskip(NEXT) | instid1(VALU_DEP_1)
	v_lshlrev_b64 v[0:1], 4, v[5:6]
	v_add_co_u32 v0, vcc_lo, s3, v0
	s_delay_alu instid0(VALU_DEP_2) | instskip(SKIP_4) | instid1(VALU_DEP_2)
	v_add_co_ci_u32_e32 v1, vcc_lo, s15, v1, vcc_lo
	global_load_b128 v[7:10], v[0:1], off
	s_waitcnt vmcnt(0)
	v_mul_f64 v[0:1], s[6:7], v[9:10]
	v_mul_f64 v[2:3], s[4:5], v[9:10]
	v_fma_f64 v[0:1], s[4:5], v[7:8], -v[0:1]
	s_delay_alu instid0(VALU_DEP_2)
	v_fma_f64 v[2:3], s[6:7], v[7:8], v[2:3]
.LBB55_7:
	s_mov_b32 s13, exec_lo
	s_or_b32 exec_lo, exec_lo, s19
	s_delay_alu instid0(SALU_CYCLE_1)
	s_and_b32 vcc_lo, exec_lo, s17
	s_cbranch_vccnz .LBB55_10
	s_branch .LBB55_20
.LBB55_8:
                                        ; implicit-def: $vgpr2_vgpr3
                                        ; implicit-def: $vgpr5_vgpr6
	s_cbranch_execnz .LBB55_10
	s_branch .LBB55_20
.LBB55_9:
	s_or_b32 exec_lo, exec_lo, s19
	s_delay_alu instid0(SALU_CYCLE_1)
	s_and_b32 vcc_lo, exec_lo, s17
	s_cbranch_vccz .LBB55_20
.LBB55_10:
	s_mov_b32 s2, exec_lo
                                        ; implicit-def: $vgpr2_vgpr3
                                        ; implicit-def: $vgpr5_vgpr6
	v_cmpx_gt_i32_e64 s16, v4
	s_cbranch_execz .LBB55_19
; %bb.11:
	v_mov_b32_e32 v0, 0
	v_mov_b32_e32 v1, 0
	s_cmp_lt_i32 s14, 0
	s_delay_alu instid0(VALU_DEP_1)
	v_dual_mov_b32 v3, v1 :: v_dual_mov_b32 v2, v0
	s_cbranch_scc1 .LBB55_14
; %bb.12:
	s_clause 0x1
	s_load_b32 s19, s[0:1], 0x68
	s_load_b64 s[0:1], s[0:1], 0x58
	s_ashr_i32 s17, s16, 31
	s_mul_hi_u32 s20, s16, s12
	s_mul_i32 s21, s17, s12
	v_dual_mov_b32 v5, 0 :: v_dual_mov_b32 v0, 0
	s_add_i32 s20, s20, s21
	s_mul_i32 s12, s16, s12
	s_add_i32 s14, s14, 1
	s_delay_alu instid0(VALU_DEP_1)
	v_lshlrev_b64 v[2:3], 4, v[4:5]
	v_mov_b32_e32 v1, 0
	s_waitcnt lgkmcnt(0)
	s_mul_i32 s21, s20, s19
	s_mul_hi_u32 s22, s12, s19
	s_mul_i32 s20, s12, s19
	s_add_i32 s21, s22, s21
	s_delay_alu instid0(SALU_CYCLE_1) | instskip(NEXT) | instid1(SALU_CYCLE_1)
	s_lshl_b64 s[20:21], s[20:21], 4
	s_add_u32 s0, s0, s20
	s_addc_u32 s1, s1, s21
	v_add_co_u32 v2, vcc_lo, s0, v2
	v_add_co_ci_u32_e32 v3, vcc_lo, s1, v3, vcc_lo
	s_lshl_b64 s[0:1], s[16:17], 4
	s_delay_alu instid0(VALU_DEP_2) | instskip(NEXT) | instid1(VALU_DEP_2)
	v_add_co_u32 v5, vcc_lo, v2, 8
	v_add_co_ci_u32_e32 v6, vcc_lo, 0, v3, vcc_lo
	v_dual_mov_b32 v3, v1 :: v_dual_mov_b32 v2, v0
.LBB55_13:                              ; =>This Inner Loop Header: Depth=1
	global_load_b128 v[7:10], v[5:6], off offset:-8
	v_add_co_u32 v5, vcc_lo, v5, s0
	v_add_co_ci_u32_e32 v6, vcc_lo, s1, v6, vcc_lo
	s_add_i32 s14, s14, -1
	s_delay_alu instid0(SALU_CYCLE_1)
	s_cmp_eq_u32 s14, 0
	s_waitcnt vmcnt(0)
	v_add_f64 v[2:3], v[2:3], v[7:8]
	v_add_f64 v[0:1], v[0:1], v[9:10]
	s_cbranch_scc0 .LBB55_13
.LBB55_14:
	s_delay_alu instid0(VALU_DEP_1) | instskip(SKIP_3) | instid1(VALU_DEP_4)
	v_mul_f64 v[5:6], s[10:11], v[0:1]
	v_mul_f64 v[7:8], s[8:9], v[0:1]
	v_cmp_neq_f64_e64 s0, s[4:5], 0
	v_cmp_neq_f64_e64 s1, s[6:7], 0
	v_fma_f64 v[0:1], s[8:9], v[2:3], -v[5:6]
	s_delay_alu instid0(VALU_DEP_4) | instskip(SKIP_1) | instid1(VALU_DEP_4)
	v_fma_f64 v[2:3], s[10:11], v[2:3], v[7:8]
	v_mul_lo_u32 v5, v4, s18
	s_or_b32 s0, s0, s1
	s_delay_alu instid0(SALU_CYCLE_1) | instskip(NEXT) | instid1(VALU_DEP_1)
	s_and_not1_b32 vcc_lo, exec_lo, s0
	v_ashrrev_i32_e32 v6, 31, v5
	s_cbranch_vccz .LBB55_16
; %bb.15:
	s_cbranch_execz .LBB55_17
	s_branch .LBB55_18
.LBB55_16:
.LBB55_17:
	s_delay_alu instid0(VALU_DEP_1) | instskip(NEXT) | instid1(VALU_DEP_1)
	v_lshlrev_b64 v[7:8], 4, v[5:6]
	v_add_co_u32 v7, vcc_lo, s3, v7
	s_delay_alu instid0(VALU_DEP_2) | instskip(SKIP_4) | instid1(VALU_DEP_2)
	v_add_co_ci_u32_e32 v8, vcc_lo, s15, v8, vcc_lo
	global_load_b128 v[7:10], v[7:8], off
	s_waitcnt vmcnt(0)
	v_mul_f64 v[11:12], s[6:7], v[9:10]
	v_mul_f64 v[9:10], s[4:5], v[9:10]
	v_fma_f64 v[11:12], s[4:5], v[7:8], -v[11:12]
	s_delay_alu instid0(VALU_DEP_2) | instskip(NEXT) | instid1(VALU_DEP_2)
	v_fma_f64 v[7:8], s[6:7], v[7:8], v[9:10]
	v_add_f64 v[0:1], v[0:1], v[11:12]
	s_delay_alu instid0(VALU_DEP_2)
	v_add_f64 v[2:3], v[2:3], v[7:8]
.LBB55_18:
	s_or_b32 s13, s13, exec_lo
.LBB55_19:
	s_or_b32 exec_lo, exec_lo, s2
.LBB55_20:
	s_and_saveexec_b32 s0, s13
	s_cbranch_execz .LBB55_22
; %bb.21:
	v_lshlrev_b64 v[4:5], 4, v[5:6]
	s_delay_alu instid0(VALU_DEP_1) | instskip(NEXT) | instid1(VALU_DEP_2)
	v_add_co_u32 v4, vcc_lo, s3, v4
	v_add_co_ci_u32_e32 v5, vcc_lo, s15, v5, vcc_lo
	global_store_b128 v[4:5], v[0:3], off
.LBB55_22:
	s_nop 0
	s_sendmsg sendmsg(MSG_DEALLOC_VGPRS)
	s_endpgm
	.section	.rodata,"a",@progbits
	.p2align	6, 0x0
	.amdhsa_kernel _ZL36rocblas_hemvn_kernel_upper_block_sumILi64Ei19rocblas_complex_numIdEPKPS1_S1_EviT1_lS5_lT2_lT0_lPT3_i
		.amdhsa_group_segment_fixed_size 0
		.amdhsa_private_segment_fixed_size 0
		.amdhsa_kernarg_size 360
		.amdhsa_user_sgpr_count 14
		.amdhsa_user_sgpr_dispatch_ptr 0
		.amdhsa_user_sgpr_queue_ptr 0
		.amdhsa_user_sgpr_kernarg_segment_ptr 1
		.amdhsa_user_sgpr_dispatch_id 0
		.amdhsa_user_sgpr_private_segment_size 0
		.amdhsa_wavefront_size32 1
		.amdhsa_uses_dynamic_stack 0
		.amdhsa_enable_private_segment 0
		.amdhsa_system_sgpr_workgroup_id_x 1
		.amdhsa_system_sgpr_workgroup_id_y 0
		.amdhsa_system_sgpr_workgroup_id_z 1
		.amdhsa_system_sgpr_workgroup_info 0
		.amdhsa_system_vgpr_workitem_id 0
		.amdhsa_next_free_vgpr 13
		.amdhsa_next_free_sgpr 26
		.amdhsa_reserve_vcc 1
		.amdhsa_float_round_mode_32 0
		.amdhsa_float_round_mode_16_64 0
		.amdhsa_float_denorm_mode_32 3
		.amdhsa_float_denorm_mode_16_64 3
		.amdhsa_dx10_clamp 1
		.amdhsa_ieee_mode 1
		.amdhsa_fp16_overflow 0
		.amdhsa_workgroup_processor_mode 1
		.amdhsa_memory_ordered 1
		.amdhsa_forward_progress 0
		.amdhsa_shared_vgpr_count 0
		.amdhsa_exception_fp_ieee_invalid_op 0
		.amdhsa_exception_fp_denorm_src 0
		.amdhsa_exception_fp_ieee_div_zero 0
		.amdhsa_exception_fp_ieee_overflow 0
		.amdhsa_exception_fp_ieee_underflow 0
		.amdhsa_exception_fp_ieee_inexact 0
		.amdhsa_exception_int_div_zero 0
	.end_amdhsa_kernel
	.section	.text._ZL36rocblas_hemvn_kernel_upper_block_sumILi64Ei19rocblas_complex_numIdEPKPS1_S1_EviT1_lS5_lT2_lT0_lPT3_i,"axG",@progbits,_ZL36rocblas_hemvn_kernel_upper_block_sumILi64Ei19rocblas_complex_numIdEPKPS1_S1_EviT1_lS5_lT2_lT0_lPT3_i,comdat
.Lfunc_end55:
	.size	_ZL36rocblas_hemvn_kernel_upper_block_sumILi64Ei19rocblas_complex_numIdEPKPS1_S1_EviT1_lS5_lT2_lT0_lPT3_i, .Lfunc_end55-_ZL36rocblas_hemvn_kernel_upper_block_sumILi64Ei19rocblas_complex_numIdEPKPS1_S1_EviT1_lS5_lT2_lT0_lPT3_i
                                        ; -- End function
	.section	.AMDGPU.csdata,"",@progbits
; Kernel info:
; codeLenInByte = 892
; NumSgprs: 28
; NumVgprs: 13
; ScratchSize: 0
; MemoryBound: 0
; FloatMode: 240
; IeeeMode: 1
; LDSByteSize: 0 bytes/workgroup (compile time only)
; SGPRBlocks: 3
; VGPRBlocks: 1
; NumSGPRsForWavesPerEU: 28
; NumVGPRsForWavesPerEU: 13
; Occupancy: 16
; WaveLimiterHint : 1
; COMPUTE_PGM_RSRC2:SCRATCH_EN: 0
; COMPUTE_PGM_RSRC2:USER_SGPR: 14
; COMPUTE_PGM_RSRC2:TRAP_HANDLER: 0
; COMPUTE_PGM_RSRC2:TGID_X_EN: 1
; COMPUTE_PGM_RSRC2:TGID_Y_EN: 0
; COMPUTE_PGM_RSRC2:TGID_Z_EN: 1
; COMPUTE_PGM_RSRC2:TIDIG_COMP_CNT: 0
	.section	.text._ZL26rocblas_hemvn_kernel_lowerILb1ELi64ELi4ELi33ELi32ELi16ElPK19rocblas_complex_numIdEPKS3_PS1_EviT6_lT7_lT5_lS8_lS9_lS7_lT8_i,"axG",@progbits,_ZL26rocblas_hemvn_kernel_lowerILb1ELi64ELi4ELi33ELi32ELi16ElPK19rocblas_complex_numIdEPKS3_PS1_EviT6_lT7_lT5_lS8_lS9_lS7_lT8_i,comdat
	.globl	_ZL26rocblas_hemvn_kernel_lowerILb1ELi64ELi4ELi33ELi32ELi16ElPK19rocblas_complex_numIdEPKS3_PS1_EviT6_lT7_lT5_lS8_lS9_lS7_lT8_i ; -- Begin function _ZL26rocblas_hemvn_kernel_lowerILb1ELi64ELi4ELi33ELi32ELi16ElPK19rocblas_complex_numIdEPKS3_PS1_EviT6_lT7_lT5_lS8_lS9_lS7_lT8_i
	.p2align	8
	.type	_ZL26rocblas_hemvn_kernel_lowerILb1ELi64ELi4ELi33ELi32ELi16ElPK19rocblas_complex_numIdEPKS3_PS1_EviT6_lT7_lT5_lS8_lS9_lS7_lT8_i,@function
_ZL26rocblas_hemvn_kernel_lowerILb1ELi64ELi4ELi33ELi32ELi16ElPK19rocblas_complex_numIdEPKS3_PS1_EviT6_lT7_lT5_lS8_lS9_lS7_lT8_i: ; @_ZL26rocblas_hemvn_kernel_lowerILb1ELi64ELi4ELi33ELi32ELi16ElPK19rocblas_complex_numIdEPKS3_PS1_EviT6_lT7_lT5_lS8_lS9_lS7_lT8_i
; %bb.0:
	s_load_b64 s[2:3], s[0:1], 0x84
	s_add_u32 s20, s0, 0x78
	s_addc_u32 s21, s1, 0
	s_waitcnt lgkmcnt(0)
	s_lshr_b32 s4, s2, 16
	s_and_b32 s2, s2, 0xffff
	s_and_b32 s3, s3, 0xffff
	s_mul_i32 s2, s4, s2
	s_delay_alu instid0(SALU_CYCLE_1) | instskip(NEXT) | instid1(SALU_CYCLE_1)
	s_mul_i32 s2, s2, s3
	s_cmpk_lg_i32 s2, 0x100
	s_cbranch_scc1 .LBB56_139
; %bb.1:
	s_load_b256 s[4:11], s[0:1], 0x8
	s_mov_b32 s16, s15
	s_mov_b32 s17, 0
	s_waitcnt lgkmcnt(0)
	s_mul_i32 s3, s15, s7
	s_mul_hi_u32 s7, s15, s6
	s_mul_i32 s2, s15, s6
	s_add_i32 s3, s7, s3
	s_delay_alu instid0(SALU_CYCLE_1) | instskip(NEXT) | instid1(SALU_CYCLE_1)
	s_lshl_b64 s[2:3], s[2:3], 4
	s_add_u32 s2, s4, s2
	s_addc_u32 s3, s5, s3
	s_load_b128 s[4:7], s[2:3], 0x0
	s_waitcnt lgkmcnt(0)
	v_cmp_neq_f64_e64 s2, s[4:5], 0
	v_cmp_neq_f64_e64 s3, s[6:7], 0
	s_clause 0x2
	s_load_b64 s[18:19], s[0:1], 0x68
	s_load_b64 s[12:13], s[0:1], 0x28
	s_load_b128 s[4:7], s[0:1], 0x58
	s_delay_alu instid0(VALU_DEP_1)
	s_or_b32 s15, s2, s3
	s_mov_b64 s[2:3], 0
	s_and_b32 vcc_lo, exec_lo, s15
	s_cbranch_vccnz .LBB56_3
; %bb.2:
	s_waitcnt lgkmcnt(0)
	s_mul_i32 s7, s16, s7
	s_mul_hi_u32 s22, s16, s6
	s_mul_i32 s6, s16, s6
	s_add_i32 s7, s22, s7
	s_delay_alu instid0(SALU_CYCLE_1) | instskip(NEXT) | instid1(SALU_CYCLE_1)
	s_lshl_b64 s[6:7], s[6:7], 4
	s_add_u32 s4, s4, s6
	s_addc_u32 s5, s5, s7
	s_load_b128 s[4:7], s[4:5], 0x0
	s_waitcnt lgkmcnt(0)
	v_cmp_neq_f64_e64 s4, s[4:5], 1.0
	v_cmp_neq_f64_e64 s5, s[6:7], 0
	s_delay_alu instid0(VALU_DEP_1)
	s_or_b32 s4, s4, s5
	s_cbranch_execz .LBB56_4
	s_branch .LBB56_5
.LBB56_3:
	s_waitcnt lgkmcnt(0)
	s_mov_b32 s4, s17
                                        ; implicit-def: $sgpr2_sgpr3
.LBB56_4:
	s_lshl_b64 s[2:3], s[16:17], 3
	s_delay_alu instid0(SALU_CYCLE_1)
	s_add_u32 s2, s8, s2
	s_addc_u32 s3, s9, s3
	s_lshl_b64 s[4:5], s[10:11], 4
	s_load_b64 s[2:3], s[2:3], 0x0
	s_waitcnt lgkmcnt(0)
	s_add_u32 s2, s2, s4
	s_addc_u32 s3, s3, s5
	s_mov_b32 s4, -1
.LBB56_5:
	s_delay_alu instid0(SALU_CYCLE_1)
	s_and_not1_b32 vcc_lo, exec_lo, s4
	s_cbranch_vccnz .LBB56_139
; %bb.6:
	s_clause 0x1
	s_load_b128 s[4:7], s[0:1], 0x38
	s_load_b64 s[8:9], s[0:1], 0x48
	v_cndmask_b32_e64 v1, 0, 1, s15
	s_and_not1_b32 vcc_lo, exec_lo, s15
	s_mov_b64 s[22:23], 0
	s_cbranch_vccnz .LBB56_8
; %bb.7:
	s_lshl_b64 s[10:11], s[16:17], 3
	s_waitcnt lgkmcnt(0)
	s_add_u32 s4, s4, s10
	s_addc_u32 s5, s5, s11
	s_lshl_b64 s[6:7], s[6:7], 4
	s_load_b64 s[4:5], s[4:5], 0x0
	s_waitcnt lgkmcnt(0)
	s_add_u32 s22, s4, s6
	s_addc_u32 s23, s5, s7
.LBB56_8:
	s_delay_alu instid0(VALU_DEP_1)
	v_cmp_ne_u32_e32 vcc_lo, 1, v1
	s_cbranch_vccnz .LBB56_139
; %bb.9:
	v_and_b32_e32 v42, 0x3ff, v0
	s_lshl_b32 s10, s14, 6
	s_load_b32 s15, s[0:1], 0x0
	s_load_b32 s17, s[20:21], 0x0
	v_bfe_u32 v150, v0, 10, 10
	v_add_nc_u32_e32 v144, s10, v42
	s_delay_alu instid0(VALU_DEP_1) | instskip(SKIP_3) | instid1(VALU_DEP_3)
	v_ashrrev_i32_e32 v145, 31, v144
	s_waitcnt lgkmcnt(0)
	v_mul_lo_u32 v3, v144, s9
	v_mad_u64_u32 v[1:2], null, v144, s8, 0
	v_mul_lo_u32 v4, v145, s8
	s_ashr_i32 s26, s15, 31
	s_delay_alu instid0(VALU_DEP_1)
	v_add3_u32 v2, v2, v3, v4
	s_lshr_b32 s0, s26, 26
	s_add_i32 s4, s17, -1
	s_add_i32 s1, s15, s0
	v_cmp_ne_u32_e64 s0, 0, v150
	v_lshlrev_b64 v[0:1], 4, v[1:2]
	s_and_not1_b32 s1, s1, 63
	s_delay_alu instid0(SALU_CYCLE_1) | instskip(SKIP_2) | instid1(VALU_DEP_2)
	s_sub_i32 s5, s15, s1
	v_cmp_eq_u32_e64 s1, 0, v150
	s_cmp_eq_u32 s14, s4
	v_add_co_u32 v36, vcc_lo, s22, v0
	v_add_co_ci_u32_e32 v37, vcc_lo, s23, v1, vcc_lo
	s_mov_b32 s4, -1
	s_cselect_b32 s20, s5, 0
	s_and_saveexec_b32 s5, s1
	s_cbranch_execz .LBB56_14
; %bb.10:
	v_cmp_le_i32_e32 vcc_lo, s20, v42
	s_cmp_lg_u32 s20, 0
	v_lshl_add_u32 v0, v42, 4, 0x4700
	s_cselect_b32 s6, -1, 0
	s_delay_alu instid0(SALU_CYCLE_1) | instskip(NEXT) | instid1(SALU_CYCLE_1)
	s_and_b32 s6, s6, vcc_lo
	s_and_saveexec_b32 s7, s6
	s_delay_alu instid0(SALU_CYCLE_1)
	s_xor_b32 s6, exec_lo, s7
	s_cbranch_execz .LBB56_12
; %bb.11:
	v_mov_b32_e32 v1, 0
	s_delay_alu instid0(VALU_DEP_1)
	v_mov_b32_e32 v2, v1
	v_mov_b32_e32 v3, v1
	;; [unrolled: 1-line block ×3, first 2 shown]
	ds_store_b128 v0, v[1:4]
                                        ; implicit-def: $vgpr0
.LBB56_12:
	s_and_not1_saveexec_b32 s6, s6
	s_cbranch_execz .LBB56_14
; %bb.13:
	flat_load_b128 v[1:4], v[36:37]
	s_waitcnt vmcnt(0) lgkmcnt(0)
	ds_store_2addr_b64 v0, v[1:2], v[3:4] offset1:1
.LBB56_14:
	s_or_b32 exec_lo, exec_lo, s5
	v_lshl_add_u32 v43, v150, 6, v42
	v_dual_mov_b32 v5, 0 :: v_dual_and_b32 v4, 31, v42
	s_ashr_i32 s11, s10, 31
	s_mul_i32 s5, s10, s13
	s_delay_alu instid0(VALU_DEP_2)
	v_lshrrev_b32_e32 v9, 5, v43
	s_lshl_b64 s[6:7], s[10:11], 4
	s_mul_hi_u32 s21, s10, s12
	s_add_u32 s6, s2, s6
	s_mul_i32 s22, s11, s12
	v_mad_u64_u32 v[0:1], null, v9, s12, v[4:5]
	s_addc_u32 s7, s3, s7
	s_add_i32 s3, s21, s5
	s_mul_i32 s2, s10, s12
	s_add_i32 s3, s3, s22
	s_delay_alu instid0(SALU_CYCLE_1) | instskip(NEXT) | instid1(VALU_DEP_1)
	s_lshl_b64 s[22:23], s[2:3], 4
	v_mad_u64_u32 v[2:3], null, v9, s13, v[1:2]
	s_add_u32 s2, s22, s6
	s_addc_u32 s3, s23, s7
	s_cmp_lg_u32 s20, 0
	s_cselect_b32 s27, -1, 0
	s_cmp_eq_u32 s20, 0
	s_delay_alu instid0(VALU_DEP_1) | instskip(SKIP_1) | instid1(VALU_DEP_1)
	v_mov_b32_e32 v1, v2
	s_cselect_b32 s7, -1, 0
	v_lshlrev_b64 v[38:39], 4, v[0:1]
	s_delay_alu instid0(VALU_DEP_1) | instskip(NEXT) | instid1(VALU_DEP_2)
	v_add_co_u32 v5, vcc_lo, s2, v38
	v_add_co_ci_u32_e32 v6, vcc_lo, s3, v39, vcc_lo
	s_and_b32 vcc_lo, exec_lo, s27
	s_cbranch_vccnz .LBB56_16
; %bb.15:
	flat_load_b128 v[0:3], v[5:6]
	v_mul_u32_u24_e32 v7, 33, v9
	s_lshl_b64 s[2:3], s[12:13], 7
	s_mov_b32 s4, 0
	s_delay_alu instid0(VALU_DEP_1) | instskip(SKIP_2) | instid1(VALU_DEP_3)
	v_add_lshl_u32 v12, v7, v4, 4
	v_add_co_u32 v7, vcc_lo, v5, s2
	v_add_co_ci_u32_e32 v8, vcc_lo, s3, v6, vcc_lo
	v_add_nc_u32_e32 v10, 0x1080, v12
	s_waitcnt vmcnt(0) lgkmcnt(0)
	ds_store_2addr_b64 v12, v[0:1], v[2:3] offset1:1
	flat_load_b128 v[0:3], v[7:8]
	v_add_co_u32 v7, vcc_lo, v7, s2
	v_add_co_ci_u32_e32 v8, vcc_lo, s3, v8, vcc_lo
	s_waitcnt vmcnt(0) lgkmcnt(0)
	ds_store_2addr_b64 v10, v[0:1], v[2:3] offset1:1
	flat_load_b128 v[0:3], v[7:8]
	v_mad_u64_u32 v[7:8], null, 0x180, s12, v[5:6]
	s_delay_alu instid0(VALU_DEP_1) | instskip(NEXT) | instid1(VALU_DEP_1)
	v_mad_u64_u32 v[10:11], null, 0x180, s13, v[8:9]
	v_dual_mov_b32 v8, v10 :: v_dual_add_nc_u32 v11, 0x2100, v12
	s_waitcnt vmcnt(0) lgkmcnt(0)
	ds_store_2addr_b64 v11, v[0:1], v[2:3] offset1:1
	flat_load_b128 v[0:3], v[7:8]
	v_add_nc_u32_e32 v7, 0x3180, v12
	s_waitcnt vmcnt(0) lgkmcnt(0)
	ds_store_2addr_b64 v7, v[0:1], v[2:3] offset1:1
.LBB56_16:
	s_and_not1_b32 vcc_lo, exec_lo, s4
	s_cbranch_vccnz .LBB56_34
; %bb.17:
	v_lshlrev_b32_e32 v2, 4, v4
	s_ashr_i32 s21, s20, 31
	v_mul_u32_u24_e32 v3, 33, v9
	s_lshl_b64 s[4:5], s[20:21], 4
	v_cmp_le_i32_e64 s2, s20, v9
	v_sub_co_u32 v0, vcc_lo, v5, v2
	v_subrev_co_ci_u32_e32 v1, vcc_lo, 0, v6, vcc_lo
	v_add_lshl_u32 v3, v3, v4, 4
	s_delay_alu instid0(VALU_DEP_3) | instskip(NEXT) | instid1(VALU_DEP_3)
	v_add_co_u32 v0, vcc_lo, v0, s4
	v_add_co_ci_u32_e32 v1, vcc_lo, s5, v1, vcc_lo
	s_delay_alu instid0(VALU_DEP_2) | instskip(NEXT) | instid1(VALU_DEP_2)
	v_add_co_u32 v0, vcc_lo, v0, -16
	v_add_co_ci_u32_e32 v1, vcc_lo, -1, v1, vcc_lo
	v_cmp_gt_i32_e32 vcc_lo, s20, v4
	s_delay_alu instid0(VALU_DEP_2) | instskip(SKIP_1) | instid1(SALU_CYCLE_1)
	v_dual_cndmask_b32 v1, v1, v6 :: v_dual_cndmask_b32 v0, v0, v5
	s_and_saveexec_b32 s3, s2
	s_xor_b32 s2, exec_lo, s3
	s_cbranch_execz .LBB56_19
; %bb.18:
	v_mov_b32_e32 v10, 0
	s_delay_alu instid0(VALU_DEP_1)
	v_mov_b32_e32 v11, v10
	v_mov_b32_e32 v12, v10
	;; [unrolled: 1-line block ×3, first 2 shown]
	ds_store_b128 v3, v[10:13]
.LBB56_19:
	s_and_not1_saveexec_b32 s2, s2
	s_cbranch_execz .LBB56_21
; %bb.20:
	flat_load_b128 v[10:13], v[0:1]
	s_waitcnt vmcnt(0) lgkmcnt(0)
	ds_store_2addr_b64 v3, v[10:11], v[12:13] offset1:1
.LBB56_21:
	s_or_b32 exec_lo, exec_lo, s2
	v_add_nc_u32_e32 v7, 8, v9
	s_delay_alu instid0(VALU_DEP_1) | instskip(NEXT) | instid1(VALU_DEP_1)
	v_cmp_le_i32_e64 s2, s20, v7
	s_and_saveexec_b32 s3, s2
	s_delay_alu instid0(SALU_CYCLE_1)
	s_xor_b32 s2, exec_lo, s3
	s_cbranch_execz .LBB56_23
; %bb.22:
	v_mul_u32_u24_e32 v7, 33, v7
	v_mov_b32_e32 v10, 0
	s_delay_alu instid0(VALU_DEP_2) | instskip(NEXT) | instid1(VALU_DEP_2)
	v_add_lshl_u32 v7, v7, v4, 4
	v_mov_b32_e32 v11, v10
	v_mov_b32_e32 v12, v10
	;; [unrolled: 1-line block ×3, first 2 shown]
	ds_store_b128 v7, v[10:13]
.LBB56_23:
	s_and_not1_saveexec_b32 s3, s2
	s_cbranch_execz .LBB56_25
; %bb.24:
	s_lshl_b64 s[24:25], s[12:13], 7
	s_delay_alu instid0(SALU_CYCLE_1) | instskip(NEXT) | instid1(VALU_DEP_1)
	v_add_co_u32 v7, s2, v0, s24
	v_add_co_ci_u32_e64 v8, s2, s25, v1, s2
	flat_load_b128 v[10:13], v[7:8]
	v_add_nc_u32_e32 v7, 0x1080, v3
	s_waitcnt vmcnt(0) lgkmcnt(0)
	ds_store_2addr_b64 v7, v[10:11], v[12:13] offset1:1
.LBB56_25:
	s_or_b32 exec_lo, exec_lo, s3
	v_add_nc_u32_e32 v7, 16, v9
	s_delay_alu instid0(VALU_DEP_1) | instskip(NEXT) | instid1(VALU_DEP_1)
	v_cmp_le_i32_e64 s2, s20, v7
	s_and_saveexec_b32 s3, s2
	s_delay_alu instid0(SALU_CYCLE_1)
	s_xor_b32 s2, exec_lo, s3
	s_cbranch_execz .LBB56_27
; %bb.26:
	v_mov_b32_e32 v10, 0
	s_delay_alu instid0(VALU_DEP_1)
	v_mov_b32_e32 v11, v10
	v_mov_b32_e32 v12, v10
	;; [unrolled: 1-line block ×3, first 2 shown]
	ds_store_b128 v3, v[10:13] offset:8448
.LBB56_27:
	s_and_not1_saveexec_b32 s3, s2
	s_cbranch_execz .LBB56_29
; %bb.28:
	s_lshl_b64 s[24:25], s[12:13], 8
	s_delay_alu instid0(SALU_CYCLE_1) | instskip(NEXT) | instid1(VALU_DEP_1)
	v_add_co_u32 v7, s2, v0, s24
	v_add_co_ci_u32_e64 v8, s2, s25, v1, s2
	flat_load_b128 v[10:13], v[7:8]
	v_add_nc_u32_e32 v7, 0x2100, v3
	s_waitcnt vmcnt(0) lgkmcnt(0)
	ds_store_2addr_b64 v7, v[10:11], v[12:13] offset1:1
.LBB56_29:
	s_or_b32 exec_lo, exec_lo, s3
	v_add_nc_u32_e32 v7, 24, v9
	s_delay_alu instid0(VALU_DEP_1) | instskip(NEXT) | instid1(VALU_DEP_1)
	v_cmp_le_i32_e64 s2, s20, v7
	s_and_saveexec_b32 s3, s2
	s_delay_alu instid0(SALU_CYCLE_1)
	s_xor_b32 s2, exec_lo, s3
	s_cbranch_execz .LBB56_31
; %bb.30:
	v_mov_b32_e32 v10, 0
	s_delay_alu instid0(VALU_DEP_1)
	v_mov_b32_e32 v11, v10
	v_mov_b32_e32 v12, v10
	;; [unrolled: 1-line block ×3, first 2 shown]
	ds_store_b128 v3, v[10:13] offset:12672
                                        ; implicit-def: $vgpr3
.LBB56_31:
	s_and_not1_saveexec_b32 s2, s2
	s_cbranch_execz .LBB56_33
; %bb.32:
	v_mad_u64_u32 v[7:8], null, 0x180, s12, v[0:1]
	v_add_nc_u32_e32 v3, 0x3180, v3
	s_delay_alu instid0(VALU_DEP_2) | instskip(NEXT) | instid1(VALU_DEP_1)
	v_mad_u64_u32 v[10:11], null, 0x180, s13, v[8:9]
	v_mov_b32_e32 v8, v10
	flat_load_b128 v[10:13], v[7:8]
	s_waitcnt vmcnt(0) lgkmcnt(0)
	ds_store_2addr_b64 v3, v[10:11], v[12:13] offset1:1
.LBB56_33:
	s_or_b32 exec_lo, exec_lo, s2
	v_add_co_u32 v0, s2, v0, v2
	s_delay_alu instid0(VALU_DEP_1) | instskip(NEXT) | instid1(VALU_DEP_2)
	v_add_co_ci_u32_e64 v1, s2, 0, v1, s2
	v_sub_co_u32 v0, s2, v0, s4
	s_delay_alu instid0(VALU_DEP_1) | instskip(NEXT) | instid1(VALU_DEP_2)
	v_subrev_co_ci_u32_e64 v1, s2, s5, v1, s2
	v_add_co_u32 v0, s2, v0, 16
	s_delay_alu instid0(VALU_DEP_1) | instskip(NEXT) | instid1(VALU_DEP_1)
	v_add_co_ci_u32_e64 v1, s2, 0, v1, s2
	v_dual_cndmask_b32 v5, v0, v5 :: v_dual_cndmask_b32 v6, v1, v6
.LBB56_34:
	v_lshlrev_b32_e32 v11, 2, v9
	s_waitcnt lgkmcnt(0)
	s_barrier
	buffer_gl0_inv
	v_cmp_ge_u32_e64 s3, v11, v4
	s_delay_alu instid0(VALU_DEP_1) | instskip(NEXT) | instid1(SALU_CYCLE_1)
	s_and_saveexec_b32 s2, s3
	s_xor_b32 s2, exec_lo, s2
	s_cbranch_execz .LBB56_38
; %bb.35:
	s_mov_b32 s4, exec_lo
	v_cmpx_eq_u32_e64 v11, v4
	s_cbranch_execz .LBB56_37
; %bb.36:
	v_mul_u32_u24_e32 v1, 34, v4
	v_mov_b32_e32 v0, 0
	s_delay_alu instid0(VALU_DEP_1)
	v_dual_mov_b32 v1, v0 :: v_dual_lshlrev_b32 v2, 4, v1
	ds_store_b64 v2, v[0:1] offset:8
.LBB56_37:
	s_or_b32 exec_lo, exec_lo, s4
.LBB56_38:
	s_or_saveexec_b32 s2, s2
	v_mul_u32_u24_e32 v44, 33, v4
	v_mul_u32_u24_e32 v0, 0x84, v9
	s_delay_alu instid0(VALU_DEP_2)
	v_add_lshl_u32 v12, v11, v44, 4
	s_xor_b32 exec_lo, exec_lo, s2
	s_cbranch_execz .LBB56_40
; %bb.39:
	s_delay_alu instid0(VALU_DEP_2)
	v_add_lshl_u32 v1, v0, v4, 4
	ds_load_b128 v[13:16], v1
	s_waitcnt lgkmcnt(0)
	v_xor_b32_e32 v16, 0x80000000, v16
	ds_store_b128 v12, v[13:16]
.LBB56_40:
	s_or_b32 exec_lo, exec_lo, s2
	v_or_b32_e32 v14, 1, v11
	s_delay_alu instid0(VALU_DEP_1) | instskip(NEXT) | instid1(VALU_DEP_1)
	v_cmp_ge_u32_e64 s4, v14, v4
	s_and_saveexec_b32 s2, s4
	s_delay_alu instid0(SALU_CYCLE_1)
	s_xor_b32 s2, exec_lo, s2
	s_cbranch_execz .LBB56_44
; %bb.41:
	s_mov_b32 s5, exec_lo
	v_cmpx_eq_u32_e64 v14, v4
	s_cbranch_execz .LBB56_43
; %bb.42:
	v_mul_u32_u24_e32 v2, 34, v4
	v_mov_b32_e32 v1, 0
	s_delay_alu instid0(VALU_DEP_1)
	v_dual_mov_b32 v2, v1 :: v_dual_lshlrev_b32 v3, 4, v2
	ds_store_b64 v3, v[1:2] offset:8
.LBB56_43:
	s_or_b32 exec_lo, exec_lo, s5
.LBB56_44:
	s_or_saveexec_b32 s2, s2
	v_mul_u32_u24_e32 v1, 33, v14
	s_xor_b32 exec_lo, exec_lo, s2
	s_cbranch_execz .LBB56_46
; %bb.45:
	s_delay_alu instid0(VALU_DEP_1)
	v_add_lshl_u32 v2, v1, v4, 4
	ds_load_b128 v[15:18], v2
	s_waitcnt lgkmcnt(0)
	v_xor_b32_e32 v18, 0x80000000, v18
	ds_store_b128 v12, v[15:18] offset:16
.LBB56_46:
	s_or_b32 exec_lo, exec_lo, s2
	v_or_b32_e32 v15, 2, v11
	s_delay_alu instid0(VALU_DEP_1) | instskip(NEXT) | instid1(VALU_DEP_1)
	v_cmp_ge_u32_e64 s5, v15, v4
	s_and_saveexec_b32 s2, s5
	s_delay_alu instid0(SALU_CYCLE_1)
	s_xor_b32 s2, exec_lo, s2
	s_cbranch_execz .LBB56_50
; %bb.47:
	s_mov_b32 s6, exec_lo
	v_cmpx_eq_u32_e64 v15, v4
	s_cbranch_execz .LBB56_49
; %bb.48:
	v_mul_u32_u24_e32 v3, 34, v4
	s_delay_alu instid0(VALU_DEP_1) | instskip(NEXT) | instid1(VALU_DEP_1)
	v_dual_mov_b32 v2, 0 :: v_dual_lshlrev_b32 v7, 4, v3
	v_mov_b32_e32 v3, v2
	ds_store_b64 v7, v[2:3] offset:8
.LBB56_49:
	s_or_b32 exec_lo, exec_lo, s6
.LBB56_50:
	s_and_not1_saveexec_b32 s2, s2
	s_cbranch_execz .LBB56_52
; %bb.51:
	v_mul_u32_u24_e32 v2, 33, v15
	s_delay_alu instid0(VALU_DEP_1)
	v_add_lshl_u32 v2, v2, v4, 4
	ds_load_b128 v[16:19], v2
	s_waitcnt lgkmcnt(0)
	v_xor_b32_e32 v19, 0x80000000, v19
	ds_store_b128 v12, v[16:19] offset:32
.LBB56_52:
	s_or_b32 exec_lo, exec_lo, s2
	v_or_b32_e32 v17, 3, v11
	s_delay_alu instid0(VALU_DEP_1) | instskip(NEXT) | instid1(VALU_DEP_1)
	v_cmp_ge_u32_e64 s6, v17, v4
	s_and_saveexec_b32 s2, s6
	s_delay_alu instid0(SALU_CYCLE_1)
	s_xor_b32 s2, exec_lo, s2
	s_cbranch_execz .LBB56_56
; %bb.53:
	s_mov_b32 s21, exec_lo
	v_cmpx_eq_u32_e64 v17, v4
	s_cbranch_execz .LBB56_55
; %bb.54:
	v_mul_u32_u24_e32 v3, 34, v4
	s_delay_alu instid0(VALU_DEP_1) | instskip(NEXT) | instid1(VALU_DEP_1)
	v_dual_mov_b32 v2, 0 :: v_dual_lshlrev_b32 v7, 4, v3
	v_mov_b32_e32 v3, v2
	ds_store_b64 v7, v[2:3] offset:8
.LBB56_55:
	s_or_b32 exec_lo, exec_lo, s21
.LBB56_56:
	s_and_not1_saveexec_b32 s2, s2
	s_cbranch_execz .LBB56_58
; %bb.57:
	v_mul_u32_u24_e32 v2, 33, v17
	s_delay_alu instid0(VALU_DEP_1)
	v_add_lshl_u32 v2, v2, v4, 4
	ds_load_b128 v[18:21], v2
	s_waitcnt lgkmcnt(0)
	v_xor_b32_e32 v21, 0x80000000, v21
	ds_store_b128 v12, v[18:21] offset:48
.LBB56_58:
	s_or_b32 exec_lo, exec_lo, s2
	v_add_lshl_u32 v16, v0, v4, 4
	v_lshlrev_b32_e32 v13, 4, v11
	s_waitcnt lgkmcnt(0)
	s_barrier
	buffer_gl0_inv
	ds_load_b128 v[18:21], v16
	ds_load_b128 v[22:25], v13 offset:18176
	v_add_lshl_u32 v10, v1, v4, 4
	ds_load_b128 v[0:3], v13 offset:18192
	ds_load_b128 v[26:29], v10
	v_cmp_gt_u32_e64 s2, 32, v43
	s_waitcnt lgkmcnt(2)
	v_mul_f64 v[7:8], v[24:25], v[20:21]
	v_mul_f64 v[20:21], v[22:23], v[20:21]
	s_waitcnt lgkmcnt(0)
	v_mul_f64 v[40:41], v[2:3], v[28:29]
	v_mul_f64 v[45:46], v[0:1], v[28:29]
	s_delay_alu instid0(VALU_DEP_4) | instskip(NEXT) | instid1(VALU_DEP_4)
	v_fma_f64 v[7:8], v[22:23], v[18:19], -v[7:8]
	v_fma_f64 v[47:48], v[24:25], v[18:19], v[20:21]
	ds_load_b128 v[18:21], v10 offset:528
	ds_load_b128 v[22:25], v13 offset:18208
	;; [unrolled: 1-line block ×4, first 2 shown]
	s_waitcnt lgkmcnt(0)
	s_barrier
	v_fma_f64 v[0:1], v[0:1], v[26:27], -v[40:41]
	v_fma_f64 v[2:3], v[2:3], v[26:27], v[45:46]
	v_add_lshl_u32 v45, v9, v44, 4
	buffer_gl0_inv
	v_mul_f64 v[49:50], v[24:25], v[20:21]
	v_mul_f64 v[20:21], v[22:23], v[20:21]
	;; [unrolled: 1-line block ×4, first 2 shown]
	v_add_f64 v[7:8], v[7:8], 0
	v_add_f64 v[26:27], v[47:48], 0
	v_fma_f64 v[22:23], v[22:23], v[18:19], -v[49:50]
	v_fma_f64 v[18:19], v[24:25], v[18:19], v[20:21]
	v_fma_f64 v[20:21], v[30:31], v[32:33], v[34:35]
	v_add_f64 v[0:1], v[7:8], v[0:1]
	v_add_f64 v[2:3], v[26:27], v[2:3]
	v_fma_f64 v[7:8], v[28:29], v[32:33], -v[40:41]
	s_delay_alu instid0(VALU_DEP_3) | instskip(NEXT) | instid1(VALU_DEP_3)
	v_add_f64 v[0:1], v[0:1], v[22:23]
	v_add_f64 v[2:3], v[2:3], v[18:19]
	s_delay_alu instid0(VALU_DEP_2) | instskip(SKIP_1) | instid1(VALU_DEP_3)
	v_add_f64 v[18:19], v[0:1], v[7:8]
	v_mov_b32_e32 v0, 0
	v_add_f64 v[20:21], v[2:3], v[20:21]
	v_mov_b32_e32 v1, 0
	s_delay_alu instid0(VALU_DEP_1)
	v_dual_mov_b32 v3, v1 :: v_dual_mov_b32 v2, v0
	ds_store_b128 v45, v[18:21]
	s_waitcnt lgkmcnt(0)
	s_barrier
	buffer_gl0_inv
	s_and_saveexec_b32 s21, s2
	s_cbranch_execz .LBB56_60
; %bb.59:
	v_lshlrev_b32_e32 v24, 4, v44
	ds_load_b128 v[0:3], v24
	ds_load_b128 v[18:21], v24 offset:16
	s_waitcnt lgkmcnt(0)
	v_add_f64 v[7:8], v[18:19], v[0:1]
	v_add_f64 v[22:23], v[20:21], v[2:3]
	ds_load_b128 v[0:3], v24 offset:32
	ds_load_b128 v[18:21], v24 offset:48
	s_waitcnt lgkmcnt(1)
	v_add_f64 v[0:1], v[7:8], v[0:1]
	v_add_f64 v[2:3], v[22:23], v[2:3]
	s_waitcnt lgkmcnt(0)
	s_delay_alu instid0(VALU_DEP_2) | instskip(NEXT) | instid1(VALU_DEP_2)
	v_add_f64 v[7:8], v[0:1], v[18:19]
	v_add_f64 v[22:23], v[2:3], v[20:21]
	ds_load_b128 v[0:3], v24 offset:64
	ds_load_b128 v[18:21], v24 offset:80
	s_waitcnt lgkmcnt(1)
	v_add_f64 v[0:1], v[7:8], v[0:1]
	v_add_f64 v[2:3], v[22:23], v[2:3]
	s_waitcnt lgkmcnt(0)
	s_delay_alu instid0(VALU_DEP_2) | instskip(NEXT) | instid1(VALU_DEP_2)
	;; [unrolled: 9-line block ×3, first 2 shown]
	v_add_f64 v[0:1], v[0:1], v[18:19]
	v_add_f64 v[2:3], v[2:3], v[20:21]
.LBB56_60:
	s_or_b32 exec_lo, exec_lo, s21
	s_lshl_b64 s[24:25], s[12:13], 9
	v_cndmask_b32_e64 v18, 0, 1, s7
	v_add_co_u32 v7, vcc_lo, v5, s24
	v_add_co_ci_u32_e32 v8, vcc_lo, s25, v6, vcc_lo
	s_delay_alu instid0(VALU_DEP_2) | instskip(NEXT) | instid1(VALU_DEP_2)
	v_add_co_u32 v5, vcc_lo, 0x200, v7
	v_add_co_ci_u32_e32 v6, vcc_lo, 0, v8, vcc_lo
	s_and_not1_b32 vcc_lo, exec_lo, s7
	s_barrier
	buffer_gl0_inv
	s_cbranch_vccnz .LBB56_62
; %bb.61:
	flat_load_b128 v[19:22], v[5:6]
	v_mul_u32_u24_e32 v23, 33, v9
	s_lshl_b64 s[24:25], s[12:13], 7
	s_delay_alu instid0(VALU_DEP_1) | instskip(SKIP_2) | instid1(VALU_DEP_3)
	v_add_lshl_u32 v26, v23, v4, 4
	v_add_co_u32 v23, vcc_lo, v7, s24
	v_add_co_ci_u32_e32 v24, vcc_lo, s25, v8, vcc_lo
	v_add_nc_u32_e32 v25, 0x1080, v26
	s_waitcnt vmcnt(0) lgkmcnt(0)
	ds_store_2addr_b64 v26, v[19:20], v[21:22] offset1:1
	flat_load_b128 v[19:22], v[23:24] offset:512
	v_add_co_u32 v23, vcc_lo, v23, s24
	v_add_co_ci_u32_e32 v24, vcc_lo, s25, v24, vcc_lo
	s_waitcnt vmcnt(0) lgkmcnt(0)
	ds_store_2addr_b64 v25, v[19:20], v[21:22] offset1:1
	flat_load_b128 v[19:22], v[23:24] offset:512
	v_mad_u64_u32 v[23:24], null, 0x180, s12, v[7:8]
	s_delay_alu instid0(VALU_DEP_1) | instskip(NEXT) | instid1(VALU_DEP_1)
	v_mov_b32_e32 v7, v24
	v_mad_u64_u32 v[24:25], null, 0x180, s13, v[7:8]
	v_add_nc_u32_e32 v7, 0x2100, v26
	s_waitcnt vmcnt(0) lgkmcnt(0)
	ds_store_2addr_b64 v7, v[19:20], v[21:22] offset1:1
	flat_load_b128 v[19:22], v[23:24] offset:512
	v_add_nc_u32_e32 v7, 0x3180, v26
	s_waitcnt vmcnt(0) lgkmcnt(0)
	ds_store_2addr_b64 v7, v[19:20], v[21:22] offset1:1
	s_cbranch_execz .LBB56_63
	s_branch .LBB56_80
.LBB56_62:
.LBB56_63:
	v_or_b32_e32 v7, 32, v4
	s_ashr_i32 s21, s20, 31
	v_mul_u32_u24_e32 v20, 33, v9
	s_lshl_b64 s[24:25], s[20:21], 4
	s_sub_i32 s21, s20, 32
	v_lshlrev_b32_e32 v8, 4, v7
	v_cmp_le_i32_e64 s7, s21, v9
	s_delay_alu instid0(VALU_DEP_2) | instskip(SKIP_1) | instid1(VALU_DEP_2)
	v_sub_co_u32 v8, vcc_lo, v5, v8
	v_subrev_co_ci_u32_e32 v19, vcc_lo, 0, v6, vcc_lo
	v_add_co_u32 v8, vcc_lo, v8, s24
	s_delay_alu instid0(VALU_DEP_2) | instskip(NEXT) | instid1(VALU_DEP_2)
	v_add_co_ci_u32_e32 v19, vcc_lo, s25, v19, vcc_lo
	v_add_co_u32 v21, vcc_lo, v8, -16
	s_delay_alu instid0(VALU_DEP_2) | instskip(SKIP_2) | instid1(VALU_DEP_3)
	v_add_co_ci_u32_e32 v8, vcc_lo, -1, v19, vcc_lo
	v_cmp_gt_i32_e32 vcc_lo, s20, v7
	v_add_lshl_u32 v19, v20, v4, 4
	v_dual_cndmask_b32 v7, v21, v5 :: v_dual_cndmask_b32 v8, v8, v6
	s_and_saveexec_b32 s28, s7
	s_delay_alu instid0(SALU_CYCLE_1)
	s_xor_b32 s7, exec_lo, s28
	s_cbranch_execz .LBB56_65
; %bb.64:
	v_mov_b32_e32 v20, 0
	s_delay_alu instid0(VALU_DEP_1)
	v_mov_b32_e32 v21, v20
	v_mov_b32_e32 v22, v20
	;; [unrolled: 1-line block ×3, first 2 shown]
	ds_store_b128 v19, v[20:23]
.LBB56_65:
	s_and_not1_saveexec_b32 s7, s7
	s_cbranch_execz .LBB56_67
; %bb.66:
	flat_load_b128 v[20:23], v[7:8]
	s_waitcnt vmcnt(0) lgkmcnt(0)
	ds_store_2addr_b64 v19, v[20:21], v[22:23] offset1:1
.LBB56_67:
	s_or_b32 exec_lo, exec_lo, s7
	v_add_nc_u32_e32 v20, 8, v9
	s_delay_alu instid0(VALU_DEP_1) | instskip(NEXT) | instid1(VALU_DEP_1)
	v_cmp_le_i32_e64 s7, s21, v20
	s_and_saveexec_b32 s28, s7
	s_delay_alu instid0(SALU_CYCLE_1)
	s_xor_b32 s7, exec_lo, s28
	s_cbranch_execz .LBB56_69
; %bb.68:
	v_mul_u32_u24_e32 v21, 33, v20
	v_mov_b32_e32 v20, 0
	s_delay_alu instid0(VALU_DEP_2) | instskip(NEXT) | instid1(VALU_DEP_2)
	v_add_lshl_u32 v24, v21, v4, 4
	v_mov_b32_e32 v21, v20
	v_mov_b32_e32 v22, v20
	;; [unrolled: 1-line block ×3, first 2 shown]
	ds_store_b128 v24, v[20:23]
.LBB56_69:
	s_and_not1_saveexec_b32 s28, s7
	s_cbranch_execz .LBB56_71
; %bb.70:
	s_lshl_b64 s[30:31], s[12:13], 7
	v_add_nc_u32_e32 v24, 0x1080, v19
	v_add_co_u32 v20, s7, v7, s30
	s_delay_alu instid0(VALU_DEP_1)
	v_add_co_ci_u32_e64 v21, s7, s31, v8, s7
	flat_load_b128 v[20:23], v[20:21]
	s_waitcnt vmcnt(0) lgkmcnt(0)
	ds_store_2addr_b64 v24, v[20:21], v[22:23] offset1:1
.LBB56_71:
	s_or_b32 exec_lo, exec_lo, s28
	v_add_nc_u32_e32 v20, 16, v9
	s_delay_alu instid0(VALU_DEP_1) | instskip(NEXT) | instid1(VALU_DEP_1)
	v_cmp_le_i32_e64 s7, s21, v20
	s_and_saveexec_b32 s28, s7
	s_delay_alu instid0(SALU_CYCLE_1)
	s_xor_b32 s7, exec_lo, s28
	s_cbranch_execz .LBB56_73
; %bb.72:
	v_mov_b32_e32 v20, 0
	s_delay_alu instid0(VALU_DEP_1)
	v_mov_b32_e32 v21, v20
	v_mov_b32_e32 v22, v20
	;; [unrolled: 1-line block ×3, first 2 shown]
	ds_store_b128 v19, v[20:23] offset:8448
.LBB56_73:
	s_and_not1_saveexec_b32 s28, s7
	s_cbranch_execz .LBB56_75
; %bb.74:
	s_lshl_b64 s[30:31], s[12:13], 8
	v_add_nc_u32_e32 v24, 0x2100, v19
	v_add_co_u32 v20, s7, v7, s30
	s_delay_alu instid0(VALU_DEP_1)
	v_add_co_ci_u32_e64 v21, s7, s31, v8, s7
	flat_load_b128 v[20:23], v[20:21]
	s_waitcnt vmcnt(0) lgkmcnt(0)
	ds_store_2addr_b64 v24, v[20:21], v[22:23] offset1:1
.LBB56_75:
	s_or_b32 exec_lo, exec_lo, s28
	v_add_nc_u32_e32 v20, 24, v9
	s_delay_alu instid0(VALU_DEP_1) | instskip(NEXT) | instid1(VALU_DEP_1)
	v_cmp_le_i32_e64 s7, s21, v20
	s_and_saveexec_b32 s21, s7
	s_delay_alu instid0(SALU_CYCLE_1)
	s_xor_b32 s7, exec_lo, s21
	s_cbranch_execz .LBB56_77
; %bb.76:
	v_mov_b32_e32 v20, 0
	s_delay_alu instid0(VALU_DEP_1)
	v_mov_b32_e32 v21, v20
	v_mov_b32_e32 v22, v20
	;; [unrolled: 1-line block ×3, first 2 shown]
	ds_store_b128 v19, v[20:23] offset:12672
                                        ; implicit-def: $vgpr19
.LBB56_77:
	s_and_not1_saveexec_b32 s7, s7
	s_cbranch_execz .LBB56_79
; %bb.78:
	v_mad_u64_u32 v[20:21], null, 0x180, s12, v[7:8]
	v_add_nc_u32_e32 v19, 0x3180, v19
	s_delay_alu instid0(VALU_DEP_2) | instskip(NEXT) | instid1(VALU_DEP_1)
	v_mad_u64_u32 v[22:23], null, 0x180, s13, v[21:22]
	v_mov_b32_e32 v21, v22
	flat_load_b128 v[20:23], v[20:21]
	s_waitcnt vmcnt(0) lgkmcnt(0)
	ds_store_2addr_b64 v19, v[20:21], v[22:23] offset1:1
.LBB56_79:
	s_or_b32 exec_lo, exec_lo, s7
	v_lshlrev_b32_e32 v19, 4, v4
	s_delay_alu instid0(VALU_DEP_1) | instskip(NEXT) | instid1(VALU_DEP_1)
	v_add_co_u32 v7, s7, v7, v19
	v_add_co_ci_u32_e64 v8, s7, 0, v8, s7
	s_delay_alu instid0(VALU_DEP_2) | instskip(NEXT) | instid1(VALU_DEP_1)
	v_sub_co_u32 v7, s7, v7, s24
	v_subrev_co_ci_u32_e64 v8, s7, s25, v8, s7
	s_delay_alu instid0(VALU_DEP_2) | instskip(NEXT) | instid1(VALU_DEP_1)
	v_add_co_u32 v7, s7, 0x210, v7
	v_add_co_ci_u32_e64 v8, s7, 0, v8, s7
	s_delay_alu instid0(VALU_DEP_1)
	v_dual_cndmask_b32 v5, v7, v5 :: v_dual_cndmask_b32 v6, v8, v6
.LBB56_80:
	v_add_nc_u32_e32 v13, 0x4700, v13
	s_lshl_b64 s[24:25], s[12:13], 5
	s_waitcnt lgkmcnt(0)
	s_barrier
	buffer_gl0_inv
	s_and_saveexec_b32 s7, s3
	s_delay_alu instid0(SALU_CYCLE_1)
	s_xor_b32 s3, exec_lo, s7
	s_cbranch_execnz .LBB56_93
; %bb.81:
	s_and_not1_saveexec_b32 s3, s3
	s_cbranch_execnz .LBB56_96
.LBB56_82:
	s_or_b32 exec_lo, exec_lo, s3
	s_and_saveexec_b32 s3, s4
	s_delay_alu instid0(SALU_CYCLE_1)
	s_xor_b32 s3, exec_lo, s3
	s_cbranch_execnz .LBB56_97
.LBB56_83:
	s_and_not1_saveexec_b32 s3, s3
	s_cbranch_execnz .LBB56_100
.LBB56_84:
	s_or_b32 exec_lo, exec_lo, s3
	s_and_saveexec_b32 s3, s5
	s_delay_alu instid0(SALU_CYCLE_1)
	s_xor_b32 s3, exec_lo, s3
	s_cbranch_execnz .LBB56_101
.LBB56_85:
	s_and_not1_saveexec_b32 s3, s3
	s_cbranch_execnz .LBB56_104
.LBB56_86:
	s_or_b32 exec_lo, exec_lo, s3
	s_and_saveexec_b32 s3, s6
	s_delay_alu instid0(SALU_CYCLE_1)
	s_xor_b32 s3, exec_lo, s3
	s_cbranch_execnz .LBB56_105
.LBB56_87:
	s_and_not1_saveexec_b32 s3, s3
	s_cbranch_execz .LBB56_89
.LBB56_88:
	ds_load_b128 v[19:22], v10 offset:1056
	s_waitcnt lgkmcnt(0)
	v_xor_b32_e32 v22, 0x80000000, v22
	ds_store_b128 v12, v[19:22] offset:48
.LBB56_89:
	s_or_b32 exec_lo, exec_lo, s3
	s_waitcnt lgkmcnt(0)
	s_barrier
	buffer_gl0_inv
	ds_load_b128 v[19:22], v13 offset:512
	ds_load_b128 v[14:17], v16
	ds_load_b128 v[23:26], v10
	ds_load_b128 v[27:30], v13 offset:528
	ds_load_b128 v[31:34], v13 offset:544
	v_cmp_eq_u32_e64 s3, 1, v9
	s_waitcnt lgkmcnt(1)
	v_mul_f64 v[40:41], v[29:30], v[25:26]
	v_mul_f64 v[7:8], v[21:22], v[16:17]
	v_mul_f64 v[16:17], v[19:20], v[16:17]
	v_mul_f64 v[25:26], v[27:28], v[25:26]
	s_delay_alu instid0(VALU_DEP_4) | instskip(NEXT) | instid1(VALU_DEP_4)
	v_fma_f64 v[27:28], v[27:28], v[23:24], -v[40:41]
	v_fma_f64 v[7:8], v[19:20], v[14:15], -v[7:8]
	s_delay_alu instid0(VALU_DEP_4)
	v_fma_f64 v[46:47], v[21:22], v[14:15], v[16:17]
	ds_load_b128 v[14:17], v10 offset:528
	ds_load_b128 v[19:22], v10 offset:1056
	v_fma_f64 v[29:30], v[29:30], v[23:24], v[25:26]
	ds_load_b128 v[23:26], v13 offset:560
	s_waitcnt lgkmcnt(0)
	s_barrier
	buffer_gl0_inv
	v_mul_f64 v[10:11], v[33:34], v[16:17]
	v_mul_f64 v[16:17], v[31:32], v[16:17]
	v_add_f64 v[7:8], v[7:8], 0
	v_add_f64 v[40:41], v[46:47], 0
	v_mul_f64 v[46:47], v[25:26], v[21:22]
	v_mul_f64 v[21:22], v[23:24], v[21:22]
	v_fma_f64 v[10:11], v[31:32], v[14:15], -v[10:11]
	v_fma_f64 v[14:15], v[33:34], v[14:15], v[16:17]
	v_add_f64 v[7:8], v[7:8], v[27:28]
	v_add_f64 v[16:17], v[40:41], v[29:30]
	v_fma_f64 v[23:24], v[23:24], v[19:20], -v[46:47]
	v_fma_f64 v[19:20], v[25:26], v[19:20], v[21:22]
	s_delay_alu instid0(VALU_DEP_4) | instskip(NEXT) | instid1(VALU_DEP_4)
	v_add_f64 v[7:8], v[7:8], v[10:11]
	v_add_f64 v[10:11], v[16:17], v[14:15]
	s_delay_alu instid0(VALU_DEP_2) | instskip(NEXT) | instid1(VALU_DEP_2)
	v_add_f64 v[14:15], v[7:8], v[23:24]
	v_add_f64 v[16:17], v[10:11], v[19:20]
	ds_store_b128 v45, v[14:17]
	s_waitcnt lgkmcnt(0)
	s_barrier
	buffer_gl0_inv
	s_and_saveexec_b32 s4, s3
	s_cbranch_execz .LBB56_91
; %bb.90:
	v_lshlrev_b32_e32 v19, 4, v44
	ds_load_b128 v[0:3], v19
	ds_load_b128 v[14:17], v19 offset:16
	s_waitcnt lgkmcnt(0)
	v_add_f64 v[7:8], v[14:15], v[0:1]
	v_add_f64 v[10:11], v[16:17], v[2:3]
	ds_load_b128 v[0:3], v19 offset:32
	ds_load_b128 v[14:17], v19 offset:48
	s_waitcnt lgkmcnt(1)
	v_add_f64 v[0:1], v[7:8], v[0:1]
	v_add_f64 v[2:3], v[10:11], v[2:3]
	s_waitcnt lgkmcnt(0)
	s_delay_alu instid0(VALU_DEP_2) | instskip(NEXT) | instid1(VALU_DEP_2)
	v_add_f64 v[7:8], v[0:1], v[14:15]
	v_add_f64 v[10:11], v[2:3], v[16:17]
	ds_load_b128 v[0:3], v19 offset:64
	ds_load_b128 v[14:17], v19 offset:80
	s_waitcnt lgkmcnt(1)
	v_add_f64 v[0:1], v[7:8], v[0:1]
	v_add_f64 v[2:3], v[10:11], v[2:3]
	s_waitcnt lgkmcnt(0)
	s_delay_alu instid0(VALU_DEP_2) | instskip(NEXT) | instid1(VALU_DEP_2)
	;; [unrolled: 9-line block ×3, first 2 shown]
	v_add_f64 v[0:1], v[0:1], v[14:15]
	v_add_f64 v[2:3], v[2:3], v[16:17]
.LBB56_91:
	s_or_b32 exec_lo, exec_lo, s4
	s_lshl_b64 s[4:5], s[24:25], 4
	v_cmp_ne_u32_e32 vcc_lo, 1, v18
	v_sub_co_u32 v40, s4, v5, s4
	s_delay_alu instid0(VALU_DEP_1)
	v_subrev_co_ci_u32_e64 v41, s4, s5, v6, s4
	s_barrier
	buffer_gl0_inv
	s_cbranch_vccnz .LBB56_108
; %bb.92:
	flat_load_b128 v[5:8], v[40:41]
	v_mad_u32_u24 v10, v9, 33, v4
	s_lshl_b64 s[4:5], s[12:13], 7
	s_delay_alu instid0(SALU_CYCLE_1) | instskip(NEXT) | instid1(VALU_DEP_2)
	v_add_co_u32 v14, vcc_lo, v40, s4
	v_lshlrev_b32_e32 v19, 4, v10
	v_add_co_ci_u32_e32 v15, vcc_lo, s5, v41, vcc_lo
	s_delay_alu instid0(VALU_DEP_2)
	v_add_nc_u32_e32 v11, 0x1080, v19
	s_waitcnt vmcnt(0) lgkmcnt(0)
	ds_store_2addr_b64 v19, v[5:6], v[7:8] offset1:1
	flat_load_b128 v[5:8], v[14:15]
	v_add_co_u32 v14, vcc_lo, v14, s4
	v_add_co_ci_u32_e32 v15, vcc_lo, s5, v15, vcc_lo
	s_waitcnt vmcnt(0) lgkmcnt(0)
	ds_store_2addr_b64 v11, v[5:6], v[7:8] offset1:1
	flat_load_b128 v[5:8], v[14:15]
	v_mad_u64_u32 v[14:15], null, 0x180, s12, v[40:41]
	s_delay_alu instid0(VALU_DEP_1) | instskip(NEXT) | instid1(VALU_DEP_1)
	v_mov_b32_e32 v11, v15
	v_mad_u64_u32 v[15:16], null, 0x180, s13, v[11:12]
	v_add_nc_u32_e32 v11, 0x2100, v19
	v_add_nc_u32_e32 v19, 0x3180, v19
	s_waitcnt vmcnt(0) lgkmcnt(0)
	ds_store_2addr_b64 v11, v[5:6], v[7:8] offset1:1
	v_add_nc_u32_e32 v6, 0x108, v10
	flat_load_b128 v[15:18], v[14:15]
	v_add_nc_u32_e32 v7, 8, v9
	v_add_nc_u32_e32 v8, 16, v9
	v_add_nc_u32_e32 v5, 0x210, v10
	v_add_nc_u32_e32 v11, 24, v9
	v_add_nc_u32_e32 v14, 0x318, v10
	s_waitcnt vmcnt(0) lgkmcnt(0)
	ds_store_2addr_b64 v19, v[15:16], v[17:18] offset1:1
	s_cbranch_execz .LBB56_109
	s_branch .LBB56_126
.LBB56_93:
	s_mov_b32 s7, exec_lo
	v_cmpx_eq_u32_e64 v11, v4
	s_cbranch_execz .LBB56_95
; %bb.94:
	v_mul_u32_u24_e32 v8, 34, v4
	v_mov_b32_e32 v7, 0
	s_delay_alu instid0(VALU_DEP_1)
	v_dual_mov_b32 v8, v7 :: v_dual_lshlrev_b32 v11, 4, v8
	ds_store_b64 v11, v[7:8] offset:8
.LBB56_95:
	s_or_b32 exec_lo, exec_lo, s7
	s_and_not1_saveexec_b32 s3, s3
	s_cbranch_execz .LBB56_82
.LBB56_96:
	ds_load_b128 v[19:22], v16
	s_waitcnt lgkmcnt(0)
	v_xor_b32_e32 v22, 0x80000000, v22
	ds_store_b128 v12, v[19:22]
	s_or_b32 exec_lo, exec_lo, s3
	s_and_saveexec_b32 s3, s4
	s_delay_alu instid0(SALU_CYCLE_1)
	s_xor_b32 s3, exec_lo, s3
	s_cbranch_execz .LBB56_83
.LBB56_97:
	s_mov_b32 s4, exec_lo
	v_cmpx_eq_u32_e64 v14, v4
	s_cbranch_execz .LBB56_99
; %bb.98:
	v_mul_u32_u24_e32 v8, 34, v4
	v_mov_b32_e32 v7, 0
	s_delay_alu instid0(VALU_DEP_1)
	v_dual_mov_b32 v8, v7 :: v_dual_lshlrev_b32 v11, 4, v8
	ds_store_b64 v11, v[7:8] offset:8
.LBB56_99:
	s_or_b32 exec_lo, exec_lo, s4
	s_and_not1_saveexec_b32 s3, s3
	s_cbranch_execz .LBB56_84
.LBB56_100:
	ds_load_b128 v[19:22], v10
	s_waitcnt lgkmcnt(0)
	v_xor_b32_e32 v22, 0x80000000, v22
	ds_store_b128 v12, v[19:22] offset:16
	s_or_b32 exec_lo, exec_lo, s3
	s_and_saveexec_b32 s3, s5
	s_delay_alu instid0(SALU_CYCLE_1)
	s_xor_b32 s3, exec_lo, s3
	s_cbranch_execz .LBB56_85
.LBB56_101:
	s_mov_b32 s4, exec_lo
	v_cmpx_eq_u32_e64 v15, v4
	s_cbranch_execz .LBB56_103
; %bb.102:
	v_mul_u32_u24_e32 v8, 34, v4
	v_mov_b32_e32 v7, 0
	s_delay_alu instid0(VALU_DEP_1)
	v_dual_mov_b32 v8, v7 :: v_dual_lshlrev_b32 v11, 4, v8
	ds_store_b64 v11, v[7:8] offset:8
.LBB56_103:
	s_or_b32 exec_lo, exec_lo, s4
	s_and_not1_saveexec_b32 s3, s3
	s_cbranch_execz .LBB56_86
.LBB56_104:
	ds_load_b128 v[19:22], v10 offset:528
	s_waitcnt lgkmcnt(0)
	v_xor_b32_e32 v22, 0x80000000, v22
	ds_store_b128 v12, v[19:22] offset:32
	s_or_b32 exec_lo, exec_lo, s3
	s_and_saveexec_b32 s3, s6
	s_delay_alu instid0(SALU_CYCLE_1)
	s_xor_b32 s3, exec_lo, s3
	s_cbranch_execz .LBB56_87
.LBB56_105:
	s_mov_b32 s4, exec_lo
	v_cmpx_eq_u32_e64 v17, v4
	s_cbranch_execz .LBB56_107
; %bb.106:
	v_mul_u32_u24_e32 v8, 34, v4
	v_mov_b32_e32 v7, 0
	s_delay_alu instid0(VALU_DEP_1)
	v_dual_mov_b32 v8, v7 :: v_dual_lshlrev_b32 v11, 4, v8
	ds_store_b64 v11, v[7:8] offset:8
.LBB56_107:
	s_or_b32 exec_lo, exec_lo, s4
	s_and_not1_saveexec_b32 s3, s3
	s_cbranch_execnz .LBB56_88
	s_branch .LBB56_89
.LBB56_108:
                                        ; implicit-def: $vgpr10
                                        ; implicit-def: $vgpr7
                                        ; implicit-def: $vgpr6
                                        ; implicit-def: $vgpr8
                                        ; implicit-def: $vgpr5
                                        ; implicit-def: $vgpr11
                                        ; implicit-def: $vgpr14
.LBB56_109:
	v_or_b32_e32 v5, 32, v4
	s_ashr_i32 s21, s20, 31
	v_mad_u32_u24 v10, v9, 33, v4
	s_lshl_b64 s[6:7], s[20:21], 4
	v_cmp_le_i32_e64 s4, s20, v9
	v_lshlrev_b32_e32 v6, 4, v5
	s_delay_alu instid0(VALU_DEP_3) | instskip(NEXT) | instid1(VALU_DEP_2)
	v_lshlrev_b32_e32 v15, 4, v10
	v_sub_co_u32 v6, vcc_lo, v40, v6
	v_subrev_co_ci_u32_e32 v7, vcc_lo, 0, v41, vcc_lo
	s_delay_alu instid0(VALU_DEP_2) | instskip(NEXT) | instid1(VALU_DEP_2)
	v_add_co_u32 v6, vcc_lo, v6, s6
	v_add_co_ci_u32_e32 v7, vcc_lo, s7, v7, vcc_lo
	s_delay_alu instid0(VALU_DEP_2) | instskip(NEXT) | instid1(VALU_DEP_2)
	v_add_co_u32 v8, vcc_lo, v6, -16
	v_add_co_ci_u32_e32 v6, vcc_lo, -1, v7, vcc_lo
	v_cmp_gt_i32_e32 vcc_lo, s20, v5
	s_delay_alu instid0(VALU_DEP_2) | instskip(SKIP_1) | instid1(SALU_CYCLE_1)
	v_dual_cndmask_b32 v5, v8, v40 :: v_dual_cndmask_b32 v6, v6, v41
	s_and_saveexec_b32 s5, s4
	s_xor_b32 s4, exec_lo, s5
	s_cbranch_execz .LBB56_111
; %bb.110:
	v_mov_b32_e32 v16, 0
	s_delay_alu instid0(VALU_DEP_1)
	v_mov_b32_e32 v17, v16
	v_mov_b32_e32 v18, v16
	;; [unrolled: 1-line block ×3, first 2 shown]
	ds_store_b128 v15, v[16:19]
.LBB56_111:
	s_and_not1_saveexec_b32 s4, s4
	s_cbranch_execz .LBB56_113
; %bb.112:
	flat_load_b128 v[16:19], v[5:6]
	s_waitcnt vmcnt(0) lgkmcnt(0)
	ds_store_2addr_b64 v15, v[16:17], v[18:19] offset1:1
.LBB56_113:
	s_or_b32 exec_lo, exec_lo, s4
	v_add_nc_u32_e32 v7, 8, v9
	s_delay_alu instid0(VALU_DEP_1) | instskip(NEXT) | instid1(VALU_DEP_1)
	v_cmp_le_i32_e64 s4, s20, v7
	s_and_saveexec_b32 s5, s4
	s_delay_alu instid0(SALU_CYCLE_1)
	s_xor_b32 s4, exec_lo, s5
	s_cbranch_execz .LBB56_115
; %bb.114:
	v_mul_u32_u24_e32 v8, 33, v7
	v_mov_b32_e32 v16, 0
	s_delay_alu instid0(VALU_DEP_2) | instskip(NEXT) | instid1(VALU_DEP_2)
	v_add_lshl_u32 v8, v8, v4, 4
	v_mov_b32_e32 v17, v16
	v_mov_b32_e32 v18, v16
	v_mov_b32_e32 v19, v16
	ds_store_b128 v8, v[16:19]
.LBB56_115:
	s_and_not1_saveexec_b32 s5, s4
	s_cbranch_execz .LBB56_117
; %bb.116:
	s_lshl_b64 s[24:25], s[12:13], 7
	v_add_nc_u32_e32 v8, 0x1080, v15
	v_add_co_u32 v16, s4, v5, s24
	s_delay_alu instid0(VALU_DEP_1)
	v_add_co_ci_u32_e64 v17, s4, s25, v6, s4
	flat_load_b128 v[16:19], v[16:17]
	s_waitcnt vmcnt(0) lgkmcnt(0)
	ds_store_2addr_b64 v8, v[16:17], v[18:19] offset1:1
.LBB56_117:
	s_or_b32 exec_lo, exec_lo, s5
	v_add_nc_u32_e32 v8, 16, v9
	s_delay_alu instid0(VALU_DEP_1) | instskip(NEXT) | instid1(VALU_DEP_1)
	v_cmp_le_i32_e64 s4, s20, v8
	s_and_saveexec_b32 s5, s4
	s_delay_alu instid0(SALU_CYCLE_1)
	s_xor_b32 s4, exec_lo, s5
	s_cbranch_execz .LBB56_119
; %bb.118:
	v_mul_u32_u24_e32 v11, 33, v8
	v_mov_b32_e32 v16, 0
	s_delay_alu instid0(VALU_DEP_2) | instskip(NEXT) | instid1(VALU_DEP_2)
	v_add_lshl_u32 v11, v11, v4, 4
	v_mov_b32_e32 v17, v16
	v_mov_b32_e32 v18, v16
	;; [unrolled: 1-line block ×3, first 2 shown]
	ds_store_b128 v11, v[16:19]
.LBB56_119:
	s_and_not1_saveexec_b32 s5, s4
	s_cbranch_execz .LBB56_121
; %bb.120:
	s_lshl_b64 s[24:25], s[12:13], 8
	v_add_nc_u32_e32 v11, 0x2100, v15
	v_add_co_u32 v16, s4, v5, s24
	s_delay_alu instid0(VALU_DEP_1)
	v_add_co_ci_u32_e64 v17, s4, s25, v6, s4
	flat_load_b128 v[16:19], v[16:17]
	s_waitcnt vmcnt(0) lgkmcnt(0)
	ds_store_2addr_b64 v11, v[16:17], v[18:19] offset1:1
.LBB56_121:
	s_or_b32 exec_lo, exec_lo, s5
	v_add_nc_u32_e32 v11, 24, v9
                                        ; implicit-def: $vgpr14
	s_delay_alu instid0(VALU_DEP_1) | instskip(NEXT) | instid1(VALU_DEP_1)
	v_cmp_le_i32_e64 s4, s20, v11
	s_and_saveexec_b32 s5, s4
	s_delay_alu instid0(SALU_CYCLE_1)
	s_xor_b32 s4, exec_lo, s5
	s_cbranch_execz .LBB56_123
; %bb.122:
	v_mov_b32_e32 v16, 0
	s_delay_alu instid0(VALU_DEP_1)
	v_dual_mov_b32 v17, v16 :: v_dual_add_nc_u32 v14, 0x318, v10
	v_mov_b32_e32 v18, v16
	v_mov_b32_e32 v19, v16
	ds_store_b128 v15, v[16:19] offset:12672
                                        ; implicit-def: $vgpr15
.LBB56_123:
	s_and_not1_saveexec_b32 s4, s4
	s_cbranch_execz .LBB56_125
; %bb.124:
	v_mad_u64_u32 v[16:17], null, 0x180, s12, v[5:6]
	s_delay_alu instid0(VALU_DEP_1) | instskip(NEXT) | instid1(VALU_DEP_1)
	v_mov_b32_e32 v14, v17
	v_mad_u64_u32 v[17:18], null, 0x180, s13, v[14:15]
	v_add_nc_u32_e32 v15, 0x3180, v15
	v_add_nc_u32_e32 v14, 0x318, v10
	flat_load_b128 v[16:19], v[16:17]
	s_waitcnt vmcnt(0) lgkmcnt(0)
	ds_store_2addr_b64 v15, v[16:17], v[18:19] offset1:1
.LBB56_125:
	s_or_b32 exec_lo, exec_lo, s4
	v_lshlrev_b32_e32 v4, 4, v4
	s_delay_alu instid0(VALU_DEP_1) | instskip(NEXT) | instid1(VALU_DEP_1)
	v_add_co_u32 v4, s4, v5, v4
	v_add_co_ci_u32_e64 v5, s4, 0, v6, s4
	v_add_nc_u32_e32 v6, 0x108, v10
	s_delay_alu instid0(VALU_DEP_3) | instskip(NEXT) | instid1(VALU_DEP_1)
	v_sub_co_u32 v4, s4, v4, s6
	v_subrev_co_ci_u32_e64 v5, s4, s7, v5, s4
	s_delay_alu instid0(VALU_DEP_2) | instskip(NEXT) | instid1(VALU_DEP_1)
	v_add_co_u32 v4, s4, 0x210, v4
	v_add_co_ci_u32_e64 v5, s4, 0, v5, s4
	s_delay_alu instid0(VALU_DEP_1)
	v_dual_cndmask_b32 v40, v4, v40 :: v_dual_cndmask_b32 v41, v5, v41
	v_add_nc_u32_e32 v5, 0x210, v10
.LBB56_126:
	v_lshlrev_b32_e32 v4, 4, v9
	v_lshlrev_b32_e32 v9, 4, v10
	s_waitcnt lgkmcnt(0)
	s_barrier
	buffer_gl0_inv
	ds_load_b128 v[15:18], v4 offset:18176
	ds_load_b128 v[19:22], v9
	v_lshlrev_b32_e32 v4, 4, v7
	v_lshlrev_b32_e32 v6, 4, v6
	;; [unrolled: 1-line block ×3, first 2 shown]
	s_waitcnt lgkmcnt(0)
	v_mul_f64 v[9:10], v[17:18], v[21:22]
	v_mul_f64 v[29:30], v[15:16], v[21:22]
	ds_load_b128 v[21:24], v4 offset:18176
	ds_load_b128 v[25:28], v6
	v_lshlrev_b32_e32 v4, 4, v8
	v_lshlrev_b32_e32 v8, 4, v5
	s_waitcnt lgkmcnt(0)
	v_mul_f64 v[31:32], v[23:24], v[27:28]
	v_mul_f64 v[27:28], v[21:22], v[27:28]
	v_fma_f64 v[9:10], v[15:16], v[19:20], -v[9:10]
	v_fma_f64 v[19:20], v[17:18], v[19:20], v[29:30]
	ds_load_b128 v[4:7], v4 offset:18176
	ds_load_b128 v[15:18], v8
	v_lshlrev_b32_e32 v8, 4, v11
	s_waitcnt lgkmcnt(0)
	v_mul_f64 v[29:30], v[6:7], v[17:18]
	v_mul_f64 v[33:34], v[4:5], v[17:18]
	v_fma_f64 v[21:22], v[21:22], v[25:26], -v[31:32]
	v_fma_f64 v[23:24], v[23:24], v[25:26], v[27:28]
	v_add_f64 v[25:26], v[9:10], 0
	v_add_f64 v[27:28], v[19:20], 0
	ds_load_b128 v[8:11], v8 offset:18176
	ds_load_b128 v[17:20], v14
	s_waitcnt lgkmcnt(0)
	v_mul_f64 v[31:32], v[10:11], v[19:20]
	v_mul_f64 v[19:20], v[8:9], v[19:20]
	v_fma_f64 v[4:5], v[4:5], v[15:16], -v[29:30]
	v_fma_f64 v[6:7], v[6:7], v[15:16], v[33:34]
	v_add_f64 v[14:15], v[25:26], v[21:22]
	v_add_f64 v[21:22], v[27:28], v[23:24]
	v_fma_f64 v[8:9], v[8:9], v[17:18], -v[31:32]
	v_fma_f64 v[10:11], v[10:11], v[17:18], v[19:20]
	s_delay_alu instid0(VALU_DEP_4) | instskip(NEXT) | instid1(VALU_DEP_4)
	v_add_f64 v[4:5], v[14:15], v[4:5]
	v_add_f64 v[6:7], v[21:22], v[6:7]
	s_delay_alu instid0(VALU_DEP_2) | instskip(NEXT) | instid1(VALU_DEP_2)
	v_add_f64 v[46:47], v[4:5], v[8:9]
	v_add_f64 v[48:49], v[6:7], v[10:11]
	ds_load_b128 v[28:31], v12
	ds_load_b128 v[20:23], v12 offset:16
	ds_load_b128 v[8:11], v12 offset:32
	ds_load_b128 v[4:7], v12 offset:48
	ds_load_b128 v[32:35], v13 offset:512
	ds_load_b128 v[24:27], v13 offset:528
	ds_load_b128 v[16:19], v13 offset:544
	ds_load_b128 v[12:15], v13 offset:560
	s_waitcnt lgkmcnt(0)
	s_barrier
	buffer_gl0_inv
	ds_store_b128 v45, v[46:49]
	s_waitcnt lgkmcnt(0)
	s_barrier
	buffer_gl0_inv
	s_and_saveexec_b32 s4, s3
	s_cbranch_execz .LBB56_128
; %bb.127:
	v_lshlrev_b32_e32 v54, 4, v44
	ds_load_b128 v[46:49], v54
	ds_load_b128 v[50:53], v54 offset:16
	s_waitcnt lgkmcnt(1)
	v_add_f64 v[0:1], v[0:1], v[46:47]
	v_add_f64 v[2:3], v[2:3], v[48:49]
	s_waitcnt lgkmcnt(0)
	s_delay_alu instid0(VALU_DEP_2) | instskip(NEXT) | instid1(VALU_DEP_2)
	v_add_f64 v[50:51], v[0:1], v[50:51]
	v_add_f64 v[52:53], v[2:3], v[52:53]
	ds_load_b128 v[0:3], v54 offset:32
	ds_load_b128 v[46:49], v54 offset:48
	s_waitcnt lgkmcnt(1)
	v_add_f64 v[0:1], v[50:51], v[0:1]
	v_add_f64 v[2:3], v[52:53], v[2:3]
	s_waitcnt lgkmcnt(0)
	s_delay_alu instid0(VALU_DEP_2) | instskip(NEXT) | instid1(VALU_DEP_2)
	v_add_f64 v[50:51], v[0:1], v[46:47]
	v_add_f64 v[52:53], v[2:3], v[48:49]
	ds_load_b128 v[0:3], v54 offset:64
	;; [unrolled: 9-line block ×3, first 2 shown]
	ds_load_b128 v[46:49], v54 offset:112
	s_waitcnt lgkmcnt(1)
	v_add_f64 v[0:1], v[50:51], v[0:1]
	v_add_f64 v[2:3], v[52:53], v[2:3]
	s_waitcnt lgkmcnt(0)
	s_delay_alu instid0(VALU_DEP_2) | instskip(NEXT) | instid1(VALU_DEP_2)
	v_add_f64 v[0:1], v[0:1], v[46:47]
	v_add_f64 v[2:3], v[2:3], v[48:49]
.LBB56_128:
	s_or_b32 exec_lo, exec_lo, s4
	v_mul_f64 v[46:47], v[30:31], v[34:35]
	v_mul_f64 v[30:31], v[30:31], v[32:33]
	;; [unrolled: 1-line block ×4, first 2 shown]
	s_barrier
	buffer_gl0_inv
	v_fma_f64 v[32:33], v[28:29], v[32:33], v[46:47]
	v_fma_f64 v[28:29], v[28:29], v[34:35], -v[30:31]
	v_mul_f64 v[30:31], v[10:11], v[18:19]
	v_mul_f64 v[10:11], v[10:11], v[16:17]
	v_fma_f64 v[24:25], v[20:21], v[24:25], v[48:49]
	v_fma_f64 v[20:21], v[20:21], v[26:27], -v[22:23]
	v_add_f64 v[22:23], v[32:33], 0
	v_add_f64 v[26:27], v[28:29], 0
	v_mul_f64 v[28:29], v[6:7], v[14:15]
	v_mul_f64 v[6:7], v[6:7], v[12:13]
	v_fma_f64 v[16:17], v[8:9], v[16:17], v[30:31]
	v_fma_f64 v[8:9], v[8:9], v[18:19], -v[10:11]
	v_add_f64 v[10:11], v[22:23], v[24:25]
	v_add_f64 v[18:19], v[26:27], v[20:21]
	v_fma_f64 v[12:13], v[4:5], v[12:13], v[28:29]
	v_fma_f64 v[6:7], v[4:5], v[14:15], -v[6:7]
	s_delay_alu instid0(VALU_DEP_4) | instskip(NEXT) | instid1(VALU_DEP_4)
	v_add_f64 v[4:5], v[10:11], v[16:17]
	v_add_f64 v[8:9], v[18:19], v[8:9]
	s_delay_alu instid0(VALU_DEP_2) | instskip(NEXT) | instid1(VALU_DEP_2)
	v_add_f64 v[4:5], v[4:5], v[12:13]
	v_add_f64 v[6:7], v[8:9], v[6:7]
	ds_store_b128 v45, v[4:7]
	s_waitcnt lgkmcnt(0)
	s_barrier
	buffer_gl0_inv
	s_and_saveexec_b32 s3, s2
	s_cbranch_execz .LBB56_130
; %bb.129:
	v_lshlrev_b32_e32 v12, 4, v44
	ds_load_b128 v[4:7], v12
	ds_load_b128 v[8:11], v12 offset:16
	s_waitcnt lgkmcnt(1)
	v_add_f64 v[0:1], v[0:1], v[4:5]
	v_add_f64 v[2:3], v[2:3], v[6:7]
	s_waitcnt lgkmcnt(0)
	s_delay_alu instid0(VALU_DEP_2) | instskip(NEXT) | instid1(VALU_DEP_2)
	v_add_f64 v[8:9], v[0:1], v[8:9]
	v_add_f64 v[10:11], v[2:3], v[10:11]
	ds_load_b128 v[0:3], v12 offset:32
	ds_load_b128 v[4:7], v12 offset:48
	s_waitcnt lgkmcnt(1)
	v_add_f64 v[0:1], v[8:9], v[0:1]
	v_add_f64 v[2:3], v[10:11], v[2:3]
	s_waitcnt lgkmcnt(0)
	s_delay_alu instid0(VALU_DEP_2) | instskip(NEXT) | instid1(VALU_DEP_2)
	v_add_f64 v[8:9], v[0:1], v[4:5]
	v_add_f64 v[10:11], v[2:3], v[6:7]
	ds_load_b128 v[0:3], v12 offset:64
	;; [unrolled: 9-line block ×3, first 2 shown]
	ds_load_b128 v[4:7], v12 offset:112
	s_waitcnt lgkmcnt(1)
	v_add_f64 v[0:1], v[8:9], v[0:1]
	v_add_f64 v[2:3], v[10:11], v[2:3]
	s_waitcnt lgkmcnt(0)
	s_delay_alu instid0(VALU_DEP_2) | instskip(NEXT) | instid1(VALU_DEP_2)
	v_add_f64 v[0:1], v[0:1], v[4:5]
	v_add_f64 v[2:3], v[2:3], v[6:7]
.LBB56_130:
	s_or_b32 exec_lo, exec_lo, s3
	s_mul_hi_u32 s2, s15, s16
	s_mul_i32 s26, s26, s16
	s_mul_i32 s3, s15, s16
	s_add_i32 s2, s2, s26
	s_mul_hi_u32 s5, s3, s17
	s_mul_i32 s4, s2, s17
	s_mul_i32 s2, s3, s17
	s_add_i32 s3, s5, s4
	s_mul_i32 s4, s14, s15
	s_lshl_b64 s[2:3], s[2:3], 4
	v_cmp_le_i32_e32 vcc_lo, s20, v42
	s_add_u32 s6, s18, s2
	s_addc_u32 s7, s19, s3
	s_ashr_i32 s5, s4, 31
	v_lshlrev_b32_e32 v151, 4, v42
	s_lshl_b64 s[2:3], s[4:5], 4
	s_delay_alu instid0(SALU_CYCLE_1)
	s_add_u32 s6, s6, s2
	s_addc_u32 s7, s7, s3
	s_and_b32 vcc_lo, s27, vcc_lo
	s_cmp_lt_i32 s14, 1
	s_barrier
	buffer_gl0_inv
	s_cbranch_scc1 .LBB56_137
; %bb.131:
	v_dual_mov_b32 v147, 0 :: v_dual_lshlrev_b32 v8, 2, v150
	s_ashr_i32 s21, s20, 31
	s_mul_i32 s3, s10, s9
	s_mul_hi_u32 s5, s10, s8
	s_delay_alu instid0(VALU_DEP_1)
	v_mad_u64_u32 v[4:5], null, v8, s12, 0
	s_mul_i32 s15, s11, s8
	s_mul_i32 s4, s10, s8
	s_lshl_b64 s[10:11], s[20:21], 4
	v_lshlrev_b32_e32 v10, 2, v43
	s_add_i32 s3, s5, s3
	v_add_nc_u32_e32 v153, 0x4700, v151
	s_delay_alu instid0(VALU_DEP_3) | instskip(SKIP_2) | instid1(VALU_DEP_1)
	v_mad_u64_u32 v[6:7], null, v8, s13, v[5:6]
	v_add_nc_u32_e32 v152, 0x4300, v151
	v_sub_co_u32 v7, s2, v40, s22
	v_subrev_co_ci_u32_e64 v8, s2, s23, v41, s2
	s_add_i32 s5, s3, s15
	s_delay_alu instid0(VALU_DEP_4) | instskip(NEXT) | instid1(VALU_DEP_3)
	v_mov_b32_e32 v5, v6
	v_sub_co_u32 v7, s2, v7, v38
	s_delay_alu instid0(VALU_DEP_1) | instskip(NEXT) | instid1(VALU_DEP_3)
	v_sub_co_ci_u32_e64 v8, s2, v8, v39, s2
	v_lshlrev_b64 v[4:5], 4, v[4:5]
	s_lshl_b64 s[4:5], s[4:5], 4
	v_and_b32_e32 v10, 0x7ffc0, v10
	v_lshl_add_u32 v159, v150, 6, 0x4300
	v_mad_u32_u24 v160, 0x10c0, v150, v151
	s_mul_i32 s3, s13, 0xd0
	v_add_co_u32 v4, s2, v7, v4
	s_delay_alu instid0(VALU_DEP_1) | instskip(NEXT) | instid1(VALU_DEP_2)
	v_add_co_ci_u32_e64 v5, s2, v8, v5, s2
	v_add_co_u32 v4, s2, 0xfffffe00, v4
	s_delay_alu instid0(VALU_DEP_1) | instskip(NEXT) | instid1(VALU_DEP_2)
	v_add_co_ci_u32_e64 v5, s2, -1, v5, s2
	v_add_co_u32 v8, s2, v4, s10
	s_delay_alu instid0(VALU_DEP_1) | instskip(SKIP_1) | instid1(VALU_DEP_1)
	v_add_co_ci_u32_e64 v11, s2, s11, v5, s2
	v_add_co_u32 v4, s2, v4, v151
	v_add_co_ci_u32_e64 v5, s2, 0, v5, s2
	s_delay_alu instid0(VALU_DEP_4) | instskip(NEXT) | instid1(VALU_DEP_1)
	v_add_co_u32 v8, s2, v8, -16
	v_add_co_ci_u32_e64 v11, s2, -1, v11, s2
	v_and_b32_e32 v6, 48, v42
	s_delay_alu instid0(VALU_DEP_3) | instskip(NEXT) | instid1(VALU_DEP_3)
	v_dual_cndmask_b32 v4, v4, v8 :: v_dual_and_b32 v9, 15, v42
	v_cndmask_b32_e32 v5, v5, v11, vcc_lo
	v_or_b32_e32 v8, 0xf0, v151
	s_delay_alu instid0(VALU_DEP_4) | instskip(SKIP_1) | instid1(VALU_DEP_1)
	v_lshlrev_b32_e32 v7, 4, v6
	v_sub_co_u32 v154, s2, v36, s4
	v_subrev_co_ci_u32_e64 v155, s2, s5, v37, s2
	s_delay_alu instid0(VALU_DEP_3)
	v_mad_u32_u24 v156, 0x430, v9, v7
	v_and_b32_e32 v7, 0x1fff0, v43
	v_cmp_gt_u32_e64 s2, 64, v43
	v_mad_u32_u24 v157, 0x430, v9, v8
	v_mad_u32_u24 v158, 0x430, v9, v10
	v_or_b32_e32 v162, v6, v9
	v_mad_u32_u24 v161, 0x430, v9, v7
	s_mul_hi_u32 s10, s12, 0xd0
	s_lshl_b64 s[4:5], s[12:13], 4
	s_add_i32 s10, s10, s3
	s_mul_i32 s11, s12, 0xd0
	s_mov_b32 s12, 0
	s_branch .LBB56_133
.LBB56_132:                             ;   in Loop: Header=BB56_133 Depth=1
	s_or_b32 exec_lo, exec_lo, s13
	v_mul_f64 v[108:109], v[10:11], v[38:39]
	v_mul_f64 v[38:39], v[8:9], v[38:39]
	;; [unrolled: 1-line block ×4, first 2 shown]
	s_add_i32 s14, s14, -1
	s_add_i32 s12, s12, 64
	s_cmp_eq_u32 s14, 0
	s_waitcnt_vscnt null, 0x0
	s_barrier
	buffer_gl0_inv
	v_fma_f64 v[8:9], v[8:9], v[36:37], -v[108:109]
	v_fma_f64 v[10:11], v[10:11], v[36:37], v[38:39]
	v_mul_f64 v[36:37], v[14:15], v[46:47]
	v_mul_f64 v[38:39], v[12:13], v[46:47]
	v_fma_f64 v[16:17], v[16:17], v[48:49], -v[110:111]
	v_fma_f64 v[18:19], v[18:19], v[48:49], v[50:51]
	v_add_f64 v[0:1], v[0:1], v[8:9]
	v_add_f64 v[2:3], v[2:3], v[10:11]
	v_mul_f64 v[8:9], v[6:7], v[42:43]
	v_mul_f64 v[10:11], v[4:5], v[42:43]
	v_fma_f64 v[12:13], v[12:13], v[44:45], -v[36:37]
	v_fma_f64 v[14:15], v[14:15], v[44:45], v[38:39]
	v_add_f64 v[0:1], v[0:1], v[16:17]
	v_add_f64 v[2:3], v[2:3], v[18:19]
	v_mul_f64 v[16:17], v[34:35], v[74:75]
	v_mul_f64 v[18:19], v[32:33], v[74:75]
	v_fma_f64 v[4:5], v[4:5], v[40:41], -v[8:9]
	v_fma_f64 v[6:7], v[6:7], v[40:41], v[10:11]
	v_mul_f64 v[8:9], v[30:31], v[82:83]
	v_mul_f64 v[10:11], v[28:29], v[82:83]
	v_add_f64 v[0:1], v[0:1], v[12:13]
	v_add_f64 v[2:3], v[2:3], v[14:15]
	v_fma_f64 v[12:13], v[32:33], v[72:73], -v[16:17]
	v_fma_f64 v[14:15], v[34:35], v[72:73], v[18:19]
	v_fma_f64 v[8:9], v[28:29], v[80:81], -v[8:9]
	v_fma_f64 v[10:11], v[30:31], v[80:81], v[10:11]
	v_add_f64 v[0:1], v[0:1], v[4:5]
	v_add_f64 v[2:3], v[2:3], v[6:7]
	v_mul_f64 v[4:5], v[26:27], v[78:79]
	v_mul_f64 v[6:7], v[24:25], v[78:79]
	s_delay_alu instid0(VALU_DEP_4) | instskip(NEXT) | instid1(VALU_DEP_4)
	v_add_f64 v[0:1], v[0:1], v[12:13]
	v_add_f64 v[2:3], v[2:3], v[14:15]
	v_mul_f64 v[12:13], v[22:23], v[70:71]
	v_mul_f64 v[14:15], v[20:21], v[70:71]
	v_fma_f64 v[4:5], v[24:25], v[76:77], -v[4:5]
	v_fma_f64 v[6:7], v[26:27], v[76:77], v[6:7]
	v_add_f64 v[0:1], v[0:1], v[8:9]
	v_add_f64 v[2:3], v[2:3], v[10:11]
	v_mul_f64 v[8:9], v[66:67], v[102:103]
	v_mul_f64 v[10:11], v[64:65], v[102:103]
	v_fma_f64 v[12:13], v[20:21], v[68:69], -v[12:13]
	v_fma_f64 v[14:15], v[22:23], v[68:69], v[14:15]
	;; [unrolled: 6-line block ×9, first 2 shown]
	v_add_f64 v[0:1], v[0:1], v[12:13]
	v_add_f64 v[2:3], v[2:3], v[14:15]
	v_fma_f64 v[4:5], v[120:121], v[128:129], -v[4:5]
	v_fma_f64 v[6:7], v[122:123], v[128:129], v[6:7]
	s_delay_alu instid0(VALU_DEP_4) | instskip(NEXT) | instid1(VALU_DEP_4)
	v_add_f64 v[0:1], v[0:1], v[8:9]
	v_add_f64 v[2:3], v[2:3], v[10:11]
	s_delay_alu instid0(VALU_DEP_2) | instskip(NEXT) | instid1(VALU_DEP_2)
	v_add_f64 v[0:1], v[0:1], v[4:5]
	v_add_f64 v[2:3], v[2:3], v[6:7]
	v_add_co_u32 v4, s3, v148, s11
	s_delay_alu instid0(VALU_DEP_1)
	v_add_co_ci_u32_e64 v5, s3, s10, v149, s3
	s_cbranch_scc1 .LBB56_137
.LBB56_133:                             ; =>This Inner Loop Header: Depth=1
	s_and_saveexec_b32 s13, s1
	s_cbranch_execz .LBB56_135
; %bb.134:                              ;   in Loop: Header=BB56_133 Depth=1
	s_mul_i32 s3, s12, s9
	s_mul_hi_u32 s15, s12, s8
	s_mul_i32 s16, s12, s8
	s_add_i32 s17, s15, s3
	s_delay_alu instid0(SALU_CYCLE_1) | instskip(NEXT) | instid1(SALU_CYCLE_1)
	s_lshl_b64 s[16:17], s[16:17], 4
	v_add_co_u32 v6, s3, v154, s16
	s_delay_alu instid0(VALU_DEP_1)
	v_add_co_ci_u32_e64 v7, s3, s17, v155, s3
	flat_load_b128 v[6:9], v[6:7]
	s_waitcnt vmcnt(0) lgkmcnt(0)
	ds_store_2addr_b64 v152, v[6:7], v[8:9] offset1:1
.LBB56_135:                             ;   in Loop: Header=BB56_133 Depth=1
	s_or_b32 exec_lo, exec_lo, s13
	v_add_co_u32 v6, s3, v4, s4
	s_delay_alu instid0(VALU_DEP_1) | instskip(SKIP_1) | instid1(VALU_DEP_2)
	v_add_co_ci_u32_e64 v7, s3, s5, v5, s3
	s_waitcnt lgkmcnt(0)
	v_add_co_u32 v12, s3, v6, s4
	s_delay_alu instid0(VALU_DEP_1) | instskip(SKIP_1) | instid1(VALU_DEP_2)
	v_add_co_ci_u32_e64 v13, s3, s5, v7, s3
	s_barrier
	v_add_co_u32 v40, s3, v12, s4
	buffer_gl0_inv
	flat_load_b128 v[8:11], v[4:5]
	v_add_co_ci_u32_e64 v41, s3, s5, v13, s3
	s_clause 0x2
	flat_load_b128 v[16:19], v[6:7]
	flat_load_b128 v[12:15], v[12:13]
	;; [unrolled: 1-line block ×3, first 2 shown]
	ds_load_b128 v[20:23], v153
	ds_load_b128 v[36:39], v159
	v_add_co_u32 v52, s3, v40, s11
	s_delay_alu instid0(VALU_DEP_1) | instskip(NEXT) | instid1(VALU_DEP_2)
	v_add_co_ci_u32_e64 v53, s3, s10, v41, s3
	v_add_co_u32 v54, s3, v52, s4
	s_delay_alu instid0(VALU_DEP_1) | instskip(NEXT) | instid1(VALU_DEP_2)
	v_add_co_ci_u32_e64 v55, s3, s5, v53, s3
	;; [unrolled: 3-line block ×11, first 2 shown]
	v_add_co_u32 v148, s3, v136, s4
	s_delay_alu instid0(VALU_DEP_1)
	v_add_co_ci_u32_e64 v149, s3, s5, v137, s3
	s_waitcnt vmcnt(3) lgkmcnt(1)
	v_mul_f64 v[24:25], v[10:11], v[22:23]
	v_mul_f64 v[26:27], v[10:11], v[20:21]
	s_waitcnt vmcnt(2)
	v_mul_f64 v[28:29], v[18:19], v[22:23]
	v_mul_f64 v[30:31], v[18:19], v[20:21]
	s_waitcnt vmcnt(1)
	;; [unrolled: 3-line block ×3, first 2 shown]
	v_mul_f64 v[42:43], v[6:7], v[22:23]
	v_mul_f64 v[44:45], v[6:7], v[20:21]
	v_fma_f64 v[24:25], v[8:9], v[20:21], v[24:25]
	v_fma_f64 v[26:27], v[8:9], v[22:23], -v[26:27]
	v_fma_f64 v[28:29], v[16:17], v[20:21], v[28:29]
	v_fma_f64 v[30:31], v[16:17], v[22:23], -v[30:31]
	;; [unrolled: 2-line block ×4, first 2 shown]
	ds_store_b128 v160, v[24:27]
	ds_load_b128 v[48:51], v159 offset:16
	ds_store_b128 v160, v[28:31] offset:1072
	ds_load_b128 v[44:47], v159 offset:32
	ds_store_b128 v160, v[32:35] offset:2144
	;; [unrolled: 2-line block ×3, first 2 shown]
	s_waitcnt lgkmcnt(0)
	s_barrier
	buffer_gl0_inv
	ds_load_b128 v[128:131], v158
	ds_load_b128 v[140:143], v158 offset:16
	ds_load_b128 v[116:119], v158 offset:32
	;; [unrolled: 1-line block ×3, first 2 shown]
	s_waitcnt lgkmcnt(0)
	s_barrier
	buffer_gl0_inv
	s_clause 0x2
	flat_load_b128 v[32:35], v[52:53]
	flat_load_b128 v[28:31], v[54:55]
	;; [unrolled: 1-line block ×4, first 2 shown]
	ds_load_b128 v[52:55], v153
	ds_load_b128 v[72:75], v159 offset:256
	v_add_f64 v[207:208], v[128:129], 0
	v_add_f64 v[209:210], v[130:131], 0
	s_waitcnt vmcnt(2) lgkmcnt(1)
	v_mul_f64 v[60:61], v[30:31], v[54:55]
	v_mul_f64 v[56:57], v[34:35], v[54:55]
	;; [unrolled: 1-line block ×4, first 2 shown]
	s_waitcnt vmcnt(1)
	v_mul_f64 v[64:65], v[26:27], v[54:55]
	v_mul_f64 v[66:67], v[26:27], v[52:53]
	s_waitcnt vmcnt(0)
	v_mul_f64 v[70:71], v[22:23], v[54:55]
	v_mul_f64 v[76:77], v[22:23], v[52:53]
	v_fma_f64 v[60:61], v[28:29], v[52:53], v[60:61]
	v_fma_f64 v[56:57], v[32:33], v[52:53], v[56:57]
	v_fma_f64 v[58:59], v[32:33], v[54:55], -v[58:59]
	v_fma_f64 v[62:63], v[28:29], v[54:55], -v[62:63]
	v_fma_f64 v[64:65], v[24:25], v[52:53], v[64:65]
	v_fma_f64 v[66:67], v[24:25], v[54:55], -v[66:67]
	v_fma_f64 v[52:53], v[20:21], v[52:53], v[70:71]
	v_fma_f64 v[54:55], v[20:21], v[54:55], -v[76:77]
	ds_store_b128 v160, v[56:59]
	ds_load_b128 v[80:83], v159 offset:272
	ds_store_b128 v160, v[60:63] offset:1072
	ds_load_b128 v[76:79], v159 offset:288
	ds_store_b128 v160, v[64:67] offset:2144
	;; [unrolled: 2-line block ×3, first 2 shown]
	s_waitcnt lgkmcnt(0)
	s_barrier
	buffer_gl0_inv
	ds_load_b128 v[163:166], v158
	ds_load_b128 v[167:170], v158 offset:16
	ds_load_b128 v[171:174], v158 offset:32
	;; [unrolled: 1-line block ×3, first 2 shown]
	s_waitcnt lgkmcnt(0)
	s_barrier
	buffer_gl0_inv
	flat_load_b128 v[64:67], v[84:85]
	flat_load_b128 v[60:63], v[86:87]
	;; [unrolled: 1-line block ×4, first 2 shown]
	ds_load_b128 v[84:87], v153
	ds_load_b128 v[100:103], v159 offset:512
	v_add_f64 v[163:164], v[163:164], 0
	v_add_f64 v[165:166], v[165:166], 0
	s_delay_alu instid0(VALU_DEP_2) | instskip(NEXT) | instid1(VALU_DEP_2)
	v_add_f64 v[163:164], v[163:164], v[167:168]
	v_add_f64 v[165:166], v[165:166], v[169:170]
	s_delay_alu instid0(VALU_DEP_2) | instskip(NEXT) | instid1(VALU_DEP_2)
	v_add_f64 v[163:164], v[163:164], v[171:172]
	v_add_f64 v[165:166], v[165:166], v[173:174]
	s_waitcnt vmcnt(2) lgkmcnt(1)
	v_mul_f64 v[92:93], v[62:63], v[86:87]
	v_mul_f64 v[88:89], v[66:67], v[86:87]
	;; [unrolled: 1-line block ×4, first 2 shown]
	s_waitcnt vmcnt(1)
	v_mul_f64 v[96:97], v[58:59], v[86:87]
	v_mul_f64 v[98:99], v[58:59], v[84:85]
	s_waitcnt vmcnt(0)
	v_mul_f64 v[106:107], v[54:55], v[86:87]
	v_mul_f64 v[112:113], v[54:55], v[84:85]
	v_fma_f64 v[92:93], v[60:61], v[84:85], v[92:93]
	v_fma_f64 v[88:89], v[64:65], v[84:85], v[88:89]
	v_fma_f64 v[90:91], v[64:65], v[86:87], -v[90:91]
	v_fma_f64 v[94:95], v[60:61], v[86:87], -v[94:95]
	v_fma_f64 v[96:97], v[56:57], v[84:85], v[96:97]
	v_fma_f64 v[98:99], v[56:57], v[86:87], -v[98:99]
	v_fma_f64 v[84:85], v[52:53], v[84:85], v[106:107]
	v_fma_f64 v[86:87], v[52:53], v[86:87], -v[112:113]
	ds_store_b128 v160, v[88:91]
	ds_load_b128 v[112:115], v159 offset:528
	ds_store_b128 v160, v[92:95] offset:1072
	ds_load_b128 v[104:107], v159 offset:544
	ds_store_b128 v160, v[96:99] offset:2144
	;; [unrolled: 2-line block ×3, first 2 shown]
	s_waitcnt lgkmcnt(0)
	s_barrier
	buffer_gl0_inv
	ds_load_b128 v[179:182], v158
	ds_load_b128 v[183:186], v158 offset:16
	ds_load_b128 v[187:190], v158 offset:32
	;; [unrolled: 1-line block ×3, first 2 shown]
	s_waitcnt lgkmcnt(0)
	s_barrier
	buffer_gl0_inv
	flat_load_b128 v[88:91], v[120:121]
	flat_load_b128 v[84:87], v[122:123]
	;; [unrolled: 1-line block ×3, first 2 shown]
	ds_load_b128 v[132:135], v153
	ds_load_b128 v[124:127], v159 offset:768
	v_add_f64 v[179:180], v[179:180], 0
	v_add_f64 v[181:182], v[181:182], 0
	s_delay_alu instid0(VALU_DEP_2) | instskip(NEXT) | instid1(VALU_DEP_2)
	v_add_f64 v[167:168], v[179:180], v[183:184]
	v_add_f64 v[169:170], v[181:182], v[185:186]
	s_delay_alu instid0(VALU_DEP_2) | instskip(NEXT) | instid1(VALU_DEP_2)
	v_add_f64 v[167:168], v[167:168], v[187:188]
	v_add_f64 v[169:170], v[169:170], v[189:190]
	s_waitcnt vmcnt(2) lgkmcnt(1)
	v_mul_f64 v[120:121], v[90:91], v[134:135]
	v_mul_f64 v[122:123], v[90:91], v[132:133]
	s_waitcnt vmcnt(1)
	v_mul_f64 v[195:196], v[86:87], v[134:135]
	v_mul_f64 v[197:198], v[86:87], v[132:133]
	s_waitcnt vmcnt(0)
	v_mul_f64 v[199:200], v[94:95], v[134:135]
	v_mul_f64 v[201:202], v[94:95], v[132:133]
	v_fma_f64 v[136:137], v[88:89], v[132:133], v[120:121]
	v_fma_f64 v[138:139], v[88:89], v[134:135], -v[122:123]
	flat_load_b128 v[120:123], v[148:149]
	v_fma_f64 v[195:196], v[84:85], v[132:133], v[195:196]
	v_fma_f64 v[197:198], v[84:85], v[134:135], -v[197:198]
	v_fma_f64 v[199:200], v[92:93], v[132:133], v[199:200]
	v_fma_f64 v[201:202], v[92:93], v[134:135], -v[201:202]
	ds_store_b128 v160, v[136:139]
	ds_load_b128 v[136:139], v159 offset:784
	ds_store_b128 v160, v[195:198] offset:1072
	s_waitcnt vmcnt(0) lgkmcnt(3)
	v_mul_f64 v[203:204], v[122:123], v[134:135]
	v_mul_f64 v[205:206], v[122:123], v[132:133]
	s_delay_alu instid0(VALU_DEP_2) | instskip(NEXT) | instid1(VALU_DEP_2)
	v_fma_f64 v[203:204], v[120:121], v[132:133], v[203:204]
	v_fma_f64 v[205:206], v[120:121], v[134:135], -v[205:206]
	ds_load_b128 v[132:135], v159 offset:800
	ds_store_b128 v160, v[199:202] offset:2144
	ds_load_b128 v[128:131], v159 offset:816
	v_add_f64 v[199:200], v[207:208], v[140:141]
	v_add_f64 v[201:202], v[209:210], v[142:143]
	ds_store_b128 v160, v[203:206] offset:3216
	s_waitcnt lgkmcnt(0)
	s_barrier
	buffer_gl0_inv
	ds_load_b128 v[195:198], v158
	ds_load_b128 v[140:143], v158 offset:16
	v_add_f64 v[183:184], v[199:200], v[116:117]
	v_add_f64 v[185:186], v[201:202], v[118:119]
	ds_load_b128 v[116:119], v158 offset:48
	s_waitcnt lgkmcnt(2)
	v_add_f64 v[195:196], v[195:196], 0
	v_add_f64 v[197:198], v[197:198], 0
	;; [unrolled: 1-line block ×4, first 2 shown]
	s_waitcnt lgkmcnt(1)
	s_delay_alu instid0(VALU_DEP_4) | instskip(NEXT) | instid1(VALU_DEP_4)
	v_add_f64 v[179:180], v[195:196], v[140:141]
	v_add_f64 v[181:182], v[197:198], v[142:143]
	ds_load_b128 v[140:143], v158 offset:32
	s_waitcnt lgkmcnt(0)
	s_barrier
	buffer_gl0_inv
	v_add_f64 v[171:172], v[179:180], v[140:141]
	v_add_f64 v[173:174], v[181:182], v[142:143]
	;; [unrolled: 1-line block ×8, first 2 shown]
	ds_store_b128 v161, v[108:111]
	ds_store_b128 v161, v[140:143] offset:256
	ds_store_b128 v161, v[163:166] offset:512
	ds_store_b128 v161, v[116:119] offset:768
	s_waitcnt lgkmcnt(0)
	s_barrier
	buffer_gl0_inv
	s_and_saveexec_b32 s13, s2
	s_cbranch_execz .LBB56_132
; %bb.136:                              ;   in Loop: Header=BB56_133 Depth=1
	ds_load_b128 v[108:111], v156
	ds_load_b128 v[116:119], v156 offset:16
	v_add_nc_u32_e32 v146, s12, v162
	s_waitcnt lgkmcnt(0)
	v_add_f64 v[140:141], v[116:117], v[108:109]
	v_add_f64 v[142:143], v[118:119], v[110:111]
	ds_load_b128 v[108:111], v156 offset:32
	ds_load_b128 v[116:119], v156 offset:48
	s_waitcnt lgkmcnt(1)
	v_add_f64 v[108:109], v[140:141], v[108:109]
	v_add_f64 v[110:111], v[142:143], v[110:111]
	s_waitcnt lgkmcnt(0)
	s_delay_alu instid0(VALU_DEP_2) | instskip(NEXT) | instid1(VALU_DEP_2)
	v_add_f64 v[140:141], v[108:109], v[116:117]
	v_add_f64 v[142:143], v[110:111], v[118:119]
	ds_load_b128 v[108:111], v156 offset:64
	ds_load_b128 v[116:119], v156 offset:80
	s_waitcnt lgkmcnt(1)
	v_add_f64 v[108:109], v[140:141], v[108:109]
	v_add_f64 v[110:111], v[142:143], v[110:111]
	s_waitcnt lgkmcnt(0)
	s_delay_alu instid0(VALU_DEP_2) | instskip(NEXT) | instid1(VALU_DEP_2)
	v_add_f64 v[140:141], v[108:109], v[116:117]
	v_add_f64 v[142:143], v[110:111], v[118:119]
	ds_load_b128 v[108:111], v156 offset:96
	ds_load_b128 v[116:119], v156 offset:112
	s_waitcnt lgkmcnt(1)
	v_add_f64 v[108:109], v[140:141], v[108:109]
	v_add_f64 v[110:111], v[142:143], v[110:111]
	s_waitcnt lgkmcnt(0)
	s_delay_alu instid0(VALU_DEP_2) | instskip(NEXT) | instid1(VALU_DEP_2)
	v_add_f64 v[140:141], v[108:109], v[116:117]
	v_add_f64 v[142:143], v[110:111], v[118:119]
	ds_load_b128 v[108:111], v156 offset:128
	ds_load_b128 v[116:119], v156 offset:144
	s_waitcnt lgkmcnt(1)
	v_add_f64 v[108:109], v[140:141], v[108:109]
	v_add_f64 v[110:111], v[142:143], v[110:111]
	s_waitcnt lgkmcnt(0)
	s_delay_alu instid0(VALU_DEP_2) | instskip(NEXT) | instid1(VALU_DEP_2)
	v_add_f64 v[140:141], v[108:109], v[116:117]
	v_add_f64 v[142:143], v[110:111], v[118:119]
	ds_load_b128 v[108:111], v156 offset:160
	ds_load_b128 v[116:119], v156 offset:176
	s_waitcnt lgkmcnt(1)
	v_add_f64 v[108:109], v[140:141], v[108:109]
	v_add_f64 v[110:111], v[142:143], v[110:111]
	s_waitcnt lgkmcnt(0)
	s_delay_alu instid0(VALU_DEP_2) | instskip(NEXT) | instid1(VALU_DEP_2)
	v_add_f64 v[140:141], v[108:109], v[116:117]
	v_add_f64 v[142:143], v[110:111], v[118:119]
	ds_load_b128 v[108:111], v156 offset:192
	ds_load_b128 v[116:119], v156 offset:208
	s_waitcnt lgkmcnt(1)
	v_add_f64 v[108:109], v[140:141], v[108:109]
	v_add_f64 v[110:111], v[142:143], v[110:111]
	s_waitcnt lgkmcnt(0)
	s_delay_alu instid0(VALU_DEP_2) | instskip(NEXT) | instid1(VALU_DEP_2)
	v_add_f64 v[140:141], v[108:109], v[116:117]
	v_add_f64 v[142:143], v[110:111], v[118:119]
	ds_load_b128 v[108:111], v156 offset:224
	ds_load_b128 v[116:119], v157
	s_waitcnt lgkmcnt(1)
	v_add_f64 v[108:109], v[140:141], v[108:109]
	v_add_f64 v[110:111], v[142:143], v[110:111]
	s_waitcnt lgkmcnt(0)
	s_delay_alu instid0(VALU_DEP_2) | instskip(NEXT) | instid1(VALU_DEP_2)
	v_add_f64 v[108:109], v[108:109], v[116:117]
	v_add_f64 v[110:111], v[110:111], v[118:119]
	v_lshlrev_b64 v[116:117], 4, v[146:147]
	s_delay_alu instid0(VALU_DEP_1) | instskip(NEXT) | instid1(VALU_DEP_1)
	v_add_co_u32 v116, s3, s6, v116
	v_add_co_ci_u32_e64 v117, s3, s7, v117, s3
	global_store_b128 v[116:117], v[108:111], off
	s_branch .LBB56_132
.LBB56_137:
	v_mad_u32_u24 v4, 0x430, v150, v151
	s_or_b32 s0, s0, vcc_lo
	s_delay_alu instid0(SALU_CYCLE_1)
	s_xor_b32 s0, s0, -1
	ds_store_b128 v4, v[0:3]
	s_waitcnt lgkmcnt(0)
	s_barrier
	buffer_gl0_inv
	s_and_saveexec_b32 s1, s0
	s_cbranch_execz .LBB56_139
; %bb.138:
	ds_load_b128 v[0:3], v151 offset:1072
	ds_load_b128 v[4:7], v151
	s_waitcnt lgkmcnt(0)
	v_add_f64 v[8:9], v[0:1], v[4:5]
	v_add_f64 v[10:11], v[2:3], v[6:7]
	ds_load_b128 v[0:3], v151 offset:2144
	ds_load_b128 v[4:7], v151 offset:3216
	s_waitcnt lgkmcnt(1)
	v_add_f64 v[0:1], v[8:9], v[0:1]
	v_add_f64 v[2:3], v[10:11], v[2:3]
	s_waitcnt lgkmcnt(0)
	s_delay_alu instid0(VALU_DEP_2) | instskip(NEXT) | instid1(VALU_DEP_2)
	v_add_f64 v[0:1], v[0:1], v[4:5]
	v_add_f64 v[2:3], v[2:3], v[6:7]
	v_lshlrev_b64 v[4:5], 4, v[144:145]
	s_delay_alu instid0(VALU_DEP_1) | instskip(NEXT) | instid1(VALU_DEP_2)
	v_add_co_u32 v4, vcc_lo, s6, v4
	v_add_co_ci_u32_e32 v5, vcc_lo, s7, v5, vcc_lo
	global_store_b128 v[4:5], v[0:3], off
.LBB56_139:
	s_nop 0
	s_sendmsg sendmsg(MSG_DEALLOC_VGPRS)
	s_endpgm
	.section	.rodata,"a",@progbits
	.p2align	6, 0x0
	.amdhsa_kernel _ZL26rocblas_hemvn_kernel_lowerILb1ELi64ELi4ELi33ELi32ELi16ElPK19rocblas_complex_numIdEPKS3_PS1_EviT6_lT7_lT5_lS8_lS9_lS7_lT8_i
		.amdhsa_group_segment_fixed_size 19200
		.amdhsa_private_segment_fixed_size 0
		.amdhsa_kernarg_size 376
		.amdhsa_user_sgpr_count 14
		.amdhsa_user_sgpr_dispatch_ptr 0
		.amdhsa_user_sgpr_queue_ptr 0
		.amdhsa_user_sgpr_kernarg_segment_ptr 1
		.amdhsa_user_sgpr_dispatch_id 0
		.amdhsa_user_sgpr_private_segment_size 0
		.amdhsa_wavefront_size32 1
		.amdhsa_uses_dynamic_stack 0
		.amdhsa_enable_private_segment 0
		.amdhsa_system_sgpr_workgroup_id_x 1
		.amdhsa_system_sgpr_workgroup_id_y 0
		.amdhsa_system_sgpr_workgroup_id_z 1
		.amdhsa_system_sgpr_workgroup_info 0
		.amdhsa_system_vgpr_workitem_id 1
		.amdhsa_next_free_vgpr 211
		.amdhsa_next_free_sgpr 32
		.amdhsa_reserve_vcc 1
		.amdhsa_float_round_mode_32 0
		.amdhsa_float_round_mode_16_64 0
		.amdhsa_float_denorm_mode_32 3
		.amdhsa_float_denorm_mode_16_64 3
		.amdhsa_dx10_clamp 1
		.amdhsa_ieee_mode 1
		.amdhsa_fp16_overflow 0
		.amdhsa_workgroup_processor_mode 1
		.amdhsa_memory_ordered 1
		.amdhsa_forward_progress 0
		.amdhsa_shared_vgpr_count 0
		.amdhsa_exception_fp_ieee_invalid_op 0
		.amdhsa_exception_fp_denorm_src 0
		.amdhsa_exception_fp_ieee_div_zero 0
		.amdhsa_exception_fp_ieee_overflow 0
		.amdhsa_exception_fp_ieee_underflow 0
		.amdhsa_exception_fp_ieee_inexact 0
		.amdhsa_exception_int_div_zero 0
	.end_amdhsa_kernel
	.section	.text._ZL26rocblas_hemvn_kernel_lowerILb1ELi64ELi4ELi33ELi32ELi16ElPK19rocblas_complex_numIdEPKS3_PS1_EviT6_lT7_lT5_lS8_lS9_lS7_lT8_i,"axG",@progbits,_ZL26rocblas_hemvn_kernel_lowerILb1ELi64ELi4ELi33ELi32ELi16ElPK19rocblas_complex_numIdEPKS3_PS1_EviT6_lT7_lT5_lS8_lS9_lS7_lT8_i,comdat
.Lfunc_end56:
	.size	_ZL26rocblas_hemvn_kernel_lowerILb1ELi64ELi4ELi33ELi32ELi16ElPK19rocblas_complex_numIdEPKS3_PS1_EviT6_lT7_lT5_lS8_lS9_lS7_lT8_i, .Lfunc_end56-_ZL26rocblas_hemvn_kernel_lowerILb1ELi64ELi4ELi33ELi32ELi16ElPK19rocblas_complex_numIdEPKS3_PS1_EviT6_lT7_lT5_lS8_lS9_lS7_lT8_i
                                        ; -- End function
	.section	.AMDGPU.csdata,"",@progbits
; Kernel info:
; codeLenInByte = 11080
; NumSgprs: 34
; NumVgprs: 211
; ScratchSize: 0
; MemoryBound: 0
; FloatMode: 240
; IeeeMode: 1
; LDSByteSize: 19200 bytes/workgroup (compile time only)
; SGPRBlocks: 4
; VGPRBlocks: 26
; NumSGPRsForWavesPerEU: 34
; NumVGPRsForWavesPerEU: 211
; Occupancy: 7
; WaveLimiterHint : 1
; COMPUTE_PGM_RSRC2:SCRATCH_EN: 0
; COMPUTE_PGM_RSRC2:USER_SGPR: 14
; COMPUTE_PGM_RSRC2:TRAP_HANDLER: 0
; COMPUTE_PGM_RSRC2:TGID_X_EN: 1
; COMPUTE_PGM_RSRC2:TGID_Y_EN: 0
; COMPUTE_PGM_RSRC2:TGID_Z_EN: 1
; COMPUTE_PGM_RSRC2:TIDIG_COMP_CNT: 1
	.section	.text._ZL36rocblas_hemvn_kernel_lower_block_sumILi64ElPK19rocblas_complex_numIdEPKPS1_S1_EviT1_lS7_lT2_lT0_lPT3_i,"axG",@progbits,_ZL36rocblas_hemvn_kernel_lower_block_sumILi64ElPK19rocblas_complex_numIdEPKPS1_S1_EviT1_lS7_lT2_lT0_lPT3_i,comdat
	.globl	_ZL36rocblas_hemvn_kernel_lower_block_sumILi64ElPK19rocblas_complex_numIdEPKPS1_S1_EviT1_lS7_lT2_lT0_lPT3_i ; -- Begin function _ZL36rocblas_hemvn_kernel_lower_block_sumILi64ElPK19rocblas_complex_numIdEPKPS1_S1_EviT1_lS7_lT2_lT0_lPT3_i
	.p2align	8
	.type	_ZL36rocblas_hemvn_kernel_lower_block_sumILi64ElPK19rocblas_complex_numIdEPKPS1_S1_EviT1_lS7_lT2_lT0_lPT3_i,@function
_ZL36rocblas_hemvn_kernel_lower_block_sumILi64ElPK19rocblas_complex_numIdEPKPS1_S1_EviT1_lS7_lT2_lT0_lPT3_i: ; @_ZL36rocblas_hemvn_kernel_lower_block_sumILi64ElPK19rocblas_complex_numIdEPKPS1_S1_EviT1_lS7_lT2_lT0_lPT3_i
; %bb.0:
	s_load_b256 s[4:11], s[0:1], 0x8
	s_mov_b32 s12, s15
	s_waitcnt lgkmcnt(0)
	s_mul_i32 s3, s15, s7
	s_mul_hi_u32 s7, s15, s6
	s_mul_i32 s2, s15, s6
	s_add_i32 s3, s7, s3
	s_delay_alu instid0(SALU_CYCLE_1) | instskip(NEXT) | instid1(SALU_CYCLE_1)
	s_lshl_b64 s[2:3], s[2:3], 4
	s_add_u32 s2, s4, s2
	s_addc_u32 s3, s5, s3
	s_load_b128 s[16:19], s[2:3], 0x0
	s_mul_i32 s2, s12, s11
	s_mul_hi_u32 s3, s12, s10
	s_delay_alu instid0(SALU_CYCLE_1) | instskip(SKIP_1) | instid1(SALU_CYCLE_1)
	s_add_i32 s3, s3, s2
	s_mul_i32 s2, s12, s10
	s_lshl_b64 s[2:3], s[2:3], 4
	s_delay_alu instid0(SALU_CYCLE_1)
	s_add_u32 s2, s8, s2
	s_addc_u32 s3, s9, s3
	s_load_b128 s[4:7], s[2:3], 0x0
	s_mov_b32 s3, -1
	s_waitcnt lgkmcnt(0)
	v_cmp_neq_f64_e64 s13, s[16:17], 0
	v_cmp_neq_f64_e64 s15, s[18:19], 0
	s_delay_alu instid0(VALU_DEP_1) | instskip(NEXT) | instid1(SALU_CYCLE_1)
	s_or_b32 s2, s13, s15
	s_and_b32 vcc_lo, exec_lo, s2
	s_cbranch_vccnz .LBB57_2
; %bb.1:
	v_cmp_neq_f64_e64 s3, s[4:5], 1.0
	v_cmp_neq_f64_e64 s8, s[6:7], 0
	s_delay_alu instid0(VALU_DEP_1)
	s_or_b32 s3, s3, s8
.LBB57_2:
	s_delay_alu instid0(SALU_CYCLE_1)
	s_and_not1_b32 vcc_lo, exec_lo, s3
	s_cbranch_vccnz .LBB57_22
; %bb.3:
	s_load_b64 s[22:23], s[0:1], 0x28
	s_mov_b32 s13, 0
	s_xor_b32 s15, s2, -1
	s_lshl_b64 s[24:25], s[12:13], 3
	s_clause 0x1
	s_load_b32 s20, s[0:1], 0x0
	s_load_b128 s[8:11], s[0:1], 0x30
	v_lshl_or_b32 v4, s14, 6, v0
	s_waitcnt lgkmcnt(0)
	s_add_u32 s2, s22, s24
	s_addc_u32 s3, s23, s25
	s_load_b64 s[22:23], s[2:3], 0x0
	s_lshl_b64 s[8:9], s[8:9], 4
	v_cmp_gt_i32_e64 s2, s20, v4
	s_waitcnt lgkmcnt(0)
	s_add_u32 s3, s22, s8
	s_addc_u32 s8, s23, s9
	s_and_not1_b32 vcc_lo, exec_lo, s15
	s_cbranch_vccnz .LBB57_8
; %bb.4:
	s_mov_b32 s9, 0
                                        ; implicit-def: $vgpr2_vgpr3
                                        ; implicit-def: $vgpr5_vgpr6
	s_and_saveexec_b32 s15, s2
	s_cbranch_execz .LBB57_9
; %bb.5:
	v_cmp_neq_f64_e64 s2, s[4:5], 0
	v_cmp_neq_f64_e64 s13, s[6:7], 0
	v_ashrrev_i32_e32 v0, 31, v4
	v_mul_lo_u32 v1, v4, s11
	v_mad_u64_u32 v[5:6], null, v4, s10, 0
	v_mov_b32_e32 v2, 0
	s_delay_alu instid0(VALU_DEP_4) | instskip(SKIP_1) | instid1(VALU_DEP_2)
	v_mul_lo_u32 v0, v0, s10
	v_mov_b32_e32 v3, 0
	v_add3_u32 v6, v6, v1, v0
	s_delay_alu instid0(VALU_DEP_2) | instskip(SKIP_1) | instid1(SALU_CYCLE_1)
	v_dual_mov_b32 v0, v2 :: v_dual_mov_b32 v1, v3
	s_or_b32 s2, s2, s13
	s_and_not1_b32 vcc_lo, exec_lo, s2
	s_cbranch_vccnz .LBB57_7
; %bb.6:
	v_lshlrev_b64 v[0:1], 4, v[5:6]
	s_delay_alu instid0(VALU_DEP_1) | instskip(NEXT) | instid1(VALU_DEP_2)
	v_add_co_u32 v0, vcc_lo, s3, v0
	v_add_co_ci_u32_e32 v1, vcc_lo, s8, v1, vcc_lo
	global_load_b128 v[7:10], v[0:1], off
	s_waitcnt vmcnt(0)
	v_mul_f64 v[0:1], s[6:7], v[9:10]
	v_mul_f64 v[2:3], s[4:5], v[9:10]
	s_delay_alu instid0(VALU_DEP_2) | instskip(NEXT) | instid1(VALU_DEP_2)
	v_fma_f64 v[0:1], s[4:5], v[7:8], -v[0:1]
	v_fma_f64 v[2:3], s[6:7], v[7:8], v[2:3]
.LBB57_7:
	s_mov_b32 s13, exec_lo
	s_or_b32 exec_lo, exec_lo, s15
	s_delay_alu instid0(SALU_CYCLE_1)
	s_and_b32 vcc_lo, exec_lo, s9
	s_cbranch_vccnz .LBB57_10
	s_branch .LBB57_20
.LBB57_8:
                                        ; implicit-def: $vgpr2_vgpr3
                                        ; implicit-def: $vgpr5_vgpr6
	s_cbranch_execnz .LBB57_10
	s_branch .LBB57_20
.LBB57_9:
	s_or_b32 exec_lo, exec_lo, s15
	s_delay_alu instid0(SALU_CYCLE_1)
	s_and_b32 vcc_lo, exec_lo, s9
	s_cbranch_vccz .LBB57_20
.LBB57_10:
	s_mov_b32 s2, exec_lo
                                        ; implicit-def: $vgpr2_vgpr3
                                        ; implicit-def: $vgpr5_vgpr6
	v_cmpx_gt_i32_e64 s20, v4
	s_cbranch_execz .LBB57_19
; %bb.11:
	s_load_b32 s9, s[0:1], 0x58
	v_mov_b32_e32 v0, 0
	v_mov_b32_e32 v1, 0
	s_delay_alu instid0(VALU_DEP_1)
	v_dual_mov_b32 v3, v1 :: v_dual_mov_b32 v2, v0
	s_waitcnt lgkmcnt(0)
	s_cmp_ge_i32 s14, s9
	s_cbranch_scc1 .LBB57_14
; %bb.12:
	s_load_b64 s[0:1], s[0:1], 0x48
	v_mad_u64_u32 v[0:1], null, s14, s20, v[4:5]
	s_ashr_i32 s21, s20, 31
	s_mul_hi_u32 s15, s20, s12
	s_mul_i32 s22, s21, s12
	s_mul_i32 s12, s20, s12
	s_add_i32 s15, s15, s22
	s_mul_hi_u32 s23, s12, s9
	s_delay_alu instid0(VALU_DEP_1) | instskip(SKIP_3) | instid1(VALU_DEP_1)
	v_ashrrev_i32_e32 v1, 31, v0
	s_mul_i32 s15, s15, s9
	s_mul_i32 s22, s12, s9
	s_add_i32 s23, s23, s15
	v_lshlrev_b64 v[2:3], 4, v[0:1]
	s_lshl_b64 s[22:23], s[22:23], 4
	v_mov_b32_e32 v0, 0
	v_mov_b32_e32 v1, 0
	s_waitcnt lgkmcnt(0)
	s_add_u32 s0, s0, s22
	s_addc_u32 s1, s1, s23
	v_add_co_u32 v2, vcc_lo, s0, v2
	v_add_co_ci_u32_e32 v3, vcc_lo, s1, v3, vcc_lo
	s_lshl_b64 s[0:1], s[20:21], 4
	s_delay_alu instid0(VALU_DEP_2) | instskip(NEXT) | instid1(VALU_DEP_2)
	v_add_co_u32 v5, vcc_lo, v2, 8
	v_add_co_ci_u32_e32 v6, vcc_lo, 0, v3, vcc_lo
	v_dual_mov_b32 v3, v1 :: v_dual_mov_b32 v2, v0
.LBB57_13:                              ; =>This Inner Loop Header: Depth=1
	global_load_b128 v[7:10], v[5:6], off offset:-8
	v_add_co_u32 v5, vcc_lo, v5, s0
	v_add_co_ci_u32_e32 v6, vcc_lo, s1, v6, vcc_lo
	s_add_i32 s14, s14, 1
	s_delay_alu instid0(SALU_CYCLE_1)
	s_cmp_ge_i32 s14, s9
	s_waitcnt vmcnt(0)
	v_add_f64 v[2:3], v[2:3], v[7:8]
	v_add_f64 v[0:1], v[0:1], v[9:10]
	s_cbranch_scc0 .LBB57_13
.LBB57_14:
	s_delay_alu instid0(VALU_DEP_1) | instskip(SKIP_3) | instid1(VALU_DEP_4)
	v_mul_f64 v[5:6], s[18:19], v[0:1]
	v_mul_f64 v[7:8], s[16:17], v[0:1]
	v_cmp_neq_f64_e64 s0, s[4:5], 0
	v_cmp_neq_f64_e64 s1, s[6:7], 0
	v_fma_f64 v[0:1], s[16:17], v[2:3], -v[5:6]
	s_delay_alu instid0(VALU_DEP_4) | instskip(SKIP_3) | instid1(SALU_CYCLE_1)
	v_fma_f64 v[2:3], s[18:19], v[2:3], v[7:8]
	v_ashrrev_i32_e32 v5, 31, v4
	v_mul_lo_u32 v7, v4, s11
	s_or_b32 s0, s0, s1
	s_and_not1_b32 vcc_lo, exec_lo, s0
	s_delay_alu instid0(VALU_DEP_2)
	v_mul_lo_u32 v8, v5, s10
	s_cbranch_vccz .LBB57_16
; %bb.15:
	v_mad_u64_u32 v[5:6], null, v4, s10, 0
	s_delay_alu instid0(VALU_DEP_1)
	v_add3_u32 v6, v6, v7, v8
	s_cbranch_execz .LBB57_17
	s_branch .LBB57_18
.LBB57_16:
                                        ; implicit-def: $vgpr5_vgpr6
.LBB57_17:
	v_mad_u64_u32 v[5:6], null, v4, s10, 0
	s_delay_alu instid0(VALU_DEP_1) | instskip(NEXT) | instid1(VALU_DEP_1)
	v_add3_u32 v6, v6, v7, v8
	v_lshlrev_b64 v[7:8], 4, v[5:6]
	s_delay_alu instid0(VALU_DEP_1) | instskip(NEXT) | instid1(VALU_DEP_2)
	v_add_co_u32 v7, vcc_lo, s3, v7
	v_add_co_ci_u32_e32 v8, vcc_lo, s8, v8, vcc_lo
	global_load_b128 v[7:10], v[7:8], off
	s_waitcnt vmcnt(0)
	v_mul_f64 v[11:12], s[6:7], v[9:10]
	v_mul_f64 v[9:10], s[4:5], v[9:10]
	s_delay_alu instid0(VALU_DEP_2) | instskip(NEXT) | instid1(VALU_DEP_2)
	v_fma_f64 v[11:12], s[4:5], v[7:8], -v[11:12]
	v_fma_f64 v[7:8], s[6:7], v[7:8], v[9:10]
	s_delay_alu instid0(VALU_DEP_2) | instskip(NEXT) | instid1(VALU_DEP_2)
	v_add_f64 v[0:1], v[0:1], v[11:12]
	v_add_f64 v[2:3], v[2:3], v[7:8]
.LBB57_18:
	s_or_b32 s13, s13, exec_lo
.LBB57_19:
	s_or_b32 exec_lo, exec_lo, s2
.LBB57_20:
	s_and_saveexec_b32 s0, s13
	s_cbranch_execz .LBB57_22
; %bb.21:
	v_lshlrev_b64 v[4:5], 4, v[5:6]
	s_delay_alu instid0(VALU_DEP_1) | instskip(NEXT) | instid1(VALU_DEP_2)
	v_add_co_u32 v4, vcc_lo, s3, v4
	v_add_co_ci_u32_e32 v5, vcc_lo, s8, v5, vcc_lo
	global_store_b128 v[4:5], v[0:3], off
.LBB57_22:
	s_nop 0
	s_sendmsg sendmsg(MSG_DEALLOC_VGPRS)
	s_endpgm
	.section	.rodata,"a",@progbits
	.p2align	6, 0x0
	.amdhsa_kernel _ZL36rocblas_hemvn_kernel_lower_block_sumILi64ElPK19rocblas_complex_numIdEPKPS1_S1_EviT1_lS7_lT2_lT0_lPT3_i
		.amdhsa_group_segment_fixed_size 0
		.amdhsa_private_segment_fixed_size 0
		.amdhsa_kernarg_size 344
		.amdhsa_user_sgpr_count 14
		.amdhsa_user_sgpr_dispatch_ptr 0
		.amdhsa_user_sgpr_queue_ptr 0
		.amdhsa_user_sgpr_kernarg_segment_ptr 1
		.amdhsa_user_sgpr_dispatch_id 0
		.amdhsa_user_sgpr_private_segment_size 0
		.amdhsa_wavefront_size32 1
		.amdhsa_uses_dynamic_stack 0
		.amdhsa_enable_private_segment 0
		.amdhsa_system_sgpr_workgroup_id_x 1
		.amdhsa_system_sgpr_workgroup_id_y 0
		.amdhsa_system_sgpr_workgroup_id_z 1
		.amdhsa_system_sgpr_workgroup_info 0
		.amdhsa_system_vgpr_workitem_id 0
		.amdhsa_next_free_vgpr 13
		.amdhsa_next_free_sgpr 26
		.amdhsa_reserve_vcc 1
		.amdhsa_float_round_mode_32 0
		.amdhsa_float_round_mode_16_64 0
		.amdhsa_float_denorm_mode_32 3
		.amdhsa_float_denorm_mode_16_64 3
		.amdhsa_dx10_clamp 1
		.amdhsa_ieee_mode 1
		.amdhsa_fp16_overflow 0
		.amdhsa_workgroup_processor_mode 1
		.amdhsa_memory_ordered 1
		.amdhsa_forward_progress 0
		.amdhsa_shared_vgpr_count 0
		.amdhsa_exception_fp_ieee_invalid_op 0
		.amdhsa_exception_fp_denorm_src 0
		.amdhsa_exception_fp_ieee_div_zero 0
		.amdhsa_exception_fp_ieee_overflow 0
		.amdhsa_exception_fp_ieee_underflow 0
		.amdhsa_exception_fp_ieee_inexact 0
		.amdhsa_exception_int_div_zero 0
	.end_amdhsa_kernel
	.section	.text._ZL36rocblas_hemvn_kernel_lower_block_sumILi64ElPK19rocblas_complex_numIdEPKPS1_S1_EviT1_lS7_lT2_lT0_lPT3_i,"axG",@progbits,_ZL36rocblas_hemvn_kernel_lower_block_sumILi64ElPK19rocblas_complex_numIdEPKPS1_S1_EviT1_lS7_lT2_lT0_lPT3_i,comdat
.Lfunc_end57:
	.size	_ZL36rocblas_hemvn_kernel_lower_block_sumILi64ElPK19rocblas_complex_numIdEPKPS1_S1_EviT1_lS7_lT2_lT0_lPT3_i, .Lfunc_end57-_ZL36rocblas_hemvn_kernel_lower_block_sumILi64ElPK19rocblas_complex_numIdEPKPS1_S1_EviT1_lS7_lT2_lT0_lPT3_i
                                        ; -- End function
	.section	.AMDGPU.csdata,"",@progbits
; Kernel info:
; codeLenInByte = 1032
; NumSgprs: 28
; NumVgprs: 13
; ScratchSize: 0
; MemoryBound: 0
; FloatMode: 240
; IeeeMode: 1
; LDSByteSize: 0 bytes/workgroup (compile time only)
; SGPRBlocks: 3
; VGPRBlocks: 1
; NumSGPRsForWavesPerEU: 28
; NumVGPRsForWavesPerEU: 13
; Occupancy: 16
; WaveLimiterHint : 1
; COMPUTE_PGM_RSRC2:SCRATCH_EN: 0
; COMPUTE_PGM_RSRC2:USER_SGPR: 14
; COMPUTE_PGM_RSRC2:TRAP_HANDLER: 0
; COMPUTE_PGM_RSRC2:TGID_X_EN: 1
; COMPUTE_PGM_RSRC2:TGID_Y_EN: 0
; COMPUTE_PGM_RSRC2:TGID_Z_EN: 1
; COMPUTE_PGM_RSRC2:TIDIG_COMP_CNT: 0
	.section	.text._ZL26rocblas_hemvn_kernel_lowerILb1ELi64ELi4ELi33ELi32ELi16EiPK19rocblas_complex_numIdEPKS3_PS1_EviT6_lT7_lT5_lS8_lS9_lS7_lT8_i,"axG",@progbits,_ZL26rocblas_hemvn_kernel_lowerILb1ELi64ELi4ELi33ELi32ELi16EiPK19rocblas_complex_numIdEPKS3_PS1_EviT6_lT7_lT5_lS8_lS9_lS7_lT8_i,comdat
	.globl	_ZL26rocblas_hemvn_kernel_lowerILb1ELi64ELi4ELi33ELi32ELi16EiPK19rocblas_complex_numIdEPKS3_PS1_EviT6_lT7_lT5_lS8_lS9_lS7_lT8_i ; -- Begin function _ZL26rocblas_hemvn_kernel_lowerILb1ELi64ELi4ELi33ELi32ELi16EiPK19rocblas_complex_numIdEPKS3_PS1_EviT6_lT7_lT5_lS8_lS9_lS7_lT8_i
	.p2align	8
	.type	_ZL26rocblas_hemvn_kernel_lowerILb1ELi64ELi4ELi33ELi32ELi16EiPK19rocblas_complex_numIdEPKS3_PS1_EviT6_lT7_lT5_lS8_lS9_lS7_lT8_i,@function
_ZL26rocblas_hemvn_kernel_lowerILb1ELi64ELi4ELi33ELi32ELi16EiPK19rocblas_complex_numIdEPKS3_PS1_EviT6_lT7_lT5_lS8_lS9_lS7_lT8_i: ; @_ZL26rocblas_hemvn_kernel_lowerILb1ELi64ELi4ELi33ELi32ELi16EiPK19rocblas_complex_numIdEPKS3_PS1_EviT6_lT7_lT5_lS8_lS9_lS7_lT8_i
; %bb.0:
	s_load_b64 s[4:5], s[0:1], 0x84
	s_add_u32 s2, s0, 0x78
	s_addc_u32 s3, s1, 0
	s_waitcnt lgkmcnt(0)
	s_lshr_b32 s6, s4, 16
	s_and_b32 s4, s4, 0xffff
	s_and_b32 s5, s5, 0xffff
	s_mul_i32 s4, s6, s4
	s_delay_alu instid0(SALU_CYCLE_1) | instskip(NEXT) | instid1(SALU_CYCLE_1)
	s_mul_i32 s4, s4, s5
	s_cmpk_lg_i32 s4, 0x100
	s_cbranch_scc1 .LBB58_139
; %bb.1:
	s_load_b256 s[4:11], s[0:1], 0x8
	s_mov_b32 s12, s15
	s_mov_b64 s[20:21], 0
	s_waitcnt lgkmcnt(0)
	s_mul_i32 s7, s15, s7
	s_mul_hi_u32 s13, s15, s6
	s_mul_i32 s6, s15, s6
	s_add_i32 s7, s13, s7
	s_delay_alu instid0(SALU_CYCLE_1) | instskip(NEXT) | instid1(SALU_CYCLE_1)
	s_lshl_b64 s[6:7], s[6:7], 4
	s_add_u32 s4, s4, s6
	s_addc_u32 s5, s5, s7
	s_load_b128 s[4:7], s[4:5], 0x0
	s_waitcnt lgkmcnt(0)
	v_cmp_neq_f64_e64 s13, s[4:5], 0
	v_cmp_neq_f64_e64 s15, s[6:7], 0
	s_clause 0x1
	s_load_b64 s[16:17], s[0:1], 0x68
	s_load_b128 s[4:7], s[0:1], 0x58
	s_delay_alu instid0(VALU_DEP_1)
	s_or_b32 s15, s13, s15
	s_mov_b32 s13, 0
	s_and_b32 vcc_lo, exec_lo, s15
	s_cbranch_vccnz .LBB58_3
; %bb.2:
	s_waitcnt lgkmcnt(0)
	s_mul_i32 s7, s12, s7
	s_mul_hi_u32 s18, s12, s6
	s_mul_i32 s6, s12, s6
	s_add_i32 s7, s18, s7
	s_delay_alu instid0(SALU_CYCLE_1) | instskip(NEXT) | instid1(SALU_CYCLE_1)
	s_lshl_b64 s[6:7], s[6:7], 4
	s_add_u32 s4, s4, s6
	s_addc_u32 s5, s5, s7
	s_load_b128 s[4:7], s[4:5], 0x0
	s_waitcnt lgkmcnt(0)
	v_cmp_neq_f64_e64 s4, s[4:5], 1.0
	v_cmp_neq_f64_e64 s5, s[6:7], 0
	s_delay_alu instid0(VALU_DEP_1)
	s_or_b32 s4, s4, s5
	s_cbranch_execz .LBB58_4
	s_branch .LBB58_5
.LBB58_3:
	s_waitcnt lgkmcnt(0)
	s_mov_b32 s4, s13
                                        ; implicit-def: $sgpr20_sgpr21
.LBB58_4:
	s_lshl_b64 s[4:5], s[12:13], 3
	s_delay_alu instid0(SALU_CYCLE_1)
	s_add_u32 s4, s8, s4
	s_addc_u32 s5, s9, s5
	s_lshl_b64 s[6:7], s[10:11], 4
	s_load_b64 s[4:5], s[4:5], 0x0
	s_waitcnt lgkmcnt(0)
	s_add_u32 s20, s4, s6
	s_addc_u32 s21, s5, s7
	s_mov_b32 s4, -1
.LBB58_5:
	s_delay_alu instid0(SALU_CYCLE_1)
	s_and_not1_b32 vcc_lo, exec_lo, s4
	s_cbranch_vccnz .LBB58_139
; %bb.6:
	v_cndmask_b32_e64 v1, 0, 1, s15
	s_and_not1_b32 vcc_lo, exec_lo, s15
	s_mov_b64 s[4:5], 0
	s_cbranch_vccnz .LBB58_8
; %bb.7:
	s_load_b128 s[4:7], s[0:1], 0x38
	s_lshl_b64 s[8:9], s[12:13], 3
	s_waitcnt lgkmcnt(0)
	s_add_u32 s4, s4, s8
	s_addc_u32 s5, s5, s9
	s_lshl_b64 s[6:7], s[6:7], 4
	s_load_b64 s[4:5], s[4:5], 0x0
	s_waitcnt lgkmcnt(0)
	s_add_u32 s4, s4, s6
	s_addc_u32 s5, s5, s7
.LBB58_8:
	s_delay_alu instid0(VALU_DEP_1)
	v_cmp_ne_u32_e32 vcc_lo, 1, v1
	s_cbranch_vccnz .LBB58_139
; %bb.9:
	s_clause 0x1
	s_load_b32 s13, s[0:1], 0x48
	s_load_b32 s15, s[0:1], 0x0
	v_and_b32_e32 v42, 0x3ff, v0
	s_lshl_b32 s18, s14, 6
	s_load_b32 s26, s[2:3], 0x0
	v_bfe_u32 v149, v0, 10, 10
	s_delay_alu instid0(VALU_DEP_2) | instskip(SKIP_1) | instid1(VALU_DEP_1)
	v_add_nc_u32_e32 v144, s18, v42
	s_waitcnt lgkmcnt(0)
	v_mul_lo_u32 v1, v144, s13
	s_ashr_i32 s27, s15, 31
	s_delay_alu instid0(SALU_CYCLE_1) | instskip(SKIP_4) | instid1(VALU_DEP_2)
	s_lshr_b32 s2, s27, 26
	s_add_i32 s6, s26, -1
	s_add_i32 s3, s15, s2
	v_cmp_ne_u32_e64 s2, 0, v149
	s_and_not1_b32 s3, s3, 63
	v_ashrrev_i32_e32 v2, 31, v1
	s_sub_i32 s7, s15, s3
	v_cmp_eq_u32_e64 s3, 0, v149
	s_cmp_eq_u32 s14, s6
	s_cselect_b32 s8, s7, 0
	v_lshlrev_b64 v[0:1], 4, v[1:2]
	s_delay_alu instid0(VALU_DEP_1) | instskip(NEXT) | instid1(VALU_DEP_2)
	v_add_co_u32 v36, vcc_lo, s4, v0
	v_add_co_ci_u32_e32 v37, vcc_lo, s5, v1, vcc_lo
	s_mov_b32 s4, -1
	s_and_saveexec_b32 s5, s3
	s_cbranch_execz .LBB58_14
; %bb.10:
	v_cmp_le_i32_e32 vcc_lo, s8, v42
	s_cmp_lg_u32 s8, 0
	v_lshl_add_u32 v0, v42, 4, 0x4700
	s_cselect_b32 s6, -1, 0
	s_delay_alu instid0(SALU_CYCLE_1) | instskip(NEXT) | instid1(SALU_CYCLE_1)
	s_and_b32 s6, s6, vcc_lo
	s_and_saveexec_b32 s7, s6
	s_delay_alu instid0(SALU_CYCLE_1)
	s_xor_b32 s6, exec_lo, s7
	s_cbranch_execz .LBB58_12
; %bb.11:
	v_mov_b32_e32 v1, 0
	s_delay_alu instid0(VALU_DEP_1)
	v_mov_b32_e32 v2, v1
	v_mov_b32_e32 v3, v1
	;; [unrolled: 1-line block ×3, first 2 shown]
	ds_store_b128 v0, v[1:4]
                                        ; implicit-def: $vgpr0
.LBB58_12:
	s_and_not1_saveexec_b32 s6, s6
	s_cbranch_execz .LBB58_14
; %bb.13:
	flat_load_b128 v[1:4], v[36:37]
	s_waitcnt vmcnt(0) lgkmcnt(0)
	ds_store_2addr_b64 v0, v[1:2], v[3:4] offset1:1
.LBB58_14:
	s_or_b32 exec_lo, exec_lo, s5
	s_load_b32 s10, s[0:1], 0x28
	v_lshl_add_u32 v43, v149, 6, v42
	v_and_b32_e32 v4, 31, v42
	s_ashr_i32 s19, s18, 31
	s_delay_alu instid0(SALU_CYCLE_1) | instskip(NEXT) | instid1(VALU_DEP_2)
	s_lshl_b64 s[0:1], s[18:19], 4
	v_lshrrev_b32_e32 v9, 5, v43
	s_add_u32 s5, s20, s0
	s_addc_u32 s6, s21, s1
	s_waitcnt lgkmcnt(0)
	s_delay_alu instid0(VALU_DEP_1) | instskip(SKIP_1) | instid1(SALU_CYCLE_1)
	v_mad_u64_u32 v[0:1], null, v9, s10, v[4:5]
	s_mul_i32 s0, s18, s10
	s_ashr_i32 s1, s0, 31
	s_delay_alu instid0(SALU_CYCLE_1) | instskip(NEXT) | instid1(SALU_CYCLE_1)
	s_lshl_b64 s[20:21], s[0:1], 4
	s_add_u32 s0, s20, s5
	s_delay_alu instid0(VALU_DEP_1) | instskip(SKIP_3) | instid1(VALU_DEP_1)
	v_ashrrev_i32_e32 v1, 31, v0
	s_addc_u32 s1, s21, s6
	s_cmp_lg_u32 s8, 0
	s_cselect_b32 s19, -1, 0
	v_lshlrev_b64 v[38:39], 4, v[0:1]
	s_cmp_eq_u32 s8, 0
	s_cselect_b32 s7, -1, 0
	s_delay_alu instid0(VALU_DEP_1) | instskip(NEXT) | instid1(VALU_DEP_2)
	v_add_co_u32 v5, vcc_lo, s0, v38
	v_add_co_ci_u32_e32 v6, vcc_lo, s1, v39, vcc_lo
	s_and_b32 vcc_lo, exec_lo, s19
	s_cbranch_vccnz .LBB58_16
; %bb.15:
	flat_load_b128 v[0:3], v[5:6]
	s_lshl_b32 s0, s10, 3
	v_mul_u32_u24_e32 v7, 33, v9
	s_ashr_i32 s1, s0, 31
	s_ashr_i32 s11, s10, 31
	s_lshl_b64 s[0:1], s[0:1], 4
	s_mov_b32 s4, 0
	v_add_lshl_u32 v10, v7, v4, 4
	v_add_co_u32 v7, vcc_lo, v5, s0
	v_add_co_ci_u32_e32 v8, vcc_lo, s1, v6, vcc_lo
	s_lshl_b64 s[0:1], s[10:11], 7
	s_delay_alu instid0(VALU_DEP_3)
	v_add_nc_u32_e32 v11, 0x1080, v10
	s_waitcnt vmcnt(0) lgkmcnt(0)
	ds_store_2addr_b64 v10, v[0:1], v[2:3] offset1:1
	flat_load_b128 v[0:3], v[7:8]
	v_add_co_u32 v7, vcc_lo, v7, s0
	v_add_co_ci_u32_e32 v8, vcc_lo, s1, v8, vcc_lo
	s_waitcnt vmcnt(0) lgkmcnt(0)
	ds_store_2addr_b64 v11, v[0:1], v[2:3] offset1:1
	flat_load_b128 v[0:3], v[7:8]
	v_add_co_u32 v7, vcc_lo, v7, s0
	v_add_nc_u32_e32 v11, 0x2100, v10
	v_add_co_ci_u32_e32 v8, vcc_lo, s1, v8, vcc_lo
	s_waitcnt vmcnt(0) lgkmcnt(0)
	ds_store_2addr_b64 v11, v[0:1], v[2:3] offset1:1
	flat_load_b128 v[0:3], v[7:8]
	v_add_nc_u32_e32 v7, 0x3180, v10
	s_waitcnt vmcnt(0) lgkmcnt(0)
	ds_store_2addr_b64 v7, v[0:1], v[2:3] offset1:1
.LBB58_16:
	s_and_not1_b32 vcc_lo, exec_lo, s4
	s_cbranch_vccnz .LBB58_34
; %bb.17:
	v_lshlrev_b32_e32 v2, 4, v4
	s_ashr_i32 s9, s8, 31
	v_mul_u32_u24_e32 v3, 33, v9
	s_lshl_b64 s[4:5], s[8:9], 4
	v_cmp_le_i32_e64 s0, s8, v9
	v_sub_co_u32 v0, vcc_lo, v5, v2
	v_subrev_co_ci_u32_e32 v1, vcc_lo, 0, v6, vcc_lo
	v_add_lshl_u32 v3, v3, v4, 4
	s_delay_alu instid0(VALU_DEP_3) | instskip(NEXT) | instid1(VALU_DEP_3)
	v_add_co_u32 v0, vcc_lo, v0, s4
	v_add_co_ci_u32_e32 v1, vcc_lo, s5, v1, vcc_lo
	s_delay_alu instid0(VALU_DEP_2) | instskip(NEXT) | instid1(VALU_DEP_2)
	v_add_co_u32 v0, vcc_lo, v0, -16
	v_add_co_ci_u32_e32 v1, vcc_lo, -1, v1, vcc_lo
	v_cmp_gt_i32_e32 vcc_lo, s8, v4
	s_delay_alu instid0(VALU_DEP_2) | instskip(SKIP_1) | instid1(SALU_CYCLE_1)
	v_dual_cndmask_b32 v1, v1, v6 :: v_dual_cndmask_b32 v0, v0, v5
	s_and_saveexec_b32 s1, s0
	s_xor_b32 s0, exec_lo, s1
	s_cbranch_execz .LBB58_19
; %bb.18:
	v_mov_b32_e32 v10, 0
	s_delay_alu instid0(VALU_DEP_1)
	v_mov_b32_e32 v11, v10
	v_mov_b32_e32 v12, v10
	;; [unrolled: 1-line block ×3, first 2 shown]
	ds_store_b128 v3, v[10:13]
.LBB58_19:
	s_and_not1_saveexec_b32 s0, s0
	s_cbranch_execz .LBB58_21
; %bb.20:
	flat_load_b128 v[10:13], v[0:1]
	s_waitcnt vmcnt(0) lgkmcnt(0)
	ds_store_2addr_b64 v3, v[10:11], v[12:13] offset1:1
.LBB58_21:
	s_or_b32 exec_lo, exec_lo, s0
	v_add_nc_u32_e32 v7, 8, v9
	s_delay_alu instid0(VALU_DEP_1) | instskip(NEXT) | instid1(VALU_DEP_1)
	v_cmp_le_i32_e64 s0, s8, v7
	s_and_saveexec_b32 s1, s0
	s_delay_alu instid0(SALU_CYCLE_1)
	s_xor_b32 s0, exec_lo, s1
	s_cbranch_execz .LBB58_23
; %bb.22:
	v_mul_u32_u24_e32 v7, 33, v7
	v_mov_b32_e32 v10, 0
	s_delay_alu instid0(VALU_DEP_2) | instskip(NEXT) | instid1(VALU_DEP_2)
	v_add_lshl_u32 v7, v7, v4, 4
	v_mov_b32_e32 v11, v10
	v_mov_b32_e32 v12, v10
	;; [unrolled: 1-line block ×3, first 2 shown]
	ds_store_b128 v7, v[10:13]
.LBB58_23:
	s_and_not1_saveexec_b32 s1, s0
	s_cbranch_execz .LBB58_25
; %bb.24:
	s_lshl_b32 s22, s10, 3
	s_delay_alu instid0(SALU_CYCLE_1) | instskip(NEXT) | instid1(SALU_CYCLE_1)
	s_ashr_i32 s23, s22, 31
	s_lshl_b64 s[22:23], s[22:23], 4
	s_delay_alu instid0(SALU_CYCLE_1) | instskip(NEXT) | instid1(VALU_DEP_1)
	v_add_co_u32 v7, s0, v0, s22
	v_add_co_ci_u32_e64 v8, s0, s23, v1, s0
	flat_load_b128 v[10:13], v[7:8]
	v_add_nc_u32_e32 v7, 0x1080, v3
	s_waitcnt vmcnt(0) lgkmcnt(0)
	ds_store_2addr_b64 v7, v[10:11], v[12:13] offset1:1
.LBB58_25:
	s_or_b32 exec_lo, exec_lo, s1
	v_add_nc_u32_e32 v7, 16, v9
	s_delay_alu instid0(VALU_DEP_1) | instskip(NEXT) | instid1(VALU_DEP_1)
	v_cmp_le_i32_e64 s0, s8, v7
	s_and_saveexec_b32 s1, s0
	s_delay_alu instid0(SALU_CYCLE_1)
	s_xor_b32 s0, exec_lo, s1
	s_cbranch_execz .LBB58_27
; %bb.26:
	v_mul_u32_u24_e32 v7, 33, v7
	v_mov_b32_e32 v10, 0
	s_delay_alu instid0(VALU_DEP_2) | instskip(NEXT) | instid1(VALU_DEP_2)
	v_add_lshl_u32 v7, v7, v4, 4
	v_mov_b32_e32 v11, v10
	v_mov_b32_e32 v12, v10
	;; [unrolled: 1-line block ×3, first 2 shown]
	ds_store_b128 v7, v[10:13]
.LBB58_27:
	s_and_not1_saveexec_b32 s1, s0
	s_cbranch_execz .LBB58_29
; %bb.28:
	s_lshl_b32 s22, s10, 4
	s_delay_alu instid0(SALU_CYCLE_1) | instskip(NEXT) | instid1(SALU_CYCLE_1)
	s_ashr_i32 s23, s22, 31
	s_lshl_b64 s[22:23], s[22:23], 4
	s_delay_alu instid0(SALU_CYCLE_1) | instskip(NEXT) | instid1(VALU_DEP_1)
	v_add_co_u32 v7, s0, v0, s22
	v_add_co_ci_u32_e64 v8, s0, s23, v1, s0
	flat_load_b128 v[10:13], v[7:8]
	v_add_nc_u32_e32 v7, 0x2100, v3
	s_waitcnt vmcnt(0) lgkmcnt(0)
	ds_store_2addr_b64 v7, v[10:11], v[12:13] offset1:1
.LBB58_29:
	s_or_b32 exec_lo, exec_lo, s1
	v_add_nc_u32_e32 v7, 24, v9
	s_delay_alu instid0(VALU_DEP_1) | instskip(NEXT) | instid1(VALU_DEP_1)
	v_cmp_le_i32_e64 s0, s8, v7
	s_and_saveexec_b32 s1, s0
	s_delay_alu instid0(SALU_CYCLE_1)
	s_xor_b32 s0, exec_lo, s1
	s_cbranch_execz .LBB58_31
; %bb.30:
	v_mov_b32_e32 v10, 0
	s_delay_alu instid0(VALU_DEP_1)
	v_mov_b32_e32 v11, v10
	v_mov_b32_e32 v12, v10
	;; [unrolled: 1-line block ×3, first 2 shown]
	ds_store_b128 v3, v[10:13] offset:12672
                                        ; implicit-def: $vgpr3
.LBB58_31:
	s_and_not1_saveexec_b32 s1, s0
	s_cbranch_execz .LBB58_33
; %bb.32:
	s_mul_i32 s22, s10, 24
	v_add_nc_u32_e32 v3, 0x3180, v3
	s_ashr_i32 s23, s22, 31
	s_delay_alu instid0(SALU_CYCLE_1) | instskip(NEXT) | instid1(SALU_CYCLE_1)
	s_lshl_b64 s[22:23], s[22:23], 4
	v_add_co_u32 v7, s0, v0, s22
	s_delay_alu instid0(VALU_DEP_1)
	v_add_co_ci_u32_e64 v8, s0, s23, v1, s0
	flat_load_b128 v[10:13], v[7:8]
	s_waitcnt vmcnt(0) lgkmcnt(0)
	ds_store_2addr_b64 v3, v[10:11], v[12:13] offset1:1
.LBB58_33:
	s_or_b32 exec_lo, exec_lo, s1
	v_add_co_u32 v0, s0, v0, v2
	s_delay_alu instid0(VALU_DEP_1) | instskip(NEXT) | instid1(VALU_DEP_2)
	v_add_co_ci_u32_e64 v1, s0, 0, v1, s0
	v_sub_co_u32 v0, s0, v0, s4
	s_delay_alu instid0(VALU_DEP_1) | instskip(NEXT) | instid1(VALU_DEP_2)
	v_subrev_co_ci_u32_e64 v1, s0, s5, v1, s0
	v_add_co_u32 v0, s0, v0, 16
	s_delay_alu instid0(VALU_DEP_1) | instskip(NEXT) | instid1(VALU_DEP_1)
	v_add_co_ci_u32_e64 v1, s0, 0, v1, s0
	v_dual_cndmask_b32 v5, v0, v5 :: v_dual_cndmask_b32 v6, v1, v6
.LBB58_34:
	v_lshlrev_b32_e32 v11, 2, v9
	s_waitcnt lgkmcnt(0)
	s_barrier
	buffer_gl0_inv
	v_cmp_ge_u32_e64 s1, v11, v4
	s_delay_alu instid0(VALU_DEP_1) | instskip(NEXT) | instid1(SALU_CYCLE_1)
	s_and_saveexec_b32 s0, s1
	s_xor_b32 s0, exec_lo, s0
	s_cbranch_execz .LBB58_38
; %bb.35:
	s_mov_b32 s4, exec_lo
	v_cmpx_eq_u32_e64 v11, v4
	s_cbranch_execz .LBB58_37
; %bb.36:
	v_mul_u32_u24_e32 v1, 34, v4
	v_mov_b32_e32 v0, 0
	s_delay_alu instid0(VALU_DEP_1)
	v_dual_mov_b32 v1, v0 :: v_dual_lshlrev_b32 v2, 4, v1
	ds_store_b64 v2, v[0:1] offset:8
.LBB58_37:
	s_or_b32 exec_lo, exec_lo, s4
.LBB58_38:
	s_or_saveexec_b32 s0, s0
	v_mul_u32_u24_e32 v44, 33, v4
	v_mul_u32_u24_e32 v0, 0x84, v9
	s_delay_alu instid0(VALU_DEP_2)
	v_add_lshl_u32 v12, v11, v44, 4
	s_xor_b32 exec_lo, exec_lo, s0
	s_cbranch_execz .LBB58_40
; %bb.39:
	s_delay_alu instid0(VALU_DEP_2)
	v_add_lshl_u32 v1, v0, v4, 4
	ds_load_b128 v[13:16], v1
	s_waitcnt lgkmcnt(0)
	v_xor_b32_e32 v16, 0x80000000, v16
	ds_store_b128 v12, v[13:16]
.LBB58_40:
	s_or_b32 exec_lo, exec_lo, s0
	v_or_b32_e32 v14, 1, v11
	s_delay_alu instid0(VALU_DEP_1) | instskip(NEXT) | instid1(VALU_DEP_1)
	v_cmp_ge_u32_e64 s4, v14, v4
	s_and_saveexec_b32 s0, s4
	s_delay_alu instid0(SALU_CYCLE_1)
	s_xor_b32 s0, exec_lo, s0
	s_cbranch_execz .LBB58_44
; %bb.41:
	s_mov_b32 s5, exec_lo
	v_cmpx_eq_u32_e64 v14, v4
	s_cbranch_execz .LBB58_43
; %bb.42:
	v_mul_u32_u24_e32 v2, 34, v4
	v_mov_b32_e32 v1, 0
	s_delay_alu instid0(VALU_DEP_1)
	v_dual_mov_b32 v2, v1 :: v_dual_lshlrev_b32 v3, 4, v2
	ds_store_b64 v3, v[1:2] offset:8
.LBB58_43:
	s_or_b32 exec_lo, exec_lo, s5
.LBB58_44:
	s_or_saveexec_b32 s0, s0
	v_mul_u32_u24_e32 v1, 33, v14
	s_xor_b32 exec_lo, exec_lo, s0
	s_cbranch_execz .LBB58_46
; %bb.45:
	s_delay_alu instid0(VALU_DEP_1)
	v_add_lshl_u32 v2, v1, v4, 4
	ds_load_b128 v[15:18], v2
	s_waitcnt lgkmcnt(0)
	v_xor_b32_e32 v18, 0x80000000, v18
	ds_store_b128 v12, v[15:18] offset:16
.LBB58_46:
	s_or_b32 exec_lo, exec_lo, s0
	v_or_b32_e32 v15, 2, v11
	s_delay_alu instid0(VALU_DEP_1) | instskip(NEXT) | instid1(VALU_DEP_1)
	v_cmp_ge_u32_e64 s5, v15, v4
	s_and_saveexec_b32 s0, s5
	s_delay_alu instid0(SALU_CYCLE_1)
	s_xor_b32 s0, exec_lo, s0
	s_cbranch_execz .LBB58_50
; %bb.47:
	s_mov_b32 s6, exec_lo
	v_cmpx_eq_u32_e64 v15, v4
	s_cbranch_execz .LBB58_49
; %bb.48:
	v_mul_u32_u24_e32 v3, 34, v4
	s_delay_alu instid0(VALU_DEP_1) | instskip(NEXT) | instid1(VALU_DEP_1)
	v_dual_mov_b32 v2, 0 :: v_dual_lshlrev_b32 v7, 4, v3
	v_mov_b32_e32 v3, v2
	ds_store_b64 v7, v[2:3] offset:8
.LBB58_49:
	s_or_b32 exec_lo, exec_lo, s6
.LBB58_50:
	s_and_not1_saveexec_b32 s0, s0
	s_cbranch_execz .LBB58_52
; %bb.51:
	v_mul_u32_u24_e32 v2, 33, v15
	s_delay_alu instid0(VALU_DEP_1)
	v_add_lshl_u32 v2, v2, v4, 4
	ds_load_b128 v[16:19], v2
	s_waitcnt lgkmcnt(0)
	v_xor_b32_e32 v19, 0x80000000, v19
	ds_store_b128 v12, v[16:19] offset:32
.LBB58_52:
	s_or_b32 exec_lo, exec_lo, s0
	v_or_b32_e32 v17, 3, v11
	s_delay_alu instid0(VALU_DEP_1) | instskip(NEXT) | instid1(VALU_DEP_1)
	v_cmp_ge_u32_e64 s6, v17, v4
	s_and_saveexec_b32 s0, s6
	s_delay_alu instid0(SALU_CYCLE_1)
	s_xor_b32 s0, exec_lo, s0
	s_cbranch_execz .LBB58_56
; %bb.53:
	s_mov_b32 s9, exec_lo
	v_cmpx_eq_u32_e64 v17, v4
	s_cbranch_execz .LBB58_55
; %bb.54:
	v_mul_u32_u24_e32 v3, 34, v4
	s_delay_alu instid0(VALU_DEP_1) | instskip(NEXT) | instid1(VALU_DEP_1)
	v_dual_mov_b32 v2, 0 :: v_dual_lshlrev_b32 v7, 4, v3
	v_mov_b32_e32 v3, v2
	ds_store_b64 v7, v[2:3] offset:8
.LBB58_55:
	s_or_b32 exec_lo, exec_lo, s9
.LBB58_56:
	s_and_not1_saveexec_b32 s0, s0
	s_cbranch_execz .LBB58_58
; %bb.57:
	v_mul_u32_u24_e32 v2, 33, v17
	s_delay_alu instid0(VALU_DEP_1)
	v_add_lshl_u32 v2, v2, v4, 4
	ds_load_b128 v[18:21], v2
	s_waitcnt lgkmcnt(0)
	v_xor_b32_e32 v21, 0x80000000, v21
	ds_store_b128 v12, v[18:21] offset:48
.LBB58_58:
	s_or_b32 exec_lo, exec_lo, s0
	v_add_lshl_u32 v16, v0, v4, 4
	v_lshlrev_b32_e32 v13, 4, v11
	s_waitcnt lgkmcnt(0)
	s_barrier
	buffer_gl0_inv
	ds_load_b128 v[18:21], v16
	ds_load_b128 v[22:25], v13 offset:18176
	v_add_lshl_u32 v10, v1, v4, 4
	ds_load_b128 v[0:3], v13 offset:18192
	ds_load_b128 v[26:29], v10
	v_cmp_gt_u32_e64 s0, 32, v43
	s_waitcnt lgkmcnt(2)
	v_mul_f64 v[7:8], v[24:25], v[20:21]
	v_mul_f64 v[20:21], v[22:23], v[20:21]
	s_waitcnt lgkmcnt(0)
	v_mul_f64 v[40:41], v[2:3], v[28:29]
	v_mul_f64 v[45:46], v[0:1], v[28:29]
	s_delay_alu instid0(VALU_DEP_4) | instskip(NEXT) | instid1(VALU_DEP_4)
	v_fma_f64 v[7:8], v[22:23], v[18:19], -v[7:8]
	v_fma_f64 v[47:48], v[24:25], v[18:19], v[20:21]
	ds_load_b128 v[18:21], v10 offset:528
	ds_load_b128 v[22:25], v13 offset:18208
	;; [unrolled: 1-line block ×4, first 2 shown]
	s_waitcnt lgkmcnt(0)
	s_barrier
	v_fma_f64 v[0:1], v[0:1], v[26:27], -v[40:41]
	v_fma_f64 v[2:3], v[2:3], v[26:27], v[45:46]
	v_add_lshl_u32 v45, v9, v44, 4
	buffer_gl0_inv
	v_mul_f64 v[49:50], v[24:25], v[20:21]
	v_mul_f64 v[20:21], v[22:23], v[20:21]
	;; [unrolled: 1-line block ×4, first 2 shown]
	v_add_f64 v[7:8], v[7:8], 0
	v_add_f64 v[26:27], v[47:48], 0
	v_fma_f64 v[22:23], v[22:23], v[18:19], -v[49:50]
	v_fma_f64 v[18:19], v[24:25], v[18:19], v[20:21]
	v_fma_f64 v[20:21], v[30:31], v[32:33], v[34:35]
	v_add_f64 v[0:1], v[7:8], v[0:1]
	v_add_f64 v[2:3], v[26:27], v[2:3]
	v_fma_f64 v[7:8], v[28:29], v[32:33], -v[40:41]
	s_delay_alu instid0(VALU_DEP_3) | instskip(NEXT) | instid1(VALU_DEP_3)
	v_add_f64 v[0:1], v[0:1], v[22:23]
	v_add_f64 v[2:3], v[2:3], v[18:19]
	s_delay_alu instid0(VALU_DEP_2) | instskip(SKIP_1) | instid1(VALU_DEP_3)
	v_add_f64 v[18:19], v[0:1], v[7:8]
	v_mov_b32_e32 v0, 0
	v_add_f64 v[20:21], v[2:3], v[20:21]
	v_mov_b32_e32 v1, 0
	s_delay_alu instid0(VALU_DEP_1)
	v_dual_mov_b32 v3, v1 :: v_dual_mov_b32 v2, v0
	ds_store_b128 v45, v[18:21]
	s_waitcnt lgkmcnt(0)
	s_barrier
	buffer_gl0_inv
	s_and_saveexec_b32 s9, s0
	s_cbranch_execz .LBB58_60
; %bb.59:
	v_lshlrev_b32_e32 v24, 4, v44
	ds_load_b128 v[0:3], v24
	ds_load_b128 v[18:21], v24 offset:16
	s_waitcnt lgkmcnt(0)
	v_add_f64 v[7:8], v[18:19], v[0:1]
	v_add_f64 v[22:23], v[20:21], v[2:3]
	ds_load_b128 v[0:3], v24 offset:32
	ds_load_b128 v[18:21], v24 offset:48
	s_waitcnt lgkmcnt(1)
	v_add_f64 v[0:1], v[7:8], v[0:1]
	v_add_f64 v[2:3], v[22:23], v[2:3]
	s_waitcnt lgkmcnt(0)
	s_delay_alu instid0(VALU_DEP_2) | instskip(NEXT) | instid1(VALU_DEP_2)
	v_add_f64 v[7:8], v[0:1], v[18:19]
	v_add_f64 v[22:23], v[2:3], v[20:21]
	ds_load_b128 v[0:3], v24 offset:64
	ds_load_b128 v[18:21], v24 offset:80
	s_waitcnt lgkmcnt(1)
	v_add_f64 v[0:1], v[7:8], v[0:1]
	v_add_f64 v[2:3], v[22:23], v[2:3]
	s_waitcnt lgkmcnt(0)
	s_delay_alu instid0(VALU_DEP_2) | instskip(NEXT) | instid1(VALU_DEP_2)
	;; [unrolled: 9-line block ×3, first 2 shown]
	v_add_f64 v[0:1], v[0:1], v[18:19]
	v_add_f64 v[2:3], v[2:3], v[20:21]
.LBB58_60:
	s_or_b32 exec_lo, exec_lo, s9
	s_lshl_b32 s22, s10, 5
	v_cndmask_b32_e64 v18, 0, 1, s7
	s_ashr_i32 s23, s22, 31
	s_delay_alu instid0(SALU_CYCLE_1)
	s_lshl_b64 s[22:23], s[22:23], 4
	s_barrier
	v_add_co_u32 v7, vcc_lo, v5, s22
	v_add_co_ci_u32_e32 v8, vcc_lo, s23, v6, vcc_lo
	buffer_gl0_inv
	v_add_co_u32 v5, vcc_lo, 0x200, v7
	v_add_co_ci_u32_e32 v6, vcc_lo, 0, v8, vcc_lo
	s_and_not1_b32 vcc_lo, exec_lo, s7
	s_cbranch_vccnz .LBB58_62
; %bb.61:
	flat_load_b128 v[19:22], v[5:6]
	s_lshl_b32 s24, s10, 3
	v_mul_u32_u24_e32 v23, 33, v9
	s_ashr_i32 s25, s24, 31
	s_ashr_i32 s11, s10, 31
	s_lshl_b64 s[24:25], s[24:25], 4
	s_delay_alu instid0(SALU_CYCLE_1) | instskip(SKIP_3) | instid1(VALU_DEP_2)
	v_add_co_u32 v7, vcc_lo, v7, s24
	v_add_lshl_u32 v23, v23, v4, 4
	v_add_co_ci_u32_e32 v8, vcc_lo, s25, v8, vcc_lo
	s_lshl_b64 s[24:25], s[10:11], 7
	v_add_nc_u32_e32 v24, 0x1080, v23
	s_waitcnt vmcnt(0) lgkmcnt(0)
	ds_store_2addr_b64 v23, v[19:20], v[21:22] offset1:1
	flat_load_b128 v[19:22], v[7:8] offset:512
	v_add_co_u32 v7, vcc_lo, v7, s24
	v_add_co_ci_u32_e32 v8, vcc_lo, s25, v8, vcc_lo
	s_waitcnt vmcnt(0) lgkmcnt(0)
	ds_store_2addr_b64 v24, v[19:20], v[21:22] offset1:1
	flat_load_b128 v[19:22], v[7:8] offset:512
	v_add_co_u32 v7, vcc_lo, v7, s24
	v_add_nc_u32_e32 v24, 0x2100, v23
	v_add_co_ci_u32_e32 v8, vcc_lo, s25, v8, vcc_lo
	s_waitcnt vmcnt(0) lgkmcnt(0)
	ds_store_2addr_b64 v24, v[19:20], v[21:22] offset1:1
	flat_load_b128 v[19:22], v[7:8] offset:512
	v_add_nc_u32_e32 v7, 0x3180, v23
	s_waitcnt vmcnt(0) lgkmcnt(0)
	ds_store_2addr_b64 v7, v[19:20], v[21:22] offset1:1
	s_cbranch_execz .LBB58_63
	s_branch .LBB58_80
.LBB58_62:
.LBB58_63:
	v_or_b32_e32 v7, 32, v4
	s_ashr_i32 s9, s8, 31
	v_mul_u32_u24_e32 v20, 33, v9
	s_lshl_b64 s[24:25], s[8:9], 4
	s_sub_i32 s9, s8, 32
	v_lshlrev_b32_e32 v8, 4, v7
	v_cmp_le_i32_e64 s7, s9, v9
	s_delay_alu instid0(VALU_DEP_2) | instskip(SKIP_1) | instid1(VALU_DEP_2)
	v_sub_co_u32 v8, vcc_lo, v5, v8
	v_subrev_co_ci_u32_e32 v19, vcc_lo, 0, v6, vcc_lo
	v_add_co_u32 v8, vcc_lo, v8, s24
	s_delay_alu instid0(VALU_DEP_2) | instskip(NEXT) | instid1(VALU_DEP_2)
	v_add_co_ci_u32_e32 v19, vcc_lo, s25, v19, vcc_lo
	v_add_co_u32 v21, vcc_lo, v8, -16
	s_delay_alu instid0(VALU_DEP_2) | instskip(SKIP_2) | instid1(VALU_DEP_3)
	v_add_co_ci_u32_e32 v8, vcc_lo, -1, v19, vcc_lo
	v_cmp_gt_i32_e32 vcc_lo, s8, v7
	v_add_lshl_u32 v19, v20, v4, 4
	v_dual_cndmask_b32 v7, v21, v5 :: v_dual_cndmask_b32 v8, v8, v6
	s_and_saveexec_b32 s11, s7
	s_delay_alu instid0(SALU_CYCLE_1)
	s_xor_b32 s7, exec_lo, s11
	s_cbranch_execz .LBB58_65
; %bb.64:
	v_mov_b32_e32 v20, 0
	s_delay_alu instid0(VALU_DEP_1)
	v_mov_b32_e32 v21, v20
	v_mov_b32_e32 v22, v20
	;; [unrolled: 1-line block ×3, first 2 shown]
	ds_store_b128 v19, v[20:23]
.LBB58_65:
	s_and_not1_saveexec_b32 s7, s7
	s_cbranch_execz .LBB58_67
; %bb.66:
	flat_load_b128 v[20:23], v[7:8]
	s_waitcnt vmcnt(0) lgkmcnt(0)
	ds_store_2addr_b64 v19, v[20:21], v[22:23] offset1:1
.LBB58_67:
	s_or_b32 exec_lo, exec_lo, s7
	v_add_nc_u32_e32 v20, 8, v9
	s_delay_alu instid0(VALU_DEP_1) | instskip(NEXT) | instid1(VALU_DEP_1)
	v_cmp_le_i32_e64 s7, s9, v20
	s_and_saveexec_b32 s11, s7
	s_delay_alu instid0(SALU_CYCLE_1)
	s_xor_b32 s7, exec_lo, s11
	s_cbranch_execz .LBB58_69
; %bb.68:
	v_mul_u32_u24_e32 v21, 33, v20
	v_mov_b32_e32 v20, 0
	s_delay_alu instid0(VALU_DEP_2) | instskip(NEXT) | instid1(VALU_DEP_2)
	v_add_lshl_u32 v24, v21, v4, 4
	v_mov_b32_e32 v21, v20
	v_mov_b32_e32 v22, v20
	;; [unrolled: 1-line block ×3, first 2 shown]
	ds_store_b128 v24, v[20:23]
.LBB58_69:
	s_and_not1_saveexec_b32 s11, s7
	s_cbranch_execz .LBB58_71
; %bb.70:
	s_lshl_b32 s28, s10, 3
	v_add_nc_u32_e32 v24, 0x1080, v19
	s_ashr_i32 s29, s28, 31
	s_delay_alu instid0(SALU_CYCLE_1) | instskip(NEXT) | instid1(SALU_CYCLE_1)
	s_lshl_b64 s[28:29], s[28:29], 4
	v_add_co_u32 v20, s7, v7, s28
	s_delay_alu instid0(VALU_DEP_1)
	v_add_co_ci_u32_e64 v21, s7, s29, v8, s7
	flat_load_b128 v[20:23], v[20:21]
	s_waitcnt vmcnt(0) lgkmcnt(0)
	ds_store_2addr_b64 v24, v[20:21], v[22:23] offset1:1
.LBB58_71:
	s_or_b32 exec_lo, exec_lo, s11
	v_add_nc_u32_e32 v20, 16, v9
	s_delay_alu instid0(VALU_DEP_1) | instskip(NEXT) | instid1(VALU_DEP_1)
	v_cmp_le_i32_e64 s7, s9, v20
	s_and_saveexec_b32 s11, s7
	s_delay_alu instid0(SALU_CYCLE_1)
	s_xor_b32 s7, exec_lo, s11
	s_cbranch_execz .LBB58_73
; %bb.72:
	v_mul_u32_u24_e32 v21, 33, v20
	v_mov_b32_e32 v20, 0
	s_delay_alu instid0(VALU_DEP_2) | instskip(NEXT) | instid1(VALU_DEP_2)
	v_add_lshl_u32 v24, v21, v4, 4
	v_mov_b32_e32 v21, v20
	v_mov_b32_e32 v22, v20
	;; [unrolled: 1-line block ×3, first 2 shown]
	ds_store_b128 v24, v[20:23]
.LBB58_73:
	s_and_not1_saveexec_b32 s11, s7
	s_cbranch_execz .LBB58_75
; %bb.74:
	s_lshl_b32 s28, s10, 4
	v_add_nc_u32_e32 v24, 0x2100, v19
	s_ashr_i32 s29, s28, 31
	s_delay_alu instid0(SALU_CYCLE_1) | instskip(NEXT) | instid1(SALU_CYCLE_1)
	s_lshl_b64 s[28:29], s[28:29], 4
	v_add_co_u32 v20, s7, v7, s28
	s_delay_alu instid0(VALU_DEP_1)
	v_add_co_ci_u32_e64 v21, s7, s29, v8, s7
	flat_load_b128 v[20:23], v[20:21]
	s_waitcnt vmcnt(0) lgkmcnt(0)
	ds_store_2addr_b64 v24, v[20:21], v[22:23] offset1:1
.LBB58_75:
	s_or_b32 exec_lo, exec_lo, s11
	v_add_nc_u32_e32 v20, 24, v9
	s_delay_alu instid0(VALU_DEP_1) | instskip(NEXT) | instid1(VALU_DEP_1)
	v_cmp_le_i32_e64 s7, s9, v20
	s_and_saveexec_b32 s9, s7
	s_delay_alu instid0(SALU_CYCLE_1)
	s_xor_b32 s7, exec_lo, s9
	s_cbranch_execz .LBB58_77
; %bb.76:
	v_mov_b32_e32 v20, 0
	s_delay_alu instid0(VALU_DEP_1)
	v_mov_b32_e32 v21, v20
	v_mov_b32_e32 v22, v20
	;; [unrolled: 1-line block ×3, first 2 shown]
	ds_store_b128 v19, v[20:23] offset:12672
                                        ; implicit-def: $vgpr19
.LBB58_77:
	s_and_not1_saveexec_b32 s9, s7
	s_cbranch_execz .LBB58_79
; %bb.78:
	s_mul_i32 s28, s10, 24
	v_add_nc_u32_e32 v19, 0x3180, v19
	s_ashr_i32 s29, s28, 31
	s_delay_alu instid0(SALU_CYCLE_1) | instskip(NEXT) | instid1(SALU_CYCLE_1)
	s_lshl_b64 s[28:29], s[28:29], 4
	v_add_co_u32 v20, s7, v7, s28
	s_delay_alu instid0(VALU_DEP_1)
	v_add_co_ci_u32_e64 v21, s7, s29, v8, s7
	flat_load_b128 v[20:23], v[20:21]
	s_waitcnt vmcnt(0) lgkmcnt(0)
	ds_store_2addr_b64 v19, v[20:21], v[22:23] offset1:1
.LBB58_79:
	s_or_b32 exec_lo, exec_lo, s9
	v_lshlrev_b32_e32 v19, 4, v4
	s_delay_alu instid0(VALU_DEP_1) | instskip(NEXT) | instid1(VALU_DEP_1)
	v_add_co_u32 v7, s7, v7, v19
	v_add_co_ci_u32_e64 v8, s7, 0, v8, s7
	s_delay_alu instid0(VALU_DEP_2) | instskip(NEXT) | instid1(VALU_DEP_1)
	v_sub_co_u32 v7, s7, v7, s24
	v_subrev_co_ci_u32_e64 v8, s7, s25, v8, s7
	s_delay_alu instid0(VALU_DEP_2) | instskip(NEXT) | instid1(VALU_DEP_1)
	v_add_co_u32 v7, s7, 0x210, v7
	v_add_co_ci_u32_e64 v8, s7, 0, v8, s7
	s_delay_alu instid0(VALU_DEP_1)
	v_dual_cndmask_b32 v5, v7, v5 :: v_dual_cndmask_b32 v6, v8, v6
.LBB58_80:
	v_add_nc_u32_e32 v13, 0x4700, v13
	s_waitcnt lgkmcnt(0)
	s_barrier
	buffer_gl0_inv
	s_and_saveexec_b32 s7, s1
	s_delay_alu instid0(SALU_CYCLE_1)
	s_xor_b32 s1, exec_lo, s7
	s_cbranch_execnz .LBB58_93
; %bb.81:
	s_and_not1_saveexec_b32 s1, s1
	s_cbranch_execnz .LBB58_96
.LBB58_82:
	s_or_b32 exec_lo, exec_lo, s1
	s_and_saveexec_b32 s1, s4
	s_delay_alu instid0(SALU_CYCLE_1)
	s_xor_b32 s1, exec_lo, s1
	s_cbranch_execnz .LBB58_97
.LBB58_83:
	s_and_not1_saveexec_b32 s1, s1
	s_cbranch_execnz .LBB58_100
.LBB58_84:
	s_or_b32 exec_lo, exec_lo, s1
	s_and_saveexec_b32 s1, s5
	s_delay_alu instid0(SALU_CYCLE_1)
	s_xor_b32 s1, exec_lo, s1
	s_cbranch_execnz .LBB58_101
.LBB58_85:
	s_and_not1_saveexec_b32 s1, s1
	s_cbranch_execnz .LBB58_104
.LBB58_86:
	s_or_b32 exec_lo, exec_lo, s1
	s_and_saveexec_b32 s1, s6
	s_delay_alu instid0(SALU_CYCLE_1)
	s_xor_b32 s1, exec_lo, s1
	s_cbranch_execnz .LBB58_105
.LBB58_87:
	s_and_not1_saveexec_b32 s1, s1
	s_cbranch_execz .LBB58_89
.LBB58_88:
	ds_load_b128 v[19:22], v10 offset:1056
	s_waitcnt lgkmcnt(0)
	v_xor_b32_e32 v22, 0x80000000, v22
	ds_store_b128 v12, v[19:22] offset:48
.LBB58_89:
	s_or_b32 exec_lo, exec_lo, s1
	s_waitcnt lgkmcnt(0)
	s_barrier
	buffer_gl0_inv
	ds_load_b128 v[19:22], v13 offset:512
	ds_load_b128 v[14:17], v16
	ds_load_b128 v[23:26], v10
	ds_load_b128 v[27:30], v13 offset:528
	ds_load_b128 v[31:34], v13 offset:544
	v_cmp_eq_u32_e64 s1, 1, v9
	s_waitcnt lgkmcnt(1)
	v_mul_f64 v[40:41], v[29:30], v[25:26]
	v_mul_f64 v[7:8], v[21:22], v[16:17]
	;; [unrolled: 1-line block ×4, first 2 shown]
	s_delay_alu instid0(VALU_DEP_4) | instskip(NEXT) | instid1(VALU_DEP_4)
	v_fma_f64 v[27:28], v[27:28], v[23:24], -v[40:41]
	v_fma_f64 v[7:8], v[19:20], v[14:15], -v[7:8]
	s_delay_alu instid0(VALU_DEP_4)
	v_fma_f64 v[46:47], v[21:22], v[14:15], v[16:17]
	ds_load_b128 v[14:17], v10 offset:528
	ds_load_b128 v[19:22], v10 offset:1056
	v_fma_f64 v[29:30], v[29:30], v[23:24], v[25:26]
	ds_load_b128 v[23:26], v13 offset:560
	s_waitcnt lgkmcnt(0)
	s_barrier
	buffer_gl0_inv
	v_mul_f64 v[10:11], v[33:34], v[16:17]
	v_mul_f64 v[16:17], v[31:32], v[16:17]
	v_add_f64 v[7:8], v[7:8], 0
	v_add_f64 v[40:41], v[46:47], 0
	v_mul_f64 v[46:47], v[25:26], v[21:22]
	v_mul_f64 v[21:22], v[23:24], v[21:22]
	v_fma_f64 v[10:11], v[31:32], v[14:15], -v[10:11]
	v_fma_f64 v[14:15], v[33:34], v[14:15], v[16:17]
	v_add_f64 v[7:8], v[7:8], v[27:28]
	v_add_f64 v[16:17], v[40:41], v[29:30]
	v_fma_f64 v[23:24], v[23:24], v[19:20], -v[46:47]
	v_fma_f64 v[19:20], v[25:26], v[19:20], v[21:22]
	s_delay_alu instid0(VALU_DEP_4) | instskip(NEXT) | instid1(VALU_DEP_4)
	v_add_f64 v[7:8], v[7:8], v[10:11]
	v_add_f64 v[10:11], v[16:17], v[14:15]
	s_delay_alu instid0(VALU_DEP_2) | instskip(NEXT) | instid1(VALU_DEP_2)
	v_add_f64 v[14:15], v[7:8], v[23:24]
	v_add_f64 v[16:17], v[10:11], v[19:20]
	ds_store_b128 v45, v[14:17]
	s_waitcnt lgkmcnt(0)
	s_barrier
	buffer_gl0_inv
	s_and_saveexec_b32 s4, s1
	s_cbranch_execz .LBB58_91
; %bb.90:
	v_lshlrev_b32_e32 v19, 4, v44
	ds_load_b128 v[0:3], v19
	ds_load_b128 v[14:17], v19 offset:16
	s_waitcnt lgkmcnt(0)
	v_add_f64 v[7:8], v[14:15], v[0:1]
	v_add_f64 v[10:11], v[16:17], v[2:3]
	ds_load_b128 v[0:3], v19 offset:32
	ds_load_b128 v[14:17], v19 offset:48
	s_waitcnt lgkmcnt(1)
	v_add_f64 v[0:1], v[7:8], v[0:1]
	v_add_f64 v[2:3], v[10:11], v[2:3]
	s_waitcnt lgkmcnt(0)
	s_delay_alu instid0(VALU_DEP_2) | instskip(NEXT) | instid1(VALU_DEP_2)
	v_add_f64 v[7:8], v[0:1], v[14:15]
	v_add_f64 v[10:11], v[2:3], v[16:17]
	ds_load_b128 v[0:3], v19 offset:64
	ds_load_b128 v[14:17], v19 offset:80
	s_waitcnt lgkmcnt(1)
	v_add_f64 v[0:1], v[7:8], v[0:1]
	v_add_f64 v[2:3], v[10:11], v[2:3]
	s_waitcnt lgkmcnt(0)
	s_delay_alu instid0(VALU_DEP_2) | instskip(NEXT) | instid1(VALU_DEP_2)
	;; [unrolled: 9-line block ×3, first 2 shown]
	v_add_f64 v[0:1], v[0:1], v[14:15]
	v_add_f64 v[2:3], v[2:3], v[16:17]
.LBB58_91:
	s_or_b32 exec_lo, exec_lo, s4
	v_cmp_ne_u32_e32 vcc_lo, 1, v18
	v_sub_co_u32 v40, s4, v5, s22
	s_delay_alu instid0(VALU_DEP_1)
	v_subrev_co_ci_u32_e64 v41, s4, s23, v6, s4
	s_barrier
	buffer_gl0_inv
	s_cbranch_vccnz .LBB58_108
; %bb.92:
	flat_load_b128 v[14:17], v[40:41]
	s_lshl_b32 s4, s10, 3
	v_mad_u32_u24 v8, v9, 33, v4
	s_ashr_i32 s5, s4, 31
	s_ashr_i32 s11, s10, 31
	s_lshl_b64 s[4:5], s[4:5], 4
	v_add_nc_u32_e32 v10, 16, v9
	v_add_co_u32 v5, vcc_lo, v40, s4
	v_lshlrev_b32_e32 v19, 4, v8
	v_add_co_ci_u32_e32 v6, vcc_lo, s5, v41, vcc_lo
	s_lshl_b64 s[4:5], s[10:11], 7
	v_add_nc_u32_e32 v11, 24, v9
	s_delay_alu instid0(VALU_DEP_3)
	v_add_nc_u32_e32 v7, 0x1080, v19
	s_waitcnt vmcnt(0) lgkmcnt(0)
	ds_store_2addr_b64 v19, v[14:15], v[16:17] offset1:1
	flat_load_b128 v[14:17], v[5:6]
	v_add_co_u32 v5, vcc_lo, v5, s4
	v_add_co_ci_u32_e32 v6, vcc_lo, s5, v6, vcc_lo
	s_waitcnt vmcnt(0) lgkmcnt(0)
	ds_store_2addr_b64 v7, v[14:15], v[16:17] offset1:1
	flat_load_b128 v[14:17], v[5:6]
	v_add_co_u32 v5, vcc_lo, v5, s4
	v_add_nc_u32_e32 v7, 0x2100, v19
	v_add_co_ci_u32_e32 v6, vcc_lo, s5, v6, vcc_lo
	v_add_nc_u32_e32 v19, 0x3180, v19
	s_waitcnt vmcnt(0) lgkmcnt(0)
	ds_store_2addr_b64 v7, v[14:15], v[16:17] offset1:1
	flat_load_b128 v[15:18], v[5:6]
	v_add_nc_u32_e32 v7, 8, v9
	v_add_nc_u32_e32 v6, 0x108, v8
	;; [unrolled: 1-line block ×4, first 2 shown]
	s_waitcnt vmcnt(0) lgkmcnt(0)
	ds_store_2addr_b64 v19, v[15:16], v[17:18] offset1:1
	s_cbranch_execz .LBB58_109
	s_branch .LBB58_126
.LBB58_93:
	s_mov_b32 s7, exec_lo
	v_cmpx_eq_u32_e64 v11, v4
	s_cbranch_execz .LBB58_95
; %bb.94:
	v_mul_u32_u24_e32 v8, 34, v4
	v_mov_b32_e32 v7, 0
	s_delay_alu instid0(VALU_DEP_1)
	v_dual_mov_b32 v8, v7 :: v_dual_lshlrev_b32 v11, 4, v8
	ds_store_b64 v11, v[7:8] offset:8
.LBB58_95:
	s_or_b32 exec_lo, exec_lo, s7
	s_and_not1_saveexec_b32 s1, s1
	s_cbranch_execz .LBB58_82
.LBB58_96:
	ds_load_b128 v[19:22], v16
	s_waitcnt lgkmcnt(0)
	v_xor_b32_e32 v22, 0x80000000, v22
	ds_store_b128 v12, v[19:22]
	s_or_b32 exec_lo, exec_lo, s1
	s_and_saveexec_b32 s1, s4
	s_delay_alu instid0(SALU_CYCLE_1)
	s_xor_b32 s1, exec_lo, s1
	s_cbranch_execz .LBB58_83
.LBB58_97:
	s_mov_b32 s4, exec_lo
	v_cmpx_eq_u32_e64 v14, v4
	s_cbranch_execz .LBB58_99
; %bb.98:
	v_mul_u32_u24_e32 v8, 34, v4
	v_mov_b32_e32 v7, 0
	s_delay_alu instid0(VALU_DEP_1)
	v_dual_mov_b32 v8, v7 :: v_dual_lshlrev_b32 v11, 4, v8
	ds_store_b64 v11, v[7:8] offset:8
.LBB58_99:
	s_or_b32 exec_lo, exec_lo, s4
	s_and_not1_saveexec_b32 s1, s1
	s_cbranch_execz .LBB58_84
.LBB58_100:
	ds_load_b128 v[19:22], v10
	s_waitcnt lgkmcnt(0)
	v_xor_b32_e32 v22, 0x80000000, v22
	ds_store_b128 v12, v[19:22] offset:16
	s_or_b32 exec_lo, exec_lo, s1
	s_and_saveexec_b32 s1, s5
	s_delay_alu instid0(SALU_CYCLE_1)
	s_xor_b32 s1, exec_lo, s1
	s_cbranch_execz .LBB58_85
.LBB58_101:
	s_mov_b32 s4, exec_lo
	v_cmpx_eq_u32_e64 v15, v4
	s_cbranch_execz .LBB58_103
; %bb.102:
	v_mul_u32_u24_e32 v8, 34, v4
	v_mov_b32_e32 v7, 0
	s_delay_alu instid0(VALU_DEP_1)
	v_dual_mov_b32 v8, v7 :: v_dual_lshlrev_b32 v11, 4, v8
	ds_store_b64 v11, v[7:8] offset:8
.LBB58_103:
	s_or_b32 exec_lo, exec_lo, s4
	s_and_not1_saveexec_b32 s1, s1
	s_cbranch_execz .LBB58_86
.LBB58_104:
	ds_load_b128 v[19:22], v10 offset:528
	s_waitcnt lgkmcnt(0)
	v_xor_b32_e32 v22, 0x80000000, v22
	ds_store_b128 v12, v[19:22] offset:32
	s_or_b32 exec_lo, exec_lo, s1
	s_and_saveexec_b32 s1, s6
	s_delay_alu instid0(SALU_CYCLE_1)
	s_xor_b32 s1, exec_lo, s1
	s_cbranch_execz .LBB58_87
.LBB58_105:
	s_mov_b32 s4, exec_lo
	v_cmpx_eq_u32_e64 v17, v4
	s_cbranch_execz .LBB58_107
; %bb.106:
	v_mul_u32_u24_e32 v8, 34, v4
	v_mov_b32_e32 v7, 0
	s_delay_alu instid0(VALU_DEP_1)
	v_dual_mov_b32 v8, v7 :: v_dual_lshlrev_b32 v11, 4, v8
	ds_store_b64 v11, v[7:8] offset:8
.LBB58_107:
	s_or_b32 exec_lo, exec_lo, s4
	s_and_not1_saveexec_b32 s1, s1
	s_cbranch_execnz .LBB58_88
	s_branch .LBB58_89
.LBB58_108:
                                        ; implicit-def: $vgpr8
                                        ; implicit-def: $vgpr7
                                        ; implicit-def: $vgpr6
                                        ; implicit-def: $vgpr10
                                        ; implicit-def: $vgpr5
                                        ; implicit-def: $vgpr11
                                        ; implicit-def: $vgpr14
.LBB58_109:
	v_or_b32_e32 v5, 32, v4
	s_ashr_i32 s9, s8, 31
	v_mad_u32_u24 v8, v9, 33, v4
	s_lshl_b64 s[6:7], s[8:9], 4
	v_cmp_le_i32_e64 s4, s8, v9
	v_lshlrev_b32_e32 v6, 4, v5
	s_delay_alu instid0(VALU_DEP_3) | instskip(NEXT) | instid1(VALU_DEP_2)
	v_lshlrev_b32_e32 v15, 4, v8
	v_sub_co_u32 v6, vcc_lo, v40, v6
	v_subrev_co_ci_u32_e32 v7, vcc_lo, 0, v41, vcc_lo
	s_delay_alu instid0(VALU_DEP_2) | instskip(NEXT) | instid1(VALU_DEP_2)
	v_add_co_u32 v6, vcc_lo, v6, s6
	v_add_co_ci_u32_e32 v7, vcc_lo, s7, v7, vcc_lo
	s_delay_alu instid0(VALU_DEP_2) | instskip(NEXT) | instid1(VALU_DEP_2)
	v_add_co_u32 v10, vcc_lo, v6, -16
	v_add_co_ci_u32_e32 v6, vcc_lo, -1, v7, vcc_lo
	v_cmp_gt_i32_e32 vcc_lo, s8, v5
	s_delay_alu instid0(VALU_DEP_3) | instskip(NEXT) | instid1(VALU_DEP_3)
	v_cndmask_b32_e32 v5, v10, v40, vcc_lo
	v_cndmask_b32_e32 v6, v6, v41, vcc_lo
	s_and_saveexec_b32 s5, s4
	s_delay_alu instid0(SALU_CYCLE_1)
	s_xor_b32 s4, exec_lo, s5
	s_cbranch_execz .LBB58_111
; %bb.110:
	v_mov_b32_e32 v16, 0
	s_delay_alu instid0(VALU_DEP_1)
	v_mov_b32_e32 v17, v16
	v_mov_b32_e32 v18, v16
	v_mov_b32_e32 v19, v16
	ds_store_b128 v15, v[16:19]
.LBB58_111:
	s_and_not1_saveexec_b32 s4, s4
	s_cbranch_execz .LBB58_113
; %bb.112:
	flat_load_b128 v[16:19], v[5:6]
	s_waitcnt vmcnt(0) lgkmcnt(0)
	ds_store_2addr_b64 v15, v[16:17], v[18:19] offset1:1
.LBB58_113:
	s_or_b32 exec_lo, exec_lo, s4
	v_add_nc_u32_e32 v7, 8, v9
	s_delay_alu instid0(VALU_DEP_1) | instskip(NEXT) | instid1(VALU_DEP_1)
	v_cmp_le_i32_e64 s4, s8, v7
	s_and_saveexec_b32 s5, s4
	s_delay_alu instid0(SALU_CYCLE_1)
	s_xor_b32 s4, exec_lo, s5
	s_cbranch_execz .LBB58_115
; %bb.114:
	v_mul_u32_u24_e32 v10, 33, v7
	v_mov_b32_e32 v16, 0
	s_delay_alu instid0(VALU_DEP_2) | instskip(NEXT) | instid1(VALU_DEP_2)
	v_add_lshl_u32 v10, v10, v4, 4
	v_mov_b32_e32 v17, v16
	v_mov_b32_e32 v18, v16
	;; [unrolled: 1-line block ×3, first 2 shown]
	ds_store_b128 v10, v[16:19]
.LBB58_115:
	s_and_not1_saveexec_b32 s5, s4
	s_cbranch_execz .LBB58_117
; %bb.116:
	s_lshl_b32 s22, s10, 3
	s_delay_alu instid0(SALU_CYCLE_1) | instskip(NEXT) | instid1(SALU_CYCLE_1)
	s_ashr_i32 s23, s22, 31
	s_lshl_b64 s[22:23], s[22:23], 4
	s_delay_alu instid0(SALU_CYCLE_1) | instskip(NEXT) | instid1(VALU_DEP_1)
	v_add_co_u32 v10, s4, v5, s22
	v_add_co_ci_u32_e64 v11, s4, s23, v6, s4
	flat_load_b128 v[16:19], v[10:11]
	v_add_nc_u32_e32 v10, 0x1080, v15
	s_waitcnt vmcnt(0) lgkmcnt(0)
	ds_store_2addr_b64 v10, v[16:17], v[18:19] offset1:1
.LBB58_117:
	s_or_b32 exec_lo, exec_lo, s5
	v_add_nc_u32_e32 v10, 16, v9
	s_delay_alu instid0(VALU_DEP_1) | instskip(NEXT) | instid1(VALU_DEP_1)
	v_cmp_le_i32_e64 s4, s8, v10
	s_and_saveexec_b32 s5, s4
	s_delay_alu instid0(SALU_CYCLE_1)
	s_xor_b32 s4, exec_lo, s5
	s_cbranch_execz .LBB58_119
; %bb.118:
	v_mul_u32_u24_e32 v11, 33, v10
	v_mov_b32_e32 v16, 0
	s_delay_alu instid0(VALU_DEP_2) | instskip(NEXT) | instid1(VALU_DEP_2)
	v_add_lshl_u32 v11, v11, v4, 4
	v_mov_b32_e32 v17, v16
	v_mov_b32_e32 v18, v16
	;; [unrolled: 1-line block ×3, first 2 shown]
	ds_store_b128 v11, v[16:19]
.LBB58_119:
	s_and_not1_saveexec_b32 s5, s4
	s_cbranch_execz .LBB58_121
; %bb.120:
	s_lshl_b32 s22, s10, 4
	v_add_nc_u32_e32 v11, 0x2100, v15
	s_ashr_i32 s23, s22, 31
	s_delay_alu instid0(SALU_CYCLE_1) | instskip(NEXT) | instid1(SALU_CYCLE_1)
	s_lshl_b64 s[22:23], s[22:23], 4
	v_add_co_u32 v16, s4, v5, s22
	s_delay_alu instid0(VALU_DEP_1)
	v_add_co_ci_u32_e64 v17, s4, s23, v6, s4
	flat_load_b128 v[16:19], v[16:17]
	s_waitcnt vmcnt(0) lgkmcnt(0)
	ds_store_2addr_b64 v11, v[16:17], v[18:19] offset1:1
.LBB58_121:
	s_or_b32 exec_lo, exec_lo, s5
	v_add_nc_u32_e32 v11, 24, v9
                                        ; implicit-def: $vgpr14
	s_delay_alu instid0(VALU_DEP_1) | instskip(NEXT) | instid1(VALU_DEP_1)
	v_cmp_le_i32_e64 s4, s8, v11
	s_and_saveexec_b32 s5, s4
	s_delay_alu instid0(SALU_CYCLE_1)
	s_xor_b32 s4, exec_lo, s5
	s_cbranch_execz .LBB58_123
; %bb.122:
	v_mad_u32_u24 v14, v11, 33, v4
	v_mov_b32_e32 v15, 0
	s_delay_alu instid0(VALU_DEP_1)
	v_dual_mov_b32 v16, v15 :: v_dual_lshlrev_b32 v19, 4, v14
	v_mov_b32_e32 v17, v15
	v_mov_b32_e32 v18, v15
	ds_store_b128 v19, v[15:18]
                                        ; implicit-def: $vgpr15
.LBB58_123:
	s_and_not1_saveexec_b32 s5, s4
	s_cbranch_execz .LBB58_125
; %bb.124:
	s_mul_i32 s22, s10, 24
	v_add_nc_u32_e32 v15, 0x3180, v15
	s_ashr_i32 s23, s22, 31
	v_add_nc_u32_e32 v14, 0x318, v8
	s_lshl_b64 s[22:23], s[22:23], 4
	s_delay_alu instid0(SALU_CYCLE_1) | instskip(NEXT) | instid1(VALU_DEP_1)
	v_add_co_u32 v16, s4, v5, s22
	v_add_co_ci_u32_e64 v17, s4, s23, v6, s4
	flat_load_b128 v[16:19], v[16:17]
	s_waitcnt vmcnt(0) lgkmcnt(0)
	ds_store_2addr_b64 v15, v[16:17], v[18:19] offset1:1
.LBB58_125:
	s_or_b32 exec_lo, exec_lo, s5
	v_lshlrev_b32_e32 v4, 4, v4
	s_delay_alu instid0(VALU_DEP_1) | instskip(NEXT) | instid1(VALU_DEP_1)
	v_add_co_u32 v4, s4, v5, v4
	v_add_co_ci_u32_e64 v5, s4, 0, v6, s4
	v_add_nc_u32_e32 v6, 0x108, v8
	s_delay_alu instid0(VALU_DEP_3) | instskip(NEXT) | instid1(VALU_DEP_1)
	v_sub_co_u32 v4, s4, v4, s6
	v_subrev_co_ci_u32_e64 v5, s4, s7, v5, s4
	s_delay_alu instid0(VALU_DEP_2) | instskip(NEXT) | instid1(VALU_DEP_1)
	v_add_co_u32 v4, s4, 0x210, v4
	v_add_co_ci_u32_e64 v5, s4, 0, v5, s4
	s_delay_alu instid0(VALU_DEP_1)
	v_dual_cndmask_b32 v40, v4, v40 :: v_dual_cndmask_b32 v41, v5, v41
	v_add_nc_u32_e32 v5, 0x210, v8
.LBB58_126:
	v_lshlrev_b32_e32 v4, 4, v9
	v_lshlrev_b32_e32 v8, 4, v8
	s_waitcnt lgkmcnt(0)
	s_barrier
	buffer_gl0_inv
	ds_load_b128 v[15:18], v4 offset:18176
	ds_load_b128 v[19:22], v8
	v_lshlrev_b32_e32 v4, 4, v7
	v_lshlrev_b32_e32 v5, 4, v5
	s_waitcnt lgkmcnt(0)
	v_mul_f64 v[25:26], v[17:18], v[21:22]
	v_mul_f64 v[27:28], v[15:16], v[21:22]
	v_lshlrev_b32_e32 v21, 4, v6
	ds_load_b128 v[6:9], v4 offset:18176
	ds_load_b128 v[21:24], v21
	v_lshlrev_b32_e32 v4, 4, v10
	s_waitcnt lgkmcnt(0)
	v_mul_f64 v[29:30], v[8:9], v[23:24]
	v_mul_f64 v[31:32], v[6:7], v[23:24]
	v_fma_f64 v[33:34], v[15:16], v[19:20], -v[25:26]
	v_fma_f64 v[19:20], v[17:18], v[19:20], v[27:28]
	ds_load_b128 v[15:18], v4 offset:18176
	ds_load_b128 v[23:26], v5
	v_lshlrev_b32_e32 v4, 4, v11
	s_waitcnt lgkmcnt(0)
	v_mul_f64 v[27:28], v[17:18], v[25:26]
	v_mul_f64 v[25:26], v[15:16], v[25:26]
	v_fma_f64 v[29:30], v[6:7], v[21:22], -v[29:30]
	v_fma_f64 v[21:22], v[8:9], v[21:22], v[31:32]
	v_lshlrev_b32_e32 v8, 4, v14
	ds_load_b128 v[4:7], v4 offset:18176
	ds_load_b128 v[8:11], v8
	v_add_f64 v[31:32], v[33:34], 0
	v_add_f64 v[19:20], v[19:20], 0
	s_waitcnt lgkmcnt(0)
	v_mul_f64 v[33:34], v[6:7], v[10:11]
	v_mul_f64 v[10:11], v[4:5], v[10:11]
	v_fma_f64 v[14:15], v[15:16], v[23:24], -v[27:28]
	v_fma_f64 v[16:17], v[17:18], v[23:24], v[25:26]
	v_add_f64 v[23:24], v[31:32], v[29:30]
	v_add_f64 v[18:19], v[19:20], v[21:22]
	v_fma_f64 v[4:5], v[4:5], v[8:9], -v[33:34]
	v_fma_f64 v[6:7], v[6:7], v[8:9], v[10:11]
	s_delay_alu instid0(VALU_DEP_4) | instskip(NEXT) | instid1(VALU_DEP_4)
	v_add_f64 v[8:9], v[23:24], v[14:15]
	v_add_f64 v[10:11], v[18:19], v[16:17]
	s_delay_alu instid0(VALU_DEP_2) | instskip(NEXT) | instid1(VALU_DEP_2)
	v_add_f64 v[46:47], v[8:9], v[4:5]
	v_add_f64 v[48:49], v[10:11], v[6:7]
	ds_load_b128 v[28:31], v12
	ds_load_b128 v[20:23], v12 offset:16
	ds_load_b128 v[8:11], v12 offset:32
	;; [unrolled: 1-line block ×7, first 2 shown]
	s_waitcnt lgkmcnt(0)
	s_barrier
	buffer_gl0_inv
	ds_store_b128 v45, v[46:49]
	s_waitcnt lgkmcnt(0)
	s_barrier
	buffer_gl0_inv
	s_and_saveexec_b32 s4, s1
	s_cbranch_execz .LBB58_128
; %bb.127:
	v_lshlrev_b32_e32 v54, 4, v44
	ds_load_b128 v[46:49], v54
	ds_load_b128 v[50:53], v54 offset:16
	s_waitcnt lgkmcnt(1)
	v_add_f64 v[0:1], v[0:1], v[46:47]
	v_add_f64 v[2:3], v[2:3], v[48:49]
	s_waitcnt lgkmcnt(0)
	s_delay_alu instid0(VALU_DEP_2) | instskip(NEXT) | instid1(VALU_DEP_2)
	v_add_f64 v[50:51], v[0:1], v[50:51]
	v_add_f64 v[52:53], v[2:3], v[52:53]
	ds_load_b128 v[0:3], v54 offset:32
	ds_load_b128 v[46:49], v54 offset:48
	s_waitcnt lgkmcnt(1)
	v_add_f64 v[0:1], v[50:51], v[0:1]
	v_add_f64 v[2:3], v[52:53], v[2:3]
	s_waitcnt lgkmcnt(0)
	s_delay_alu instid0(VALU_DEP_2) | instskip(NEXT) | instid1(VALU_DEP_2)
	v_add_f64 v[50:51], v[0:1], v[46:47]
	v_add_f64 v[52:53], v[2:3], v[48:49]
	ds_load_b128 v[0:3], v54 offset:64
	;; [unrolled: 9-line block ×3, first 2 shown]
	ds_load_b128 v[46:49], v54 offset:112
	s_waitcnt lgkmcnt(1)
	v_add_f64 v[0:1], v[50:51], v[0:1]
	v_add_f64 v[2:3], v[52:53], v[2:3]
	s_waitcnt lgkmcnt(0)
	s_delay_alu instid0(VALU_DEP_2) | instskip(NEXT) | instid1(VALU_DEP_2)
	v_add_f64 v[0:1], v[0:1], v[46:47]
	v_add_f64 v[2:3], v[2:3], v[48:49]
.LBB58_128:
	s_or_b32 exec_lo, exec_lo, s4
	v_mul_f64 v[46:47], v[30:31], v[34:35]
	v_mul_f64 v[30:31], v[30:31], v[32:33]
	;; [unrolled: 1-line block ×4, first 2 shown]
	s_barrier
	buffer_gl0_inv
	v_fma_f64 v[32:33], v[28:29], v[32:33], v[46:47]
	v_fma_f64 v[28:29], v[28:29], v[34:35], -v[30:31]
	v_mul_f64 v[30:31], v[10:11], v[18:19]
	v_mul_f64 v[10:11], v[10:11], v[16:17]
	v_fma_f64 v[24:25], v[20:21], v[24:25], v[48:49]
	v_fma_f64 v[20:21], v[20:21], v[26:27], -v[22:23]
	v_add_f64 v[22:23], v[32:33], 0
	v_add_f64 v[26:27], v[28:29], 0
	v_mul_f64 v[28:29], v[6:7], v[14:15]
	v_mul_f64 v[6:7], v[6:7], v[12:13]
	v_fma_f64 v[16:17], v[8:9], v[16:17], v[30:31]
	v_fma_f64 v[8:9], v[8:9], v[18:19], -v[10:11]
	v_add_f64 v[10:11], v[22:23], v[24:25]
	v_add_f64 v[18:19], v[26:27], v[20:21]
	v_fma_f64 v[12:13], v[4:5], v[12:13], v[28:29]
	v_fma_f64 v[6:7], v[4:5], v[14:15], -v[6:7]
	s_delay_alu instid0(VALU_DEP_4) | instskip(NEXT) | instid1(VALU_DEP_4)
	v_add_f64 v[4:5], v[10:11], v[16:17]
	v_add_f64 v[8:9], v[18:19], v[8:9]
	s_delay_alu instid0(VALU_DEP_2) | instskip(NEXT) | instid1(VALU_DEP_2)
	v_add_f64 v[4:5], v[4:5], v[12:13]
	v_add_f64 v[6:7], v[8:9], v[6:7]
	ds_store_b128 v45, v[4:7]
	s_waitcnt lgkmcnt(0)
	s_barrier
	buffer_gl0_inv
	s_and_saveexec_b32 s1, s0
	s_cbranch_execz .LBB58_130
; %bb.129:
	v_lshlrev_b32_e32 v12, 4, v44
	ds_load_b128 v[4:7], v12
	ds_load_b128 v[8:11], v12 offset:16
	s_waitcnt lgkmcnt(1)
	v_add_f64 v[0:1], v[0:1], v[4:5]
	v_add_f64 v[2:3], v[2:3], v[6:7]
	s_waitcnt lgkmcnt(0)
	s_delay_alu instid0(VALU_DEP_2) | instskip(NEXT) | instid1(VALU_DEP_2)
	v_add_f64 v[8:9], v[0:1], v[8:9]
	v_add_f64 v[10:11], v[2:3], v[10:11]
	ds_load_b128 v[0:3], v12 offset:32
	ds_load_b128 v[4:7], v12 offset:48
	s_waitcnt lgkmcnt(1)
	v_add_f64 v[0:1], v[8:9], v[0:1]
	v_add_f64 v[2:3], v[10:11], v[2:3]
	s_waitcnt lgkmcnt(0)
	s_delay_alu instid0(VALU_DEP_2) | instskip(NEXT) | instid1(VALU_DEP_2)
	v_add_f64 v[8:9], v[0:1], v[4:5]
	v_add_f64 v[10:11], v[2:3], v[6:7]
	ds_load_b128 v[0:3], v12 offset:64
	;; [unrolled: 9-line block ×3, first 2 shown]
	ds_load_b128 v[4:7], v12 offset:112
	s_waitcnt lgkmcnt(1)
	v_add_f64 v[0:1], v[8:9], v[0:1]
	v_add_f64 v[2:3], v[10:11], v[2:3]
	s_waitcnt lgkmcnt(0)
	s_delay_alu instid0(VALU_DEP_2) | instskip(NEXT) | instid1(VALU_DEP_2)
	v_add_f64 v[0:1], v[0:1], v[4:5]
	v_add_f64 v[2:3], v[2:3], v[6:7]
.LBB58_130:
	s_or_b32 exec_lo, exec_lo, s1
	s_mul_hi_u32 s0, s15, s12
	s_mul_i32 s27, s27, s12
	s_mul_i32 s1, s15, s12
	s_add_i32 s0, s0, s27
	s_mul_hi_u32 s5, s1, s26
	s_mul_i32 s4, s0, s26
	s_mul_i32 s0, s1, s26
	s_add_i32 s1, s5, s4
	s_mul_i32 s4, s14, s15
	s_lshl_b64 s[0:1], s[0:1], 4
	v_cmp_le_i32_e32 vcc_lo, s8, v42
	s_add_u32 s6, s16, s0
	s_addc_u32 s7, s17, s1
	s_ashr_i32 s5, s4, 31
	v_lshlrev_b32_e32 v150, 4, v42
	s_lshl_b64 s[0:1], s[4:5], 4
	s_delay_alu instid0(SALU_CYCLE_1)
	s_add_u32 s12, s6, s0
	s_addc_u32 s15, s7, s1
	s_and_b32 vcc_lo, s19, vcc_lo
	s_cmp_lt_i32 s14, 1
	s_barrier
	buffer_gl0_inv
	s_cbranch_scc1 .LBB58_137
; %bb.131:
	v_mul_lo_u32 v4, v149, s10
	v_sub_co_u32 v7, s0, v40, s20
	s_delay_alu instid0(VALU_DEP_1) | instskip(SKIP_1) | instid1(VALU_DEP_2)
	v_subrev_co_ci_u32_e64 v8, s0, s21, v41, s0
	s_ashr_i32 s9, s8, 31
	v_sub_co_u32 v7, s0, v7, v38
	s_delay_alu instid0(VALU_DEP_4) | instskip(NEXT) | instid1(VALU_DEP_3)
	v_lshl_add_u32 v4, v4, 2, v42
	v_sub_co_ci_u32_e64 v8, s0, v8, v39, s0
	s_lshl_b64 s[6:7], s[8:9], 4
	v_lshlrev_b32_e32 v10, 2, v43
	s_delay_alu instid0(VALU_DEP_3) | instskip(SKIP_3) | instid1(VALU_DEP_2)
	v_ashrrev_i32_e32 v5, 31, v4
	s_mul_i32 s4, s18, s13
	v_dual_mov_b32 v146, 0 :: v_dual_add_nc_u32 v151, 0x4300, v150
	s_ashr_i32 s5, s4, 31
	v_lshlrev_b64 v[4:5], 4, v[4:5]
	s_lshl_b64 s[4:5], s[4:5], 4
	v_add_nc_u32_e32 v154, 0x4700, v150
	v_lshl_add_u32 v158, v149, 6, 0x4300
	v_mad_u32_u24 v159, 0x10c0, v149, v150
	s_ashr_i32 s11, s10, 31
	v_add_co_u32 v4, s0, v7, v4
	s_delay_alu instid0(VALU_DEP_1) | instskip(SKIP_1) | instid1(VALU_DEP_2)
	v_add_co_ci_u32_e64 v5, s0, v8, v5, s0
	s_lshl_b32 s13, s13, 6
	v_add_co_u32 v4, s0, 0xfffffe00, v4
	s_delay_alu instid0(VALU_DEP_1) | instskip(SKIP_1) | instid1(VALU_DEP_2)
	v_add_co_ci_u32_e64 v5, s0, -1, v5, s0
	s_mul_hi_i32 s8, s10, 0xd0
	v_sub_co_u32 v7, s0, v4, v150
	s_delay_alu instid0(VALU_DEP_1) | instskip(SKIP_1) | instid1(VALU_DEP_2)
	v_subrev_co_ci_u32_e64 v8, s0, 0, v5, s0
	s_mul_i32 s9, s10, 0xd0
	v_add_co_u32 v7, s0, v7, s6
	s_delay_alu instid0(VALU_DEP_1) | instskip(SKIP_1) | instid1(VALU_DEP_2)
	v_add_co_ci_u32_e64 v8, s0, s7, v8, s0
	s_mov_b32 s6, 0
	v_add_co_u32 v7, s0, v7, -16
	v_and_b32_e32 v9, 48, v42
	s_delay_alu instid0(VALU_DEP_3) | instskip(NEXT) | instid1(VALU_DEP_3)
	v_add_co_ci_u32_e64 v8, s0, -1, v8, s0
	v_cndmask_b32_e32 v4, v4, v7, vcc_lo
	v_and_b32_e32 v6, 15, v42
	v_or_b32_e32 v7, 0xf0, v150
	s_delay_alu instid0(VALU_DEP_4)
	v_cndmask_b32_e32 v5, v5, v8, vcc_lo
	v_lshlrev_b32_e32 v11, 4, v9
	v_and_b32_e32 v8, 0x7ffc0, v10
	v_sub_co_u32 v152, s0, v36, s4
	v_mad_u32_u24 v156, 0x430, v6, v7
	v_and_b32_e32 v7, 0x1fff0, v43
	v_subrev_co_ci_u32_e64 v153, s0, s5, v37, s0
	v_cmp_gt_u32_e64 s0, 64, v43
	v_mad_u32_u24 v155, 0x430, v6, v11
	v_mad_u32_u24 v157, 0x430, v6, v8
	;; [unrolled: 1-line block ×3, first 2 shown]
	v_or_b32_e32 v145, v9, v6
	s_lshl_b64 s[4:5], s[10:11], 4
	s_branch .LBB58_133
.LBB58_132:                             ;   in Loop: Header=BB58_133 Depth=1
	s_or_b32 exec_lo, exec_lo, s7
	v_mul_f64 v[108:109], v[10:11], v[38:39]
	v_mul_f64 v[38:39], v[8:9], v[38:39]
	;; [unrolled: 1-line block ×4, first 2 shown]
	v_add_nc_u32_e32 v145, 64, v145
	s_add_i32 s14, s14, -1
	s_add_i32 s6, s6, s13
	s_cmp_eq_u32 s14, 0
	s_waitcnt_vscnt null, 0x0
	s_barrier
	buffer_gl0_inv
	v_fma_f64 v[8:9], v[8:9], v[36:37], -v[108:109]
	v_fma_f64 v[10:11], v[10:11], v[36:37], v[38:39]
	v_mul_f64 v[36:37], v[14:15], v[46:47]
	v_mul_f64 v[38:39], v[12:13], v[46:47]
	v_fma_f64 v[16:17], v[16:17], v[48:49], -v[110:111]
	v_fma_f64 v[18:19], v[18:19], v[48:49], v[50:51]
	v_add_f64 v[0:1], v[0:1], v[8:9]
	v_add_f64 v[2:3], v[2:3], v[10:11]
	v_mul_f64 v[8:9], v[6:7], v[42:43]
	v_mul_f64 v[10:11], v[4:5], v[42:43]
	v_fma_f64 v[12:13], v[12:13], v[44:45], -v[36:37]
	v_fma_f64 v[14:15], v[14:15], v[44:45], v[38:39]
	v_add_f64 v[0:1], v[0:1], v[16:17]
	v_add_f64 v[2:3], v[2:3], v[18:19]
	v_mul_f64 v[16:17], v[34:35], v[74:75]
	v_mul_f64 v[18:19], v[32:33], v[74:75]
	v_fma_f64 v[4:5], v[4:5], v[40:41], -v[8:9]
	v_fma_f64 v[6:7], v[6:7], v[40:41], v[10:11]
	v_mul_f64 v[8:9], v[30:31], v[82:83]
	v_mul_f64 v[10:11], v[28:29], v[82:83]
	v_add_f64 v[0:1], v[0:1], v[12:13]
	v_add_f64 v[2:3], v[2:3], v[14:15]
	v_fma_f64 v[12:13], v[32:33], v[72:73], -v[16:17]
	v_fma_f64 v[14:15], v[34:35], v[72:73], v[18:19]
	v_fma_f64 v[8:9], v[28:29], v[80:81], -v[8:9]
	v_fma_f64 v[10:11], v[30:31], v[80:81], v[10:11]
	v_add_f64 v[0:1], v[0:1], v[4:5]
	v_add_f64 v[2:3], v[2:3], v[6:7]
	v_mul_f64 v[4:5], v[26:27], v[78:79]
	v_mul_f64 v[6:7], v[24:25], v[78:79]
	s_delay_alu instid0(VALU_DEP_4) | instskip(NEXT) | instid1(VALU_DEP_4)
	v_add_f64 v[0:1], v[0:1], v[12:13]
	v_add_f64 v[2:3], v[2:3], v[14:15]
	v_mul_f64 v[12:13], v[22:23], v[70:71]
	v_mul_f64 v[14:15], v[20:21], v[70:71]
	v_fma_f64 v[4:5], v[24:25], v[76:77], -v[4:5]
	v_fma_f64 v[6:7], v[26:27], v[76:77], v[6:7]
	v_add_f64 v[0:1], v[0:1], v[8:9]
	v_add_f64 v[2:3], v[2:3], v[10:11]
	v_mul_f64 v[8:9], v[66:67], v[102:103]
	v_mul_f64 v[10:11], v[64:65], v[102:103]
	v_fma_f64 v[12:13], v[20:21], v[68:69], -v[12:13]
	v_fma_f64 v[14:15], v[22:23], v[68:69], v[14:15]
	;; [unrolled: 6-line block ×9, first 2 shown]
	v_add_f64 v[0:1], v[0:1], v[12:13]
	v_add_f64 v[2:3], v[2:3], v[14:15]
	v_fma_f64 v[4:5], v[120:121], v[128:129], -v[4:5]
	v_fma_f64 v[6:7], v[122:123], v[128:129], v[6:7]
	s_delay_alu instid0(VALU_DEP_4) | instskip(NEXT) | instid1(VALU_DEP_4)
	v_add_f64 v[0:1], v[0:1], v[8:9]
	v_add_f64 v[2:3], v[2:3], v[10:11]
	s_delay_alu instid0(VALU_DEP_2) | instskip(NEXT) | instid1(VALU_DEP_2)
	v_add_f64 v[0:1], v[0:1], v[4:5]
	v_add_f64 v[2:3], v[2:3], v[6:7]
	v_add_co_u32 v4, s1, v147, s9
	s_delay_alu instid0(VALU_DEP_1)
	v_add_co_ci_u32_e64 v5, s1, s8, v148, s1
	s_cbranch_scc1 .LBB58_137
.LBB58_133:                             ; =>This Inner Loop Header: Depth=1
	s_and_saveexec_b32 s10, s3
	s_cbranch_execz .LBB58_135
; %bb.134:                              ;   in Loop: Header=BB58_133 Depth=1
	s_ashr_i32 s7, s6, 31
	s_delay_alu instid0(SALU_CYCLE_1) | instskip(NEXT) | instid1(SALU_CYCLE_1)
	s_lshl_b64 s[16:17], s[6:7], 4
	v_add_co_u32 v6, s1, v152, s16
	s_delay_alu instid0(VALU_DEP_1)
	v_add_co_ci_u32_e64 v7, s1, s17, v153, s1
	flat_load_b128 v[6:9], v[6:7]
	s_waitcnt vmcnt(0) lgkmcnt(0)
	ds_store_2addr_b64 v151, v[6:7], v[8:9] offset1:1
.LBB58_135:                             ;   in Loop: Header=BB58_133 Depth=1
	s_or_b32 exec_lo, exec_lo, s10
	v_add_co_u32 v6, s1, v4, s4
	s_delay_alu instid0(VALU_DEP_1) | instskip(SKIP_1) | instid1(VALU_DEP_2)
	v_add_co_ci_u32_e64 v7, s1, s5, v5, s1
	s_waitcnt lgkmcnt(0)
	v_add_co_u32 v12, s1, v6, s4
	s_delay_alu instid0(VALU_DEP_1) | instskip(SKIP_1) | instid1(VALU_DEP_2)
	v_add_co_ci_u32_e64 v13, s1, s5, v7, s1
	s_barrier
	v_add_co_u32 v40, s1, v12, s4
	buffer_gl0_inv
	flat_load_b128 v[8:11], v[4:5]
	v_add_co_ci_u32_e64 v41, s1, s5, v13, s1
	s_clause 0x2
	flat_load_b128 v[16:19], v[6:7]
	flat_load_b128 v[12:15], v[12:13]
	;; [unrolled: 1-line block ×3, first 2 shown]
	ds_load_b128 v[20:23], v154
	ds_load_b128 v[36:39], v158
	v_add_co_u32 v52, s1, v40, s9
	s_delay_alu instid0(VALU_DEP_1) | instskip(NEXT) | instid1(VALU_DEP_2)
	v_add_co_ci_u32_e64 v53, s1, s8, v41, s1
	v_add_co_u32 v54, s1, v52, s4
	s_delay_alu instid0(VALU_DEP_1) | instskip(NEXT) | instid1(VALU_DEP_2)
	v_add_co_ci_u32_e64 v55, s1, s5, v53, s1
	v_add_co_u32 v56, s1, v54, s4
	s_delay_alu instid0(VALU_DEP_1) | instskip(NEXT) | instid1(VALU_DEP_2)
	v_add_co_ci_u32_e64 v57, s1, s5, v55, s1
	v_add_co_u32 v68, s1, v56, s4
	s_delay_alu instid0(VALU_DEP_1) | instskip(NEXT) | instid1(VALU_DEP_2)
	v_add_co_ci_u32_e64 v69, s1, s5, v57, s1
	v_add_co_u32 v84, s1, v68, s9
	s_delay_alu instid0(VALU_DEP_1) | instskip(NEXT) | instid1(VALU_DEP_2)
	v_add_co_ci_u32_e64 v85, s1, s8, v69, s1
	v_add_co_u32 v86, s1, v84, s4
	s_delay_alu instid0(VALU_DEP_1) | instskip(NEXT) | instid1(VALU_DEP_2)
	v_add_co_ci_u32_e64 v87, s1, s5, v85, s1
	v_add_co_u32 v88, s1, v86, s4
	s_delay_alu instid0(VALU_DEP_1) | instskip(NEXT) | instid1(VALU_DEP_2)
	v_add_co_ci_u32_e64 v89, s1, s5, v87, s1
	v_add_co_u32 v104, s1, v88, s4
	s_delay_alu instid0(VALU_DEP_1) | instskip(NEXT) | instid1(VALU_DEP_2)
	v_add_co_ci_u32_e64 v105, s1, s5, v89, s1
	v_add_co_u32 v120, s1, v104, s9
	s_delay_alu instid0(VALU_DEP_1) | instskip(NEXT) | instid1(VALU_DEP_2)
	v_add_co_ci_u32_e64 v121, s1, s8, v105, s1
	v_add_co_u32 v122, s1, v120, s4
	s_delay_alu instid0(VALU_DEP_1) | instskip(NEXT) | instid1(VALU_DEP_2)
	v_add_co_ci_u32_e64 v123, s1, s5, v121, s1
	v_add_co_u32 v136, s1, v122, s4
	s_delay_alu instid0(VALU_DEP_1) | instskip(NEXT) | instid1(VALU_DEP_2)
	v_add_co_ci_u32_e64 v137, s1, s5, v123, s1
	v_add_co_u32 v147, s1, v136, s4
	s_delay_alu instid0(VALU_DEP_1)
	v_add_co_ci_u32_e64 v148, s1, s5, v137, s1
	s_waitcnt vmcnt(3) lgkmcnt(1)
	v_mul_f64 v[24:25], v[10:11], v[22:23]
	v_mul_f64 v[26:27], v[10:11], v[20:21]
	s_waitcnt vmcnt(2)
	v_mul_f64 v[28:29], v[18:19], v[22:23]
	v_mul_f64 v[30:31], v[18:19], v[20:21]
	s_waitcnt vmcnt(1)
	;; [unrolled: 3-line block ×3, first 2 shown]
	v_mul_f64 v[42:43], v[6:7], v[22:23]
	v_mul_f64 v[44:45], v[6:7], v[20:21]
	v_fma_f64 v[24:25], v[8:9], v[20:21], v[24:25]
	v_fma_f64 v[26:27], v[8:9], v[22:23], -v[26:27]
	v_fma_f64 v[28:29], v[16:17], v[20:21], v[28:29]
	v_fma_f64 v[30:31], v[16:17], v[22:23], -v[30:31]
	;; [unrolled: 2-line block ×4, first 2 shown]
	ds_store_b128 v159, v[24:27]
	ds_load_b128 v[48:51], v158 offset:16
	ds_store_b128 v159, v[28:31] offset:1072
	ds_load_b128 v[44:47], v158 offset:32
	ds_store_b128 v159, v[32:35] offset:2144
	;; [unrolled: 2-line block ×3, first 2 shown]
	s_waitcnt lgkmcnt(0)
	s_barrier
	buffer_gl0_inv
	ds_load_b128 v[128:131], v157
	ds_load_b128 v[140:143], v157 offset:16
	ds_load_b128 v[116:119], v157 offset:32
	;; [unrolled: 1-line block ×3, first 2 shown]
	s_waitcnt lgkmcnt(0)
	s_barrier
	buffer_gl0_inv
	s_clause 0x2
	flat_load_b128 v[32:35], v[52:53]
	flat_load_b128 v[28:31], v[54:55]
	;; [unrolled: 1-line block ×4, first 2 shown]
	ds_load_b128 v[52:55], v154
	ds_load_b128 v[72:75], v158 offset:256
	v_add_f64 v[205:206], v[128:129], 0
	v_add_f64 v[207:208], v[130:131], 0
	s_waitcnt vmcnt(2) lgkmcnt(1)
	v_mul_f64 v[60:61], v[30:31], v[54:55]
	v_mul_f64 v[56:57], v[34:35], v[54:55]
	;; [unrolled: 1-line block ×4, first 2 shown]
	s_waitcnt vmcnt(1)
	v_mul_f64 v[64:65], v[26:27], v[54:55]
	v_mul_f64 v[66:67], v[26:27], v[52:53]
	s_waitcnt vmcnt(0)
	v_mul_f64 v[70:71], v[22:23], v[54:55]
	v_mul_f64 v[76:77], v[22:23], v[52:53]
	v_fma_f64 v[60:61], v[28:29], v[52:53], v[60:61]
	v_fma_f64 v[56:57], v[32:33], v[52:53], v[56:57]
	v_fma_f64 v[58:59], v[32:33], v[54:55], -v[58:59]
	v_fma_f64 v[62:63], v[28:29], v[54:55], -v[62:63]
	v_fma_f64 v[64:65], v[24:25], v[52:53], v[64:65]
	v_fma_f64 v[66:67], v[24:25], v[54:55], -v[66:67]
	v_fma_f64 v[52:53], v[20:21], v[52:53], v[70:71]
	v_fma_f64 v[54:55], v[20:21], v[54:55], -v[76:77]
	ds_store_b128 v159, v[56:59]
	ds_load_b128 v[80:83], v158 offset:272
	ds_store_b128 v159, v[60:63] offset:1072
	ds_load_b128 v[76:79], v158 offset:288
	ds_store_b128 v159, v[64:67] offset:2144
	;; [unrolled: 2-line block ×3, first 2 shown]
	s_waitcnt lgkmcnt(0)
	s_barrier
	buffer_gl0_inv
	ds_load_b128 v[161:164], v157
	ds_load_b128 v[165:168], v157 offset:16
	ds_load_b128 v[169:172], v157 offset:32
	;; [unrolled: 1-line block ×3, first 2 shown]
	s_waitcnt lgkmcnt(0)
	s_barrier
	buffer_gl0_inv
	flat_load_b128 v[64:67], v[84:85]
	flat_load_b128 v[60:63], v[86:87]
	;; [unrolled: 1-line block ×4, first 2 shown]
	ds_load_b128 v[84:87], v154
	ds_load_b128 v[100:103], v158 offset:512
	v_add_f64 v[161:162], v[161:162], 0
	v_add_f64 v[163:164], v[163:164], 0
	s_delay_alu instid0(VALU_DEP_2) | instskip(NEXT) | instid1(VALU_DEP_2)
	v_add_f64 v[161:162], v[161:162], v[165:166]
	v_add_f64 v[163:164], v[163:164], v[167:168]
	s_delay_alu instid0(VALU_DEP_2) | instskip(NEXT) | instid1(VALU_DEP_2)
	v_add_f64 v[161:162], v[161:162], v[169:170]
	v_add_f64 v[163:164], v[163:164], v[171:172]
	s_waitcnt vmcnt(2) lgkmcnt(1)
	v_mul_f64 v[92:93], v[62:63], v[86:87]
	v_mul_f64 v[88:89], v[66:67], v[86:87]
	;; [unrolled: 1-line block ×4, first 2 shown]
	s_waitcnt vmcnt(1)
	v_mul_f64 v[96:97], v[58:59], v[86:87]
	v_mul_f64 v[98:99], v[58:59], v[84:85]
	s_waitcnt vmcnt(0)
	v_mul_f64 v[106:107], v[54:55], v[86:87]
	v_mul_f64 v[112:113], v[54:55], v[84:85]
	v_fma_f64 v[92:93], v[60:61], v[84:85], v[92:93]
	v_fma_f64 v[88:89], v[64:65], v[84:85], v[88:89]
	v_fma_f64 v[90:91], v[64:65], v[86:87], -v[90:91]
	v_fma_f64 v[94:95], v[60:61], v[86:87], -v[94:95]
	v_fma_f64 v[96:97], v[56:57], v[84:85], v[96:97]
	v_fma_f64 v[98:99], v[56:57], v[86:87], -v[98:99]
	v_fma_f64 v[84:85], v[52:53], v[84:85], v[106:107]
	v_fma_f64 v[86:87], v[52:53], v[86:87], -v[112:113]
	ds_store_b128 v159, v[88:91]
	ds_load_b128 v[112:115], v158 offset:528
	ds_store_b128 v159, v[92:95] offset:1072
	ds_load_b128 v[104:107], v158 offset:544
	ds_store_b128 v159, v[96:99] offset:2144
	;; [unrolled: 2-line block ×3, first 2 shown]
	s_waitcnt lgkmcnt(0)
	s_barrier
	buffer_gl0_inv
	ds_load_b128 v[177:180], v157
	ds_load_b128 v[181:184], v157 offset:16
	ds_load_b128 v[185:188], v157 offset:32
	;; [unrolled: 1-line block ×3, first 2 shown]
	s_waitcnt lgkmcnt(0)
	s_barrier
	buffer_gl0_inv
	flat_load_b128 v[88:91], v[120:121]
	flat_load_b128 v[84:87], v[122:123]
	;; [unrolled: 1-line block ×3, first 2 shown]
	ds_load_b128 v[132:135], v154
	ds_load_b128 v[124:127], v158 offset:768
	v_add_f64 v[177:178], v[177:178], 0
	v_add_f64 v[179:180], v[179:180], 0
	s_delay_alu instid0(VALU_DEP_2) | instskip(NEXT) | instid1(VALU_DEP_2)
	v_add_f64 v[165:166], v[177:178], v[181:182]
	v_add_f64 v[167:168], v[179:180], v[183:184]
	s_delay_alu instid0(VALU_DEP_2) | instskip(NEXT) | instid1(VALU_DEP_2)
	v_add_f64 v[165:166], v[165:166], v[185:186]
	v_add_f64 v[167:168], v[167:168], v[187:188]
	s_waitcnt vmcnt(2) lgkmcnt(1)
	v_mul_f64 v[120:121], v[90:91], v[134:135]
	v_mul_f64 v[122:123], v[90:91], v[132:133]
	s_waitcnt vmcnt(1)
	v_mul_f64 v[193:194], v[86:87], v[134:135]
	v_mul_f64 v[195:196], v[86:87], v[132:133]
	s_waitcnt vmcnt(0)
	v_mul_f64 v[197:198], v[94:95], v[134:135]
	v_mul_f64 v[199:200], v[94:95], v[132:133]
	v_fma_f64 v[136:137], v[88:89], v[132:133], v[120:121]
	v_fma_f64 v[138:139], v[88:89], v[134:135], -v[122:123]
	flat_load_b128 v[120:123], v[147:148]
	v_fma_f64 v[193:194], v[84:85], v[132:133], v[193:194]
	v_fma_f64 v[195:196], v[84:85], v[134:135], -v[195:196]
	v_fma_f64 v[197:198], v[92:93], v[132:133], v[197:198]
	v_fma_f64 v[199:200], v[92:93], v[134:135], -v[199:200]
	ds_store_b128 v159, v[136:139]
	ds_load_b128 v[136:139], v158 offset:784
	ds_store_b128 v159, v[193:196] offset:1072
	s_waitcnt vmcnt(0) lgkmcnt(3)
	v_mul_f64 v[201:202], v[122:123], v[134:135]
	v_mul_f64 v[203:204], v[122:123], v[132:133]
	s_delay_alu instid0(VALU_DEP_2) | instskip(NEXT) | instid1(VALU_DEP_2)
	v_fma_f64 v[201:202], v[120:121], v[132:133], v[201:202]
	v_fma_f64 v[203:204], v[120:121], v[134:135], -v[203:204]
	ds_load_b128 v[132:135], v158 offset:800
	ds_store_b128 v159, v[197:200] offset:2144
	ds_load_b128 v[128:131], v158 offset:816
	v_add_f64 v[197:198], v[205:206], v[140:141]
	v_add_f64 v[199:200], v[207:208], v[142:143]
	ds_store_b128 v159, v[201:204] offset:3216
	s_waitcnt lgkmcnt(0)
	s_barrier
	buffer_gl0_inv
	ds_load_b128 v[193:196], v157
	ds_load_b128 v[140:143], v157 offset:16
	v_add_f64 v[181:182], v[197:198], v[116:117]
	v_add_f64 v[183:184], v[199:200], v[118:119]
	ds_load_b128 v[116:119], v157 offset:48
	s_waitcnt lgkmcnt(2)
	v_add_f64 v[193:194], v[193:194], 0
	v_add_f64 v[195:196], v[195:196], 0
	;; [unrolled: 1-line block ×4, first 2 shown]
	s_waitcnt lgkmcnt(1)
	s_delay_alu instid0(VALU_DEP_4) | instskip(NEXT) | instid1(VALU_DEP_4)
	v_add_f64 v[177:178], v[193:194], v[140:141]
	v_add_f64 v[179:180], v[195:196], v[142:143]
	ds_load_b128 v[140:143], v157 offset:32
	s_waitcnt lgkmcnt(0)
	s_barrier
	buffer_gl0_inv
	v_add_f64 v[169:170], v[177:178], v[140:141]
	v_add_f64 v[171:172], v[179:180], v[142:143]
	;; [unrolled: 1-line block ×8, first 2 shown]
	ds_store_b128 v160, v[108:111]
	ds_store_b128 v160, v[140:143] offset:256
	ds_store_b128 v160, v[161:164] offset:512
	;; [unrolled: 1-line block ×3, first 2 shown]
	s_waitcnt lgkmcnt(0)
	s_barrier
	buffer_gl0_inv
	s_and_saveexec_b32 s7, s0
	s_cbranch_execz .LBB58_132
; %bb.136:                              ;   in Loop: Header=BB58_133 Depth=1
	ds_load_b128 v[108:111], v155
	ds_load_b128 v[116:119], v155 offset:16
	s_waitcnt lgkmcnt(0)
	v_add_f64 v[140:141], v[116:117], v[108:109]
	v_add_f64 v[142:143], v[118:119], v[110:111]
	ds_load_b128 v[108:111], v155 offset:32
	ds_load_b128 v[116:119], v155 offset:48
	s_waitcnt lgkmcnt(1)
	v_add_f64 v[108:109], v[140:141], v[108:109]
	v_add_f64 v[110:111], v[142:143], v[110:111]
	s_waitcnt lgkmcnt(0)
	s_delay_alu instid0(VALU_DEP_2) | instskip(NEXT) | instid1(VALU_DEP_2)
	v_add_f64 v[140:141], v[108:109], v[116:117]
	v_add_f64 v[142:143], v[110:111], v[118:119]
	ds_load_b128 v[108:111], v155 offset:64
	ds_load_b128 v[116:119], v155 offset:80
	s_waitcnt lgkmcnt(1)
	v_add_f64 v[108:109], v[140:141], v[108:109]
	v_add_f64 v[110:111], v[142:143], v[110:111]
	s_waitcnt lgkmcnt(0)
	s_delay_alu instid0(VALU_DEP_2) | instskip(NEXT) | instid1(VALU_DEP_2)
	;; [unrolled: 9-line block ×6, first 2 shown]
	v_add_f64 v[140:141], v[108:109], v[116:117]
	v_add_f64 v[142:143], v[110:111], v[118:119]
	ds_load_b128 v[108:111], v155 offset:224
	ds_load_b128 v[116:119], v156
	s_waitcnt lgkmcnt(1)
	v_add_f64 v[108:109], v[140:141], v[108:109]
	v_add_f64 v[110:111], v[142:143], v[110:111]
	s_waitcnt lgkmcnt(0)
	s_delay_alu instid0(VALU_DEP_2) | instskip(NEXT) | instid1(VALU_DEP_2)
	v_add_f64 v[108:109], v[108:109], v[116:117]
	v_add_f64 v[110:111], v[110:111], v[118:119]
	v_lshlrev_b64 v[116:117], 4, v[145:146]
	s_delay_alu instid0(VALU_DEP_1) | instskip(NEXT) | instid1(VALU_DEP_1)
	v_add_co_u32 v116, s1, s12, v116
	v_add_co_ci_u32_e64 v117, s1, s15, v117, s1
	global_store_b128 v[116:117], v[108:111], off
	s_branch .LBB58_132
.LBB58_137:
	v_mad_u32_u24 v4, 0x430, v149, v150
	s_or_b32 s0, s2, vcc_lo
	s_delay_alu instid0(SALU_CYCLE_1)
	s_xor_b32 s0, s0, -1
	ds_store_b128 v4, v[0:3]
	s_waitcnt lgkmcnt(0)
	s_barrier
	buffer_gl0_inv
	s_and_saveexec_b32 s1, s0
	s_cbranch_execz .LBB58_139
; %bb.138:
	ds_load_b128 v[0:3], v150 offset:1072
	ds_load_b128 v[4:7], v150
	v_ashrrev_i32_e32 v145, 31, v144
	s_waitcnt lgkmcnt(0)
	v_add_f64 v[8:9], v[0:1], v[4:5]
	v_add_f64 v[10:11], v[2:3], v[6:7]
	ds_load_b128 v[0:3], v150 offset:2144
	ds_load_b128 v[4:7], v150 offset:3216
	s_waitcnt lgkmcnt(1)
	v_add_f64 v[0:1], v[8:9], v[0:1]
	v_add_f64 v[2:3], v[10:11], v[2:3]
	s_waitcnt lgkmcnt(0)
	s_delay_alu instid0(VALU_DEP_2) | instskip(NEXT) | instid1(VALU_DEP_2)
	v_add_f64 v[0:1], v[0:1], v[4:5]
	v_add_f64 v[2:3], v[2:3], v[6:7]
	v_lshlrev_b64 v[4:5], 4, v[144:145]
	s_delay_alu instid0(VALU_DEP_1) | instskip(NEXT) | instid1(VALU_DEP_2)
	v_add_co_u32 v4, vcc_lo, s12, v4
	v_add_co_ci_u32_e32 v5, vcc_lo, s15, v5, vcc_lo
	global_store_b128 v[4:5], v[0:3], off
.LBB58_139:
	s_nop 0
	s_sendmsg sendmsg(MSG_DEALLOC_VGPRS)
	s_endpgm
	.section	.rodata,"a",@progbits
	.p2align	6, 0x0
	.amdhsa_kernel _ZL26rocblas_hemvn_kernel_lowerILb1ELi64ELi4ELi33ELi32ELi16EiPK19rocblas_complex_numIdEPKS3_PS1_EviT6_lT7_lT5_lS8_lS9_lS7_lT8_i
		.amdhsa_group_segment_fixed_size 19200
		.amdhsa_private_segment_fixed_size 0
		.amdhsa_kernarg_size 376
		.amdhsa_user_sgpr_count 14
		.amdhsa_user_sgpr_dispatch_ptr 0
		.amdhsa_user_sgpr_queue_ptr 0
		.amdhsa_user_sgpr_kernarg_segment_ptr 1
		.amdhsa_user_sgpr_dispatch_id 0
		.amdhsa_user_sgpr_private_segment_size 0
		.amdhsa_wavefront_size32 1
		.amdhsa_uses_dynamic_stack 0
		.amdhsa_enable_private_segment 0
		.amdhsa_system_sgpr_workgroup_id_x 1
		.amdhsa_system_sgpr_workgroup_id_y 0
		.amdhsa_system_sgpr_workgroup_id_z 1
		.amdhsa_system_sgpr_workgroup_info 0
		.amdhsa_system_vgpr_workitem_id 1
		.amdhsa_next_free_vgpr 209
		.amdhsa_next_free_sgpr 30
		.amdhsa_reserve_vcc 1
		.amdhsa_float_round_mode_32 0
		.amdhsa_float_round_mode_16_64 0
		.amdhsa_float_denorm_mode_32 3
		.amdhsa_float_denorm_mode_16_64 3
		.amdhsa_dx10_clamp 1
		.amdhsa_ieee_mode 1
		.amdhsa_fp16_overflow 0
		.amdhsa_workgroup_processor_mode 1
		.amdhsa_memory_ordered 1
		.amdhsa_forward_progress 0
		.amdhsa_shared_vgpr_count 0
		.amdhsa_exception_fp_ieee_invalid_op 0
		.amdhsa_exception_fp_denorm_src 0
		.amdhsa_exception_fp_ieee_div_zero 0
		.amdhsa_exception_fp_ieee_overflow 0
		.amdhsa_exception_fp_ieee_underflow 0
		.amdhsa_exception_fp_ieee_inexact 0
		.amdhsa_exception_int_div_zero 0
	.end_amdhsa_kernel
	.section	.text._ZL26rocblas_hemvn_kernel_lowerILb1ELi64ELi4ELi33ELi32ELi16EiPK19rocblas_complex_numIdEPKS3_PS1_EviT6_lT7_lT5_lS8_lS9_lS7_lT8_i,"axG",@progbits,_ZL26rocblas_hemvn_kernel_lowerILb1ELi64ELi4ELi33ELi32ELi16EiPK19rocblas_complex_numIdEPKS3_PS1_EviT6_lT7_lT5_lS8_lS9_lS7_lT8_i,comdat
.Lfunc_end58:
	.size	_ZL26rocblas_hemvn_kernel_lowerILb1ELi64ELi4ELi33ELi32ELi16EiPK19rocblas_complex_numIdEPKS3_PS1_EviT6_lT7_lT5_lS8_lS9_lS7_lT8_i, .Lfunc_end58-_ZL26rocblas_hemvn_kernel_lowerILb1ELi64ELi4ELi33ELi32ELi16EiPK19rocblas_complex_numIdEPKS3_PS1_EviT6_lT7_lT5_lS8_lS9_lS7_lT8_i
                                        ; -- End function
	.section	.AMDGPU.csdata,"",@progbits
; Kernel info:
; codeLenInByte = 11092
; NumSgprs: 32
; NumVgprs: 209
; ScratchSize: 0
; MemoryBound: 0
; FloatMode: 240
; IeeeMode: 1
; LDSByteSize: 19200 bytes/workgroup (compile time only)
; SGPRBlocks: 3
; VGPRBlocks: 26
; NumSGPRsForWavesPerEU: 32
; NumVGPRsForWavesPerEU: 209
; Occupancy: 7
; WaveLimiterHint : 1
; COMPUTE_PGM_RSRC2:SCRATCH_EN: 0
; COMPUTE_PGM_RSRC2:USER_SGPR: 14
; COMPUTE_PGM_RSRC2:TRAP_HANDLER: 0
; COMPUTE_PGM_RSRC2:TGID_X_EN: 1
; COMPUTE_PGM_RSRC2:TGID_Y_EN: 0
; COMPUTE_PGM_RSRC2:TGID_Z_EN: 1
; COMPUTE_PGM_RSRC2:TIDIG_COMP_CNT: 1
	.section	.text._ZL36rocblas_hemvn_kernel_lower_block_sumILi64EiPK19rocblas_complex_numIdEPKPS1_S1_EviT1_lS7_lT2_lT0_lPT3_i,"axG",@progbits,_ZL36rocblas_hemvn_kernel_lower_block_sumILi64EiPK19rocblas_complex_numIdEPKPS1_S1_EviT1_lS7_lT2_lT0_lPT3_i,comdat
	.globl	_ZL36rocblas_hemvn_kernel_lower_block_sumILi64EiPK19rocblas_complex_numIdEPKPS1_S1_EviT1_lS7_lT2_lT0_lPT3_i ; -- Begin function _ZL36rocblas_hemvn_kernel_lower_block_sumILi64EiPK19rocblas_complex_numIdEPKPS1_S1_EviT1_lS7_lT2_lT0_lPT3_i
	.p2align	8
	.type	_ZL36rocblas_hemvn_kernel_lower_block_sumILi64EiPK19rocblas_complex_numIdEPKPS1_S1_EviT1_lS7_lT2_lT0_lPT3_i,@function
_ZL36rocblas_hemvn_kernel_lower_block_sumILi64EiPK19rocblas_complex_numIdEPKPS1_S1_EviT1_lS7_lT2_lT0_lPT3_i: ; @_ZL36rocblas_hemvn_kernel_lower_block_sumILi64EiPK19rocblas_complex_numIdEPKPS1_S1_EviT1_lS7_lT2_lT0_lPT3_i
; %bb.0:
	s_load_b256 s[4:11], s[0:1], 0x8
	s_mov_b32 s12, s15
	s_waitcnt lgkmcnt(0)
	s_mul_i32 s3, s15, s7
	s_mul_hi_u32 s7, s15, s6
	s_mul_i32 s2, s15, s6
	s_add_i32 s3, s7, s3
	s_delay_alu instid0(SALU_CYCLE_1) | instskip(NEXT) | instid1(SALU_CYCLE_1)
	s_lshl_b64 s[2:3], s[2:3], 4
	s_add_u32 s2, s4, s2
	s_addc_u32 s3, s5, s3
	s_load_b128 s[16:19], s[2:3], 0x0
	s_mul_i32 s2, s12, s11
	s_mul_hi_u32 s3, s12, s10
	s_delay_alu instid0(SALU_CYCLE_1) | instskip(SKIP_1) | instid1(SALU_CYCLE_1)
	s_add_i32 s3, s3, s2
	s_mul_i32 s2, s12, s10
	s_lshl_b64 s[2:3], s[2:3], 4
	s_delay_alu instid0(SALU_CYCLE_1)
	s_add_u32 s2, s8, s2
	s_addc_u32 s3, s9, s3
	s_load_b128 s[4:7], s[2:3], 0x0
	s_mov_b32 s3, -1
	s_waitcnt lgkmcnt(0)
	v_cmp_neq_f64_e64 s13, s[16:17], 0
	v_cmp_neq_f64_e64 s15, s[18:19], 0
	s_delay_alu instid0(VALU_DEP_1) | instskip(NEXT) | instid1(SALU_CYCLE_1)
	s_or_b32 s2, s13, s15
	s_and_b32 vcc_lo, exec_lo, s2
	s_cbranch_vccnz .LBB59_2
; %bb.1:
	v_cmp_neq_f64_e64 s3, s[4:5], 1.0
	v_cmp_neq_f64_e64 s8, s[6:7], 0
	s_delay_alu instid0(VALU_DEP_1)
	s_or_b32 s3, s3, s8
.LBB59_2:
	s_delay_alu instid0(SALU_CYCLE_1)
	s_and_not1_b32 vcc_lo, exec_lo, s3
	s_cbranch_vccnz .LBB59_22
; %bb.3:
	s_load_b128 s[20:23], s[0:1], 0x28
	s_mov_b32 s13, 0
	s_xor_b32 s9, s2, -1
	s_lshl_b64 s[24:25], s[12:13], 3
	s_clause 0x1
	s_load_b32 s11, s[0:1], 0x38
	s_load_b32 s8, s[0:1], 0x0
	v_lshl_or_b32 v4, s14, 6, v0
	s_waitcnt lgkmcnt(0)
	s_add_u32 s2, s20, s24
	s_addc_u32 s3, s21, s25
	s_lshl_b64 s[22:23], s[22:23], 4
	s_load_b64 s[20:21], s[2:3], 0x0
	v_cmp_gt_i32_e64 s2, s8, v4
	s_waitcnt lgkmcnt(0)
	s_add_u32 s3, s20, s22
	s_addc_u32 s10, s21, s23
	s_and_not1_b32 vcc_lo, exec_lo, s9
	s_cbranch_vccnz .LBB59_8
; %bb.4:
	s_mov_b32 s9, 0
                                        ; implicit-def: $vgpr2_vgpr3
                                        ; implicit-def: $vgpr5_vgpr6
	s_and_saveexec_b32 s15, s2
	s_cbranch_execz .LBB59_9
; %bb.5:
	v_cmp_neq_f64_e64 s2, s[4:5], 0
	v_cmp_neq_f64_e64 s13, s[6:7], 0
	v_mul_lo_u32 v5, v4, s11
	v_mov_b32_e32 v2, 0
	v_mov_b32_e32 v3, 0
	s_delay_alu instid0(VALU_DEP_1) | instskip(NEXT) | instid1(VALU_DEP_4)
	v_dual_mov_b32 v0, v2 :: v_dual_mov_b32 v1, v3
	v_ashrrev_i32_e32 v6, 31, v5
	s_or_b32 s2, s2, s13
	s_delay_alu instid0(SALU_CYCLE_1)
	s_and_not1_b32 vcc_lo, exec_lo, s2
	s_cbranch_vccnz .LBB59_7
; %bb.6:
	s_delay_alu instid0(VALU_DEP_1) | instskip(NEXT) | instid1(VALU_DEP_1)
	v_lshlrev_b64 v[0:1], 4, v[5:6]
	v_add_co_u32 v0, vcc_lo, s3, v0
	s_delay_alu instid0(VALU_DEP_2) | instskip(SKIP_4) | instid1(VALU_DEP_2)
	v_add_co_ci_u32_e32 v1, vcc_lo, s10, v1, vcc_lo
	global_load_b128 v[7:10], v[0:1], off
	s_waitcnt vmcnt(0)
	v_mul_f64 v[0:1], s[6:7], v[9:10]
	v_mul_f64 v[2:3], s[4:5], v[9:10]
	v_fma_f64 v[0:1], s[4:5], v[7:8], -v[0:1]
	s_delay_alu instid0(VALU_DEP_2)
	v_fma_f64 v[2:3], s[6:7], v[7:8], v[2:3]
.LBB59_7:
	s_mov_b32 s13, exec_lo
	s_or_b32 exec_lo, exec_lo, s15
	s_delay_alu instid0(SALU_CYCLE_1)
	s_and_b32 vcc_lo, exec_lo, s9
	s_cbranch_vccnz .LBB59_10
	s_branch .LBB59_20
.LBB59_8:
                                        ; implicit-def: $vgpr2_vgpr3
                                        ; implicit-def: $vgpr5_vgpr6
	s_cbranch_execnz .LBB59_10
	s_branch .LBB59_20
.LBB59_9:
	s_or_b32 exec_lo, exec_lo, s15
	s_delay_alu instid0(SALU_CYCLE_1)
	s_and_b32 vcc_lo, exec_lo, s9
	s_cbranch_vccz .LBB59_20
.LBB59_10:
	s_mov_b32 s2, exec_lo
                                        ; implicit-def: $vgpr2_vgpr3
                                        ; implicit-def: $vgpr5_vgpr6
	v_cmpx_gt_i32_e64 s8, v4
	s_cbranch_execz .LBB59_19
; %bb.11:
	s_load_b32 s15, s[0:1], 0x58
	v_mov_b32_e32 v0, 0
	v_mov_b32_e32 v1, 0
	s_delay_alu instid0(VALU_DEP_1)
	v_dual_mov_b32 v3, v1 :: v_dual_mov_b32 v2, v0
	s_waitcnt lgkmcnt(0)
	s_cmp_ge_i32 s14, s15
	s_cbranch_scc1 .LBB59_14
; %bb.12:
	s_load_b64 s[0:1], s[0:1], 0x48
	v_mad_u64_u32 v[0:1], null, s14, s8, v[4:5]
	s_ashr_i32 s9, s8, 31
	s_mul_hi_u32 s20, s8, s12
	s_mul_i32 s21, s9, s12
	s_mul_i32 s12, s8, s12
	s_add_i32 s20, s20, s21
	s_mul_hi_u32 s21, s12, s15
	s_delay_alu instid0(VALU_DEP_1) | instskip(SKIP_3) | instid1(VALU_DEP_1)
	v_ashrrev_i32_e32 v1, 31, v0
	s_mul_i32 s22, s20, s15
	s_mul_i32 s20, s12, s15
	s_add_i32 s21, s21, s22
	v_lshlrev_b64 v[2:3], 4, v[0:1]
	s_lshl_b64 s[20:21], s[20:21], 4
	v_mov_b32_e32 v0, 0
	v_mov_b32_e32 v1, 0
	s_waitcnt lgkmcnt(0)
	s_add_u32 s0, s0, s20
	s_addc_u32 s1, s1, s21
	v_add_co_u32 v2, vcc_lo, s0, v2
	v_add_co_ci_u32_e32 v3, vcc_lo, s1, v3, vcc_lo
	s_lshl_b64 s[0:1], s[8:9], 4
	s_delay_alu instid0(VALU_DEP_2) | instskip(NEXT) | instid1(VALU_DEP_2)
	v_add_co_u32 v5, vcc_lo, v2, 8
	v_add_co_ci_u32_e32 v6, vcc_lo, 0, v3, vcc_lo
	v_dual_mov_b32 v3, v1 :: v_dual_mov_b32 v2, v0
.LBB59_13:                              ; =>This Inner Loop Header: Depth=1
	global_load_b128 v[7:10], v[5:6], off offset:-8
	v_add_co_u32 v5, vcc_lo, v5, s0
	v_add_co_ci_u32_e32 v6, vcc_lo, s1, v6, vcc_lo
	s_add_i32 s14, s14, 1
	s_delay_alu instid0(SALU_CYCLE_1)
	s_cmp_ge_i32 s14, s15
	s_waitcnt vmcnt(0)
	v_add_f64 v[2:3], v[2:3], v[7:8]
	v_add_f64 v[0:1], v[0:1], v[9:10]
	s_cbranch_scc0 .LBB59_13
.LBB59_14:
	s_delay_alu instid0(VALU_DEP_1) | instskip(SKIP_3) | instid1(VALU_DEP_4)
	v_mul_f64 v[5:6], s[18:19], v[0:1]
	v_mul_f64 v[7:8], s[16:17], v[0:1]
	v_cmp_neq_f64_e64 s0, s[4:5], 0
	v_cmp_neq_f64_e64 s1, s[6:7], 0
	v_fma_f64 v[0:1], s[16:17], v[2:3], -v[5:6]
	s_delay_alu instid0(VALU_DEP_4) | instskip(SKIP_1) | instid1(VALU_DEP_4)
	v_fma_f64 v[2:3], s[18:19], v[2:3], v[7:8]
	v_mul_lo_u32 v5, v4, s11
	s_or_b32 s0, s0, s1
	s_delay_alu instid0(SALU_CYCLE_1) | instskip(NEXT) | instid1(VALU_DEP_1)
	s_and_not1_b32 vcc_lo, exec_lo, s0
	v_ashrrev_i32_e32 v6, 31, v5
	s_cbranch_vccz .LBB59_16
; %bb.15:
	s_cbranch_execz .LBB59_17
	s_branch .LBB59_18
.LBB59_16:
.LBB59_17:
	s_delay_alu instid0(VALU_DEP_1) | instskip(NEXT) | instid1(VALU_DEP_1)
	v_lshlrev_b64 v[7:8], 4, v[5:6]
	v_add_co_u32 v7, vcc_lo, s3, v7
	s_delay_alu instid0(VALU_DEP_2) | instskip(SKIP_4) | instid1(VALU_DEP_2)
	v_add_co_ci_u32_e32 v8, vcc_lo, s10, v8, vcc_lo
	global_load_b128 v[7:10], v[7:8], off
	s_waitcnt vmcnt(0)
	v_mul_f64 v[11:12], s[6:7], v[9:10]
	v_mul_f64 v[9:10], s[4:5], v[9:10]
	v_fma_f64 v[11:12], s[4:5], v[7:8], -v[11:12]
	s_delay_alu instid0(VALU_DEP_2) | instskip(NEXT) | instid1(VALU_DEP_2)
	v_fma_f64 v[7:8], s[6:7], v[7:8], v[9:10]
	v_add_f64 v[0:1], v[0:1], v[11:12]
	s_delay_alu instid0(VALU_DEP_2)
	v_add_f64 v[2:3], v[2:3], v[7:8]
.LBB59_18:
	s_or_b32 s13, s13, exec_lo
.LBB59_19:
	s_or_b32 exec_lo, exec_lo, s2
.LBB59_20:
	s_and_saveexec_b32 s0, s13
	s_cbranch_execz .LBB59_22
; %bb.21:
	v_lshlrev_b64 v[4:5], 4, v[5:6]
	s_delay_alu instid0(VALU_DEP_1) | instskip(NEXT) | instid1(VALU_DEP_2)
	v_add_co_u32 v4, vcc_lo, s3, v4
	v_add_co_ci_u32_e32 v5, vcc_lo, s10, v5, vcc_lo
	global_store_b128 v[4:5], v[0:3], off
.LBB59_22:
	s_nop 0
	s_sendmsg sendmsg(MSG_DEALLOC_VGPRS)
	s_endpgm
	.section	.rodata,"a",@progbits
	.p2align	6, 0x0
	.amdhsa_kernel _ZL36rocblas_hemvn_kernel_lower_block_sumILi64EiPK19rocblas_complex_numIdEPKPS1_S1_EviT1_lS7_lT2_lT0_lPT3_i
		.amdhsa_group_segment_fixed_size 0
		.amdhsa_private_segment_fixed_size 0
		.amdhsa_kernarg_size 344
		.amdhsa_user_sgpr_count 14
		.amdhsa_user_sgpr_dispatch_ptr 0
		.amdhsa_user_sgpr_queue_ptr 0
		.amdhsa_user_sgpr_kernarg_segment_ptr 1
		.amdhsa_user_sgpr_dispatch_id 0
		.amdhsa_user_sgpr_private_segment_size 0
		.amdhsa_wavefront_size32 1
		.amdhsa_uses_dynamic_stack 0
		.amdhsa_enable_private_segment 0
		.amdhsa_system_sgpr_workgroup_id_x 1
		.amdhsa_system_sgpr_workgroup_id_y 0
		.amdhsa_system_sgpr_workgroup_id_z 1
		.amdhsa_system_sgpr_workgroup_info 0
		.amdhsa_system_vgpr_workitem_id 0
		.amdhsa_next_free_vgpr 13
		.amdhsa_next_free_sgpr 26
		.amdhsa_reserve_vcc 1
		.amdhsa_float_round_mode_32 0
		.amdhsa_float_round_mode_16_64 0
		.amdhsa_float_denorm_mode_32 3
		.amdhsa_float_denorm_mode_16_64 3
		.amdhsa_dx10_clamp 1
		.amdhsa_ieee_mode 1
		.amdhsa_fp16_overflow 0
		.amdhsa_workgroup_processor_mode 1
		.amdhsa_memory_ordered 1
		.amdhsa_forward_progress 0
		.amdhsa_shared_vgpr_count 0
		.amdhsa_exception_fp_ieee_invalid_op 0
		.amdhsa_exception_fp_denorm_src 0
		.amdhsa_exception_fp_ieee_div_zero 0
		.amdhsa_exception_fp_ieee_overflow 0
		.amdhsa_exception_fp_ieee_underflow 0
		.amdhsa_exception_fp_ieee_inexact 0
		.amdhsa_exception_int_div_zero 0
	.end_amdhsa_kernel
	.section	.text._ZL36rocblas_hemvn_kernel_lower_block_sumILi64EiPK19rocblas_complex_numIdEPKPS1_S1_EviT1_lS7_lT2_lT0_lPT3_i,"axG",@progbits,_ZL36rocblas_hemvn_kernel_lower_block_sumILi64EiPK19rocblas_complex_numIdEPKPS1_S1_EviT1_lS7_lT2_lT0_lPT3_i,comdat
.Lfunc_end59:
	.size	_ZL36rocblas_hemvn_kernel_lower_block_sumILi64EiPK19rocblas_complex_numIdEPKPS1_S1_EviT1_lS7_lT2_lT0_lPT3_i, .Lfunc_end59-_ZL36rocblas_hemvn_kernel_lower_block_sumILi64EiPK19rocblas_complex_numIdEPKPS1_S1_EviT1_lS7_lT2_lT0_lPT3_i
                                        ; -- End function
	.section	.AMDGPU.csdata,"",@progbits
; Kernel info:
; codeLenInByte = 968
; NumSgprs: 28
; NumVgprs: 13
; ScratchSize: 0
; MemoryBound: 0
; FloatMode: 240
; IeeeMode: 1
; LDSByteSize: 0 bytes/workgroup (compile time only)
; SGPRBlocks: 3
; VGPRBlocks: 1
; NumSGPRsForWavesPerEU: 28
; NumVGPRsForWavesPerEU: 13
; Occupancy: 16
; WaveLimiterHint : 1
; COMPUTE_PGM_RSRC2:SCRATCH_EN: 0
; COMPUTE_PGM_RSRC2:USER_SGPR: 14
; COMPUTE_PGM_RSRC2:TRAP_HANDLER: 0
; COMPUTE_PGM_RSRC2:TGID_X_EN: 1
; COMPUTE_PGM_RSRC2:TGID_Y_EN: 0
; COMPUTE_PGM_RSRC2:TGID_Z_EN: 1
; COMPUTE_PGM_RSRC2:TIDIG_COMP_CNT: 0
	.section	.text._ZL26rocblas_hemvn_kernel_lowerILb1ELi64ELi4ELi33ELi32ELi16El19rocblas_complex_numIdEPKPKS1_PS1_EviT6_lT7_lT5_lS8_lS9_lS7_lT8_i,"axG",@progbits,_ZL26rocblas_hemvn_kernel_lowerILb1ELi64ELi4ELi33ELi32ELi16El19rocblas_complex_numIdEPKPKS1_PS1_EviT6_lT7_lT5_lS8_lS9_lS7_lT8_i,comdat
	.globl	_ZL26rocblas_hemvn_kernel_lowerILb1ELi64ELi4ELi33ELi32ELi16El19rocblas_complex_numIdEPKPKS1_PS1_EviT6_lT7_lT5_lS8_lS9_lS7_lT8_i ; -- Begin function _ZL26rocblas_hemvn_kernel_lowerILb1ELi64ELi4ELi33ELi32ELi16El19rocblas_complex_numIdEPKPKS1_PS1_EviT6_lT7_lT5_lS8_lS9_lS7_lT8_i
	.p2align	8
	.type	_ZL26rocblas_hemvn_kernel_lowerILb1ELi64ELi4ELi33ELi32ELi16El19rocblas_complex_numIdEPKPKS1_PS1_EviT6_lT7_lT5_lS8_lS9_lS7_lT8_i,@function
_ZL26rocblas_hemvn_kernel_lowerILb1ELi64ELi4ELi33ELi32ELi16El19rocblas_complex_numIdEPKPKS1_PS1_EviT6_lT7_lT5_lS8_lS9_lS7_lT8_i: ; @_ZL26rocblas_hemvn_kernel_lowerILb1ELi64ELi4ELi33ELi32ELi16El19rocblas_complex_numIdEPKPKS1_PS1_EviT6_lT7_lT5_lS8_lS9_lS7_lT8_i
; %bb.0:
	s_load_b64 s[4:5], s[0:1], 0x94
	s_add_u32 s2, s0, 0x88
	s_addc_u32 s3, s1, 0
	s_waitcnt lgkmcnt(0)
	s_lshr_b32 s6, s4, 16
	s_and_b32 s4, s4, 0xffff
	s_and_b32 s5, s5, 0xffff
	s_mul_i32 s4, s6, s4
	s_delay_alu instid0(SALU_CYCLE_1) | instskip(NEXT) | instid1(SALU_CYCLE_1)
	s_mul_i32 s4, s4, s5
	s_cmpk_lg_i32 s4, 0x100
	s_cbranch_scc1 .LBB60_139
; %bb.1:
	s_clause 0x2
	s_load_b128 s[8:11], s[0:1], 0x8
	s_load_b128 s[4:7], s[0:1], 0x20
	s_load_b64 s[12:13], s[0:1], 0x30
	s_mov_b32 s16, s15
	s_waitcnt lgkmcnt(0)
	v_cmp_neq_f64_e64 s8, s[8:9], 0
	v_cmp_neq_f64_e64 s9, s[10:11], 0
	s_delay_alu instid0(VALU_DEP_1)
	s_or_b32 s15, s8, s9
	s_mov_b64 s[8:9], 0
	s_and_b32 vcc_lo, exec_lo, s15
	s_cbranch_vccnz .LBB60_3
; %bb.2:
	s_load_b128 s[20:23], s[0:1], 0x60
	s_waitcnt lgkmcnt(0)
	v_cmp_neq_f64_e64 s10, s[20:21], 1.0
	v_cmp_neq_f64_e64 s11, s[22:23], 0
	s_delay_alu instid0(VALU_DEP_1)
	s_or_b32 s10, s10, s11
	s_cbranch_execz .LBB60_4
	s_branch .LBB60_5
.LBB60_3:
	s_mov_b32 s10, 0
                                        ; implicit-def: $sgpr8_sgpr9
.LBB60_4:
	s_mov_b32 s17, 0
	s_mov_b32 s10, -1
	s_lshl_b64 s[8:9], s[16:17], 3
	s_delay_alu instid0(SALU_CYCLE_1)
	s_add_u32 s4, s4, s8
	s_addc_u32 s5, s5, s9
	s_lshl_b64 s[6:7], s[6:7], 4
	s_load_b64 s[4:5], s[4:5], 0x0
	s_waitcnt lgkmcnt(0)
	s_add_u32 s8, s4, s6
	s_addc_u32 s9, s5, s7
.LBB60_5:
	s_and_not1_b32 vcc_lo, exec_lo, s10
	s_cbranch_vccnz .LBB60_139
; %bb.6:
	s_clause 0x1
	s_load_b128 s[4:7], s[0:1], 0x40
	s_load_b64 s[10:11], s[0:1], 0x50
	v_cndmask_b32_e64 v1, 0, 1, s15
	s_and_not1_b32 vcc_lo, exec_lo, s15
	s_mov_b64 s[20:21], 0
	s_cbranch_vccnz .LBB60_8
; %bb.7:
	s_mov_b32 s17, 0
	s_delay_alu instid0(SALU_CYCLE_1)
	s_lshl_b64 s[18:19], s[16:17], 3
	s_waitcnt lgkmcnt(0)
	s_add_u32 s4, s4, s18
	s_addc_u32 s5, s5, s19
	s_lshl_b64 s[6:7], s[6:7], 4
	s_load_b64 s[4:5], s[4:5], 0x0
	s_waitcnt lgkmcnt(0)
	s_add_u32 s20, s4, s6
	s_addc_u32 s21, s5, s7
.LBB60_8:
	s_delay_alu instid0(VALU_DEP_1)
	v_cmp_ne_u32_e32 vcc_lo, 1, v1
	s_cbranch_vccnz .LBB60_139
; %bb.9:
	v_and_b32_e32 v42, 0x3ff, v0
	s_lshl_b32 s18, s14, 6
	s_load_b32 s15, s[0:1], 0x0
	s_load_b32 s17, s[2:3], 0x0
	v_bfe_u32 v138, v0, 10, 10
	v_add_nc_u32_e32 v132, s18, v42
	s_delay_alu instid0(VALU_DEP_1) | instskip(SKIP_3) | instid1(VALU_DEP_3)
	v_ashrrev_i32_e32 v133, 31, v132
	s_waitcnt lgkmcnt(0)
	v_mul_lo_u32 v3, v132, s11
	v_mad_u64_u32 v[1:2], null, v132, s10, 0
	v_mul_lo_u32 v4, v133, s10
	s_ashr_i32 s26, s15, 31
	s_delay_alu instid0(VALU_DEP_1)
	v_add3_u32 v2, v2, v3, v4
	s_lshr_b32 s2, s26, 26
	s_add_i32 s4, s17, -1
	s_add_i32 s3, s15, s2
	v_cmp_ne_u32_e64 s2, 0, v138
	v_lshlrev_b64 v[0:1], 4, v[1:2]
	s_and_not1_b32 s3, s3, 63
	s_delay_alu instid0(SALU_CYCLE_1) | instskip(SKIP_2) | instid1(VALU_DEP_2)
	s_sub_i32 s5, s15, s3
	v_cmp_eq_u32_e64 s3, 0, v138
	s_cmp_eq_u32 s14, s4
	v_add_co_u32 v36, vcc_lo, s20, v0
	v_add_co_ci_u32_e32 v37, vcc_lo, s21, v1, vcc_lo
	s_mov_b32 s4, -1
	s_cselect_b32 s20, s5, 0
	s_and_saveexec_b32 s5, s3
	s_cbranch_execz .LBB60_14
; %bb.10:
	v_cmp_le_i32_e32 vcc_lo, s20, v42
	s_cmp_lg_u32 s20, 0
	v_lshl_add_u32 v0, v42, 4, 0x4700
	s_cselect_b32 s6, -1, 0
	s_delay_alu instid0(SALU_CYCLE_1) | instskip(NEXT) | instid1(SALU_CYCLE_1)
	s_and_b32 s6, s6, vcc_lo
	s_and_saveexec_b32 s7, s6
	s_delay_alu instid0(SALU_CYCLE_1)
	s_xor_b32 s6, exec_lo, s7
	s_cbranch_execz .LBB60_12
; %bb.11:
	v_mov_b32_e32 v1, 0
	s_delay_alu instid0(VALU_DEP_1)
	v_mov_b32_e32 v2, v1
	v_mov_b32_e32 v3, v1
	;; [unrolled: 1-line block ×3, first 2 shown]
	ds_store_b128 v0, v[1:4]
                                        ; implicit-def: $vgpr0
.LBB60_12:
	s_and_not1_saveexec_b32 s6, s6
	s_cbranch_execz .LBB60_14
; %bb.13:
	flat_load_b128 v[1:4], v[36:37]
	s_waitcnt vmcnt(0) lgkmcnt(0)
	ds_store_2addr_b64 v0, v[1:2], v[3:4] offset1:1
.LBB60_14:
	s_or_b32 exec_lo, exec_lo, s5
	v_lshl_add_u32 v43, v138, 6, v42
	v_dual_mov_b32 v5, 0 :: v_dual_and_b32 v4, 31, v42
	s_ashr_i32 s19, s18, 31
	s_mul_i32 s5, s18, s13
	s_delay_alu instid0(VALU_DEP_2)
	v_lshrrev_b32_e32 v9, 5, v43
	s_lshl_b64 s[6:7], s[18:19], 4
	s_mul_hi_u32 s21, s18, s12
	s_add_u32 s8, s8, s6
	s_mul_i32 s22, s19, s12
	v_mad_u64_u32 v[0:1], null, v9, s12, v[4:5]
	s_addc_u32 s9, s9, s7
	s_add_i32 s5, s21, s5
	s_mul_i32 s6, s18, s12
	s_add_i32 s7, s5, s22
	s_delay_alu instid0(SALU_CYCLE_1) | instskip(NEXT) | instid1(VALU_DEP_1)
	s_lshl_b64 s[22:23], s[6:7], 4
	v_mad_u64_u32 v[2:3], null, v9, s13, v[1:2]
	s_add_u32 s5, s22, s8
	s_addc_u32 s6, s23, s9
	s_cmp_lg_u32 s20, 0
	s_cselect_b32 s27, -1, 0
	s_cmp_eq_u32 s20, 0
	s_delay_alu instid0(VALU_DEP_1) | instskip(SKIP_1) | instid1(VALU_DEP_1)
	v_mov_b32_e32 v1, v2
	s_cselect_b32 s9, -1, 0
	v_lshlrev_b64 v[38:39], 4, v[0:1]
	s_delay_alu instid0(VALU_DEP_1) | instskip(NEXT) | instid1(VALU_DEP_2)
	v_add_co_u32 v5, vcc_lo, s5, v38
	v_add_co_ci_u32_e32 v6, vcc_lo, s6, v39, vcc_lo
	s_and_b32 vcc_lo, exec_lo, s27
	s_cbranch_vccnz .LBB60_16
; %bb.15:
	flat_load_b128 v[0:3], v[5:6]
	v_mul_u32_u24_e32 v7, 33, v9
	s_lshl_b64 s[4:5], s[12:13], 7
	s_delay_alu instid0(VALU_DEP_1) | instskip(SKIP_2) | instid1(VALU_DEP_3)
	v_add_lshl_u32 v12, v7, v4, 4
	v_add_co_u32 v7, vcc_lo, v5, s4
	v_add_co_ci_u32_e32 v8, vcc_lo, s5, v6, vcc_lo
	v_add_nc_u32_e32 v10, 0x1080, v12
	s_waitcnt vmcnt(0) lgkmcnt(0)
	ds_store_2addr_b64 v12, v[0:1], v[2:3] offset1:1
	flat_load_b128 v[0:3], v[7:8]
	v_add_co_u32 v7, vcc_lo, v7, s4
	v_add_co_ci_u32_e32 v8, vcc_lo, s5, v8, vcc_lo
	s_mov_b32 s4, 0
	s_waitcnt vmcnt(0) lgkmcnt(0)
	ds_store_2addr_b64 v10, v[0:1], v[2:3] offset1:1
	flat_load_b128 v[0:3], v[7:8]
	v_mad_u64_u32 v[7:8], null, 0x180, s12, v[5:6]
	s_delay_alu instid0(VALU_DEP_1) | instskip(NEXT) | instid1(VALU_DEP_1)
	v_mad_u64_u32 v[10:11], null, 0x180, s13, v[8:9]
	v_dual_mov_b32 v8, v10 :: v_dual_add_nc_u32 v11, 0x2100, v12
	s_waitcnt vmcnt(0) lgkmcnt(0)
	ds_store_2addr_b64 v11, v[0:1], v[2:3] offset1:1
	flat_load_b128 v[0:3], v[7:8]
	v_add_nc_u32_e32 v7, 0x3180, v12
	s_waitcnt vmcnt(0) lgkmcnt(0)
	ds_store_2addr_b64 v7, v[0:1], v[2:3] offset1:1
.LBB60_16:
	s_and_not1_b32 vcc_lo, exec_lo, s4
	s_cbranch_vccnz .LBB60_34
; %bb.17:
	v_lshlrev_b32_e32 v2, 4, v4
	s_ashr_i32 s21, s20, 31
	v_mul_u32_u24_e32 v3, 33, v9
	s_lshl_b64 s[6:7], s[20:21], 4
	v_cmp_le_i32_e64 s4, s20, v9
	v_sub_co_u32 v0, vcc_lo, v5, v2
	v_subrev_co_ci_u32_e32 v1, vcc_lo, 0, v6, vcc_lo
	v_add_lshl_u32 v3, v3, v4, 4
	s_delay_alu instid0(VALU_DEP_3) | instskip(NEXT) | instid1(VALU_DEP_3)
	v_add_co_u32 v0, vcc_lo, v0, s6
	v_add_co_ci_u32_e32 v1, vcc_lo, s7, v1, vcc_lo
	s_delay_alu instid0(VALU_DEP_2) | instskip(NEXT) | instid1(VALU_DEP_2)
	v_add_co_u32 v0, vcc_lo, v0, -16
	v_add_co_ci_u32_e32 v1, vcc_lo, -1, v1, vcc_lo
	v_cmp_gt_i32_e32 vcc_lo, s20, v4
	s_delay_alu instid0(VALU_DEP_2) | instskip(SKIP_1) | instid1(SALU_CYCLE_1)
	v_dual_cndmask_b32 v1, v1, v6 :: v_dual_cndmask_b32 v0, v0, v5
	s_and_saveexec_b32 s5, s4
	s_xor_b32 s4, exec_lo, s5
	s_cbranch_execz .LBB60_19
; %bb.18:
	v_mov_b32_e32 v10, 0
	s_delay_alu instid0(VALU_DEP_1)
	v_mov_b32_e32 v11, v10
	v_mov_b32_e32 v12, v10
	;; [unrolled: 1-line block ×3, first 2 shown]
	ds_store_b128 v3, v[10:13]
.LBB60_19:
	s_and_not1_saveexec_b32 s4, s4
	s_cbranch_execz .LBB60_21
; %bb.20:
	flat_load_b128 v[10:13], v[0:1]
	s_waitcnt vmcnt(0) lgkmcnt(0)
	ds_store_2addr_b64 v3, v[10:11], v[12:13] offset1:1
.LBB60_21:
	s_or_b32 exec_lo, exec_lo, s4
	v_add_nc_u32_e32 v7, 8, v9
	s_delay_alu instid0(VALU_DEP_1) | instskip(NEXT) | instid1(VALU_DEP_1)
	v_cmp_le_i32_e64 s4, s20, v7
	s_and_saveexec_b32 s5, s4
	s_delay_alu instid0(SALU_CYCLE_1)
	s_xor_b32 s4, exec_lo, s5
	s_cbranch_execz .LBB60_23
; %bb.22:
	v_mul_u32_u24_e32 v7, 33, v7
	v_mov_b32_e32 v10, 0
	s_delay_alu instid0(VALU_DEP_2) | instskip(NEXT) | instid1(VALU_DEP_2)
	v_add_lshl_u32 v7, v7, v4, 4
	v_mov_b32_e32 v11, v10
	v_mov_b32_e32 v12, v10
	;; [unrolled: 1-line block ×3, first 2 shown]
	ds_store_b128 v7, v[10:13]
.LBB60_23:
	s_and_not1_saveexec_b32 s5, s4
	s_cbranch_execz .LBB60_25
; %bb.24:
	s_lshl_b64 s[24:25], s[12:13], 7
	s_delay_alu instid0(SALU_CYCLE_1) | instskip(NEXT) | instid1(VALU_DEP_1)
	v_add_co_u32 v7, s4, v0, s24
	v_add_co_ci_u32_e64 v8, s4, s25, v1, s4
	flat_load_b128 v[10:13], v[7:8]
	v_add_nc_u32_e32 v7, 0x1080, v3
	s_waitcnt vmcnt(0) lgkmcnt(0)
	ds_store_2addr_b64 v7, v[10:11], v[12:13] offset1:1
.LBB60_25:
	s_or_b32 exec_lo, exec_lo, s5
	v_add_nc_u32_e32 v7, 16, v9
	s_delay_alu instid0(VALU_DEP_1) | instskip(NEXT) | instid1(VALU_DEP_1)
	v_cmp_le_i32_e64 s4, s20, v7
	s_and_saveexec_b32 s5, s4
	s_delay_alu instid0(SALU_CYCLE_1)
	s_xor_b32 s4, exec_lo, s5
	s_cbranch_execz .LBB60_27
; %bb.26:
	v_mov_b32_e32 v10, 0
	s_delay_alu instid0(VALU_DEP_1)
	v_mov_b32_e32 v11, v10
	v_mov_b32_e32 v12, v10
	;; [unrolled: 1-line block ×3, first 2 shown]
	ds_store_b128 v3, v[10:13] offset:8448
.LBB60_27:
	s_and_not1_saveexec_b32 s5, s4
	s_cbranch_execz .LBB60_29
; %bb.28:
	s_lshl_b64 s[24:25], s[12:13], 8
	s_delay_alu instid0(SALU_CYCLE_1) | instskip(NEXT) | instid1(VALU_DEP_1)
	v_add_co_u32 v7, s4, v0, s24
	v_add_co_ci_u32_e64 v8, s4, s25, v1, s4
	flat_load_b128 v[10:13], v[7:8]
	v_add_nc_u32_e32 v7, 0x2100, v3
	s_waitcnt vmcnt(0) lgkmcnt(0)
	ds_store_2addr_b64 v7, v[10:11], v[12:13] offset1:1
.LBB60_29:
	s_or_b32 exec_lo, exec_lo, s5
	v_add_nc_u32_e32 v7, 24, v9
	s_delay_alu instid0(VALU_DEP_1) | instskip(NEXT) | instid1(VALU_DEP_1)
	v_cmp_le_i32_e64 s4, s20, v7
	s_and_saveexec_b32 s5, s4
	s_delay_alu instid0(SALU_CYCLE_1)
	s_xor_b32 s4, exec_lo, s5
	s_cbranch_execz .LBB60_31
; %bb.30:
	v_mov_b32_e32 v10, 0
	s_delay_alu instid0(VALU_DEP_1)
	v_mov_b32_e32 v11, v10
	v_mov_b32_e32 v12, v10
	v_mov_b32_e32 v13, v10
	ds_store_b128 v3, v[10:13] offset:12672
                                        ; implicit-def: $vgpr3
.LBB60_31:
	s_and_not1_saveexec_b32 s4, s4
	s_cbranch_execz .LBB60_33
; %bb.32:
	v_mad_u64_u32 v[7:8], null, 0x180, s12, v[0:1]
	v_add_nc_u32_e32 v3, 0x3180, v3
	s_delay_alu instid0(VALU_DEP_2) | instskip(NEXT) | instid1(VALU_DEP_1)
	v_mad_u64_u32 v[10:11], null, 0x180, s13, v[8:9]
	v_mov_b32_e32 v8, v10
	flat_load_b128 v[10:13], v[7:8]
	s_waitcnt vmcnt(0) lgkmcnt(0)
	ds_store_2addr_b64 v3, v[10:11], v[12:13] offset1:1
.LBB60_33:
	s_or_b32 exec_lo, exec_lo, s4
	v_add_co_u32 v0, s4, v0, v2
	s_delay_alu instid0(VALU_DEP_1) | instskip(NEXT) | instid1(VALU_DEP_2)
	v_add_co_ci_u32_e64 v1, s4, 0, v1, s4
	v_sub_co_u32 v0, s4, v0, s6
	s_delay_alu instid0(VALU_DEP_1) | instskip(NEXT) | instid1(VALU_DEP_2)
	v_subrev_co_ci_u32_e64 v1, s4, s7, v1, s4
	v_add_co_u32 v0, s4, v0, 16
	s_delay_alu instid0(VALU_DEP_1) | instskip(NEXT) | instid1(VALU_DEP_1)
	v_add_co_ci_u32_e64 v1, s4, 0, v1, s4
	v_dual_cndmask_b32 v5, v0, v5 :: v_dual_cndmask_b32 v6, v1, v6
.LBB60_34:
	v_lshlrev_b32_e32 v11, 2, v9
	s_waitcnt lgkmcnt(0)
	s_barrier
	buffer_gl0_inv
	v_cmp_ge_u32_e64 s5, v11, v4
	s_delay_alu instid0(VALU_DEP_1) | instskip(NEXT) | instid1(SALU_CYCLE_1)
	s_and_saveexec_b32 s4, s5
	s_xor_b32 s4, exec_lo, s4
	s_cbranch_execz .LBB60_38
; %bb.35:
	s_mov_b32 s6, exec_lo
	v_cmpx_eq_u32_e64 v11, v4
	s_cbranch_execz .LBB60_37
; %bb.36:
	v_mul_u32_u24_e32 v1, 34, v4
	v_mov_b32_e32 v0, 0
	s_delay_alu instid0(VALU_DEP_1)
	v_dual_mov_b32 v1, v0 :: v_dual_lshlrev_b32 v2, 4, v1
	ds_store_b64 v2, v[0:1] offset:8
.LBB60_37:
	s_or_b32 exec_lo, exec_lo, s6
.LBB60_38:
	s_or_saveexec_b32 s4, s4
	v_mul_u32_u24_e32 v44, 33, v4
	v_mul_u32_u24_e32 v0, 0x84, v9
	s_delay_alu instid0(VALU_DEP_2)
	v_add_lshl_u32 v12, v11, v44, 4
	s_xor_b32 exec_lo, exec_lo, s4
	s_cbranch_execz .LBB60_40
; %bb.39:
	s_delay_alu instid0(VALU_DEP_2)
	v_add_lshl_u32 v1, v0, v4, 4
	ds_load_b128 v[13:16], v1
	s_waitcnt lgkmcnt(0)
	v_xor_b32_e32 v16, 0x80000000, v16
	ds_store_b128 v12, v[13:16]
.LBB60_40:
	s_or_b32 exec_lo, exec_lo, s4
	v_or_b32_e32 v14, 1, v11
	s_delay_alu instid0(VALU_DEP_1) | instskip(NEXT) | instid1(VALU_DEP_1)
	v_cmp_ge_u32_e64 s6, v14, v4
	s_and_saveexec_b32 s4, s6
	s_delay_alu instid0(SALU_CYCLE_1)
	s_xor_b32 s4, exec_lo, s4
	s_cbranch_execz .LBB60_44
; %bb.41:
	s_mov_b32 s7, exec_lo
	v_cmpx_eq_u32_e64 v14, v4
	s_cbranch_execz .LBB60_43
; %bb.42:
	v_mul_u32_u24_e32 v2, 34, v4
	v_mov_b32_e32 v1, 0
	s_delay_alu instid0(VALU_DEP_1)
	v_dual_mov_b32 v2, v1 :: v_dual_lshlrev_b32 v3, 4, v2
	ds_store_b64 v3, v[1:2] offset:8
.LBB60_43:
	s_or_b32 exec_lo, exec_lo, s7
.LBB60_44:
	s_or_saveexec_b32 s4, s4
	v_mul_u32_u24_e32 v1, 33, v14
	s_xor_b32 exec_lo, exec_lo, s4
	s_cbranch_execz .LBB60_46
; %bb.45:
	s_delay_alu instid0(VALU_DEP_1)
	v_add_lshl_u32 v2, v1, v4, 4
	ds_load_b128 v[15:18], v2
	s_waitcnt lgkmcnt(0)
	v_xor_b32_e32 v18, 0x80000000, v18
	ds_store_b128 v12, v[15:18] offset:16
.LBB60_46:
	s_or_b32 exec_lo, exec_lo, s4
	v_or_b32_e32 v15, 2, v11
	s_delay_alu instid0(VALU_DEP_1) | instskip(NEXT) | instid1(VALU_DEP_1)
	v_cmp_ge_u32_e64 s7, v15, v4
	s_and_saveexec_b32 s4, s7
	s_delay_alu instid0(SALU_CYCLE_1)
	s_xor_b32 s4, exec_lo, s4
	s_cbranch_execz .LBB60_50
; %bb.47:
	s_mov_b32 s8, exec_lo
	v_cmpx_eq_u32_e64 v15, v4
	s_cbranch_execz .LBB60_49
; %bb.48:
	v_mul_u32_u24_e32 v3, 34, v4
	s_delay_alu instid0(VALU_DEP_1) | instskip(NEXT) | instid1(VALU_DEP_1)
	v_dual_mov_b32 v2, 0 :: v_dual_lshlrev_b32 v7, 4, v3
	v_mov_b32_e32 v3, v2
	ds_store_b64 v7, v[2:3] offset:8
.LBB60_49:
	s_or_b32 exec_lo, exec_lo, s8
.LBB60_50:
	s_and_not1_saveexec_b32 s4, s4
	s_cbranch_execz .LBB60_52
; %bb.51:
	v_mul_u32_u24_e32 v2, 33, v15
	s_delay_alu instid0(VALU_DEP_1)
	v_add_lshl_u32 v2, v2, v4, 4
	ds_load_b128 v[16:19], v2
	s_waitcnt lgkmcnt(0)
	v_xor_b32_e32 v19, 0x80000000, v19
	ds_store_b128 v12, v[16:19] offset:32
.LBB60_52:
	s_or_b32 exec_lo, exec_lo, s4
	v_or_b32_e32 v17, 3, v11
	s_delay_alu instid0(VALU_DEP_1) | instskip(NEXT) | instid1(VALU_DEP_1)
	v_cmp_ge_u32_e64 s8, v17, v4
	s_and_saveexec_b32 s4, s8
	s_delay_alu instid0(SALU_CYCLE_1)
	s_xor_b32 s4, exec_lo, s4
	s_cbranch_execz .LBB60_56
; %bb.53:
	s_mov_b32 s21, exec_lo
	v_cmpx_eq_u32_e64 v17, v4
	s_cbranch_execz .LBB60_55
; %bb.54:
	v_mul_u32_u24_e32 v3, 34, v4
	s_delay_alu instid0(VALU_DEP_1) | instskip(NEXT) | instid1(VALU_DEP_1)
	v_dual_mov_b32 v2, 0 :: v_dual_lshlrev_b32 v7, 4, v3
	v_mov_b32_e32 v3, v2
	ds_store_b64 v7, v[2:3] offset:8
.LBB60_55:
	s_or_b32 exec_lo, exec_lo, s21
.LBB60_56:
	s_and_not1_saveexec_b32 s4, s4
	s_cbranch_execz .LBB60_58
; %bb.57:
	v_mul_u32_u24_e32 v2, 33, v17
	s_delay_alu instid0(VALU_DEP_1)
	v_add_lshl_u32 v2, v2, v4, 4
	ds_load_b128 v[18:21], v2
	s_waitcnt lgkmcnt(0)
	v_xor_b32_e32 v21, 0x80000000, v21
	ds_store_b128 v12, v[18:21] offset:48
.LBB60_58:
	s_or_b32 exec_lo, exec_lo, s4
	v_add_lshl_u32 v16, v0, v4, 4
	v_lshlrev_b32_e32 v13, 4, v11
	s_waitcnt lgkmcnt(0)
	s_barrier
	buffer_gl0_inv
	ds_load_b128 v[18:21], v16
	ds_load_b128 v[22:25], v13 offset:18176
	v_add_lshl_u32 v10, v1, v4, 4
	ds_load_b128 v[0:3], v13 offset:18192
	ds_load_b128 v[26:29], v10
	v_cmp_gt_u32_e64 s4, 32, v43
	s_waitcnt lgkmcnt(2)
	v_mul_f64 v[7:8], v[24:25], v[20:21]
	v_mul_f64 v[20:21], v[22:23], v[20:21]
	s_waitcnt lgkmcnt(0)
	v_mul_f64 v[40:41], v[2:3], v[28:29]
	v_mul_f64 v[45:46], v[0:1], v[28:29]
	s_delay_alu instid0(VALU_DEP_4) | instskip(NEXT) | instid1(VALU_DEP_4)
	v_fma_f64 v[7:8], v[22:23], v[18:19], -v[7:8]
	v_fma_f64 v[47:48], v[24:25], v[18:19], v[20:21]
	ds_load_b128 v[18:21], v10 offset:528
	ds_load_b128 v[22:25], v13 offset:18208
	;; [unrolled: 1-line block ×4, first 2 shown]
	s_waitcnt lgkmcnt(0)
	s_barrier
	v_fma_f64 v[0:1], v[0:1], v[26:27], -v[40:41]
	v_fma_f64 v[2:3], v[2:3], v[26:27], v[45:46]
	v_add_lshl_u32 v45, v9, v44, 4
	buffer_gl0_inv
	v_mul_f64 v[49:50], v[24:25], v[20:21]
	v_mul_f64 v[20:21], v[22:23], v[20:21]
	;; [unrolled: 1-line block ×4, first 2 shown]
	v_add_f64 v[7:8], v[7:8], 0
	v_add_f64 v[26:27], v[47:48], 0
	v_fma_f64 v[22:23], v[22:23], v[18:19], -v[49:50]
	v_fma_f64 v[18:19], v[24:25], v[18:19], v[20:21]
	v_fma_f64 v[20:21], v[30:31], v[32:33], v[34:35]
	v_add_f64 v[0:1], v[7:8], v[0:1]
	v_add_f64 v[2:3], v[26:27], v[2:3]
	v_fma_f64 v[7:8], v[28:29], v[32:33], -v[40:41]
	s_delay_alu instid0(VALU_DEP_3) | instskip(NEXT) | instid1(VALU_DEP_3)
	v_add_f64 v[0:1], v[0:1], v[22:23]
	v_add_f64 v[2:3], v[2:3], v[18:19]
	s_delay_alu instid0(VALU_DEP_2) | instskip(SKIP_1) | instid1(VALU_DEP_3)
	v_add_f64 v[18:19], v[0:1], v[7:8]
	v_mov_b32_e32 v0, 0
	v_add_f64 v[20:21], v[2:3], v[20:21]
	v_mov_b32_e32 v1, 0
	s_delay_alu instid0(VALU_DEP_1)
	v_dual_mov_b32 v3, v1 :: v_dual_mov_b32 v2, v0
	ds_store_b128 v45, v[18:21]
	s_waitcnt lgkmcnt(0)
	s_barrier
	buffer_gl0_inv
	s_and_saveexec_b32 s21, s4
	s_cbranch_execz .LBB60_60
; %bb.59:
	v_lshlrev_b32_e32 v24, 4, v44
	ds_load_b128 v[0:3], v24
	ds_load_b128 v[18:21], v24 offset:16
	s_waitcnt lgkmcnt(0)
	v_add_f64 v[7:8], v[18:19], v[0:1]
	v_add_f64 v[22:23], v[20:21], v[2:3]
	ds_load_b128 v[0:3], v24 offset:32
	ds_load_b128 v[18:21], v24 offset:48
	s_waitcnt lgkmcnt(1)
	v_add_f64 v[0:1], v[7:8], v[0:1]
	v_add_f64 v[2:3], v[22:23], v[2:3]
	s_waitcnt lgkmcnt(0)
	s_delay_alu instid0(VALU_DEP_2) | instskip(NEXT) | instid1(VALU_DEP_2)
	v_add_f64 v[7:8], v[0:1], v[18:19]
	v_add_f64 v[22:23], v[2:3], v[20:21]
	ds_load_b128 v[0:3], v24 offset:64
	ds_load_b128 v[18:21], v24 offset:80
	s_waitcnt lgkmcnt(1)
	v_add_f64 v[0:1], v[7:8], v[0:1]
	v_add_f64 v[2:3], v[22:23], v[2:3]
	s_waitcnt lgkmcnt(0)
	s_delay_alu instid0(VALU_DEP_2) | instskip(NEXT) | instid1(VALU_DEP_2)
	;; [unrolled: 9-line block ×3, first 2 shown]
	v_add_f64 v[0:1], v[0:1], v[18:19]
	v_add_f64 v[2:3], v[2:3], v[20:21]
.LBB60_60:
	s_or_b32 exec_lo, exec_lo, s21
	s_lshl_b64 s[24:25], s[12:13], 9
	v_cndmask_b32_e64 v18, 0, 1, s9
	v_add_co_u32 v7, vcc_lo, v5, s24
	v_add_co_ci_u32_e32 v8, vcc_lo, s25, v6, vcc_lo
	s_delay_alu instid0(VALU_DEP_2) | instskip(NEXT) | instid1(VALU_DEP_2)
	v_add_co_u32 v5, vcc_lo, 0x200, v7
	v_add_co_ci_u32_e32 v6, vcc_lo, 0, v8, vcc_lo
	s_and_not1_b32 vcc_lo, exec_lo, s9
	s_barrier
	buffer_gl0_inv
	s_cbranch_vccnz .LBB60_62
; %bb.61:
	flat_load_b128 v[19:22], v[5:6]
	v_mul_u32_u24_e32 v23, 33, v9
	s_lshl_b64 s[24:25], s[12:13], 7
	s_delay_alu instid0(VALU_DEP_1) | instskip(SKIP_2) | instid1(VALU_DEP_3)
	v_add_lshl_u32 v26, v23, v4, 4
	v_add_co_u32 v23, vcc_lo, v7, s24
	v_add_co_ci_u32_e32 v24, vcc_lo, s25, v8, vcc_lo
	v_add_nc_u32_e32 v25, 0x1080, v26
	s_waitcnt vmcnt(0) lgkmcnt(0)
	ds_store_2addr_b64 v26, v[19:20], v[21:22] offset1:1
	flat_load_b128 v[19:22], v[23:24] offset:512
	v_add_co_u32 v23, vcc_lo, v23, s24
	v_add_co_ci_u32_e32 v24, vcc_lo, s25, v24, vcc_lo
	s_waitcnt vmcnt(0) lgkmcnt(0)
	ds_store_2addr_b64 v25, v[19:20], v[21:22] offset1:1
	flat_load_b128 v[19:22], v[23:24] offset:512
	v_mad_u64_u32 v[23:24], null, 0x180, s12, v[7:8]
	s_delay_alu instid0(VALU_DEP_1) | instskip(NEXT) | instid1(VALU_DEP_1)
	v_mov_b32_e32 v7, v24
	v_mad_u64_u32 v[24:25], null, 0x180, s13, v[7:8]
	v_add_nc_u32_e32 v7, 0x2100, v26
	s_waitcnt vmcnt(0) lgkmcnt(0)
	ds_store_2addr_b64 v7, v[19:20], v[21:22] offset1:1
	flat_load_b128 v[19:22], v[23:24] offset:512
	v_add_nc_u32_e32 v7, 0x3180, v26
	s_waitcnt vmcnt(0) lgkmcnt(0)
	ds_store_2addr_b64 v7, v[19:20], v[21:22] offset1:1
	s_cbranch_execz .LBB60_63
	s_branch .LBB60_80
.LBB60_62:
.LBB60_63:
	v_or_b32_e32 v7, 32, v4
	s_ashr_i32 s21, s20, 31
	v_mul_u32_u24_e32 v20, 33, v9
	s_lshl_b64 s[24:25], s[20:21], 4
	s_sub_i32 s21, s20, 32
	v_lshlrev_b32_e32 v8, 4, v7
	v_cmp_le_i32_e64 s9, s21, v9
	s_delay_alu instid0(VALU_DEP_2) | instskip(SKIP_1) | instid1(VALU_DEP_2)
	v_sub_co_u32 v8, vcc_lo, v5, v8
	v_subrev_co_ci_u32_e32 v19, vcc_lo, 0, v6, vcc_lo
	v_add_co_u32 v8, vcc_lo, v8, s24
	s_delay_alu instid0(VALU_DEP_2) | instskip(NEXT) | instid1(VALU_DEP_2)
	v_add_co_ci_u32_e32 v19, vcc_lo, s25, v19, vcc_lo
	v_add_co_u32 v21, vcc_lo, v8, -16
	s_delay_alu instid0(VALU_DEP_2) | instskip(SKIP_2) | instid1(VALU_DEP_3)
	v_add_co_ci_u32_e32 v8, vcc_lo, -1, v19, vcc_lo
	v_cmp_gt_i32_e32 vcc_lo, s20, v7
	v_add_lshl_u32 v19, v20, v4, 4
	v_dual_cndmask_b32 v7, v21, v5 :: v_dual_cndmask_b32 v8, v8, v6
	s_and_saveexec_b32 s28, s9
	s_delay_alu instid0(SALU_CYCLE_1)
	s_xor_b32 s9, exec_lo, s28
	s_cbranch_execz .LBB60_65
; %bb.64:
	v_mov_b32_e32 v20, 0
	s_delay_alu instid0(VALU_DEP_1)
	v_mov_b32_e32 v21, v20
	v_mov_b32_e32 v22, v20
	;; [unrolled: 1-line block ×3, first 2 shown]
	ds_store_b128 v19, v[20:23]
.LBB60_65:
	s_and_not1_saveexec_b32 s9, s9
	s_cbranch_execz .LBB60_67
; %bb.66:
	flat_load_b128 v[20:23], v[7:8]
	s_waitcnt vmcnt(0) lgkmcnt(0)
	ds_store_2addr_b64 v19, v[20:21], v[22:23] offset1:1
.LBB60_67:
	s_or_b32 exec_lo, exec_lo, s9
	v_add_nc_u32_e32 v20, 8, v9
	s_delay_alu instid0(VALU_DEP_1) | instskip(NEXT) | instid1(VALU_DEP_1)
	v_cmp_le_i32_e64 s9, s21, v20
	s_and_saveexec_b32 s28, s9
	s_delay_alu instid0(SALU_CYCLE_1)
	s_xor_b32 s9, exec_lo, s28
	s_cbranch_execz .LBB60_69
; %bb.68:
	v_mul_u32_u24_e32 v21, 33, v20
	v_mov_b32_e32 v20, 0
	s_delay_alu instid0(VALU_DEP_2) | instskip(NEXT) | instid1(VALU_DEP_2)
	v_add_lshl_u32 v24, v21, v4, 4
	v_mov_b32_e32 v21, v20
	v_mov_b32_e32 v22, v20
	;; [unrolled: 1-line block ×3, first 2 shown]
	ds_store_b128 v24, v[20:23]
.LBB60_69:
	s_and_not1_saveexec_b32 s28, s9
	s_cbranch_execz .LBB60_71
; %bb.70:
	s_lshl_b64 s[30:31], s[12:13], 7
	v_add_nc_u32_e32 v24, 0x1080, v19
	v_add_co_u32 v20, s9, v7, s30
	s_delay_alu instid0(VALU_DEP_1)
	v_add_co_ci_u32_e64 v21, s9, s31, v8, s9
	flat_load_b128 v[20:23], v[20:21]
	s_waitcnt vmcnt(0) lgkmcnt(0)
	ds_store_2addr_b64 v24, v[20:21], v[22:23] offset1:1
.LBB60_71:
	s_or_b32 exec_lo, exec_lo, s28
	v_add_nc_u32_e32 v20, 16, v9
	s_delay_alu instid0(VALU_DEP_1) | instskip(NEXT) | instid1(VALU_DEP_1)
	v_cmp_le_i32_e64 s9, s21, v20
	s_and_saveexec_b32 s28, s9
	s_delay_alu instid0(SALU_CYCLE_1)
	s_xor_b32 s9, exec_lo, s28
	s_cbranch_execz .LBB60_73
; %bb.72:
	v_mov_b32_e32 v20, 0
	s_delay_alu instid0(VALU_DEP_1)
	v_mov_b32_e32 v21, v20
	v_mov_b32_e32 v22, v20
	;; [unrolled: 1-line block ×3, first 2 shown]
	ds_store_b128 v19, v[20:23] offset:8448
.LBB60_73:
	s_and_not1_saveexec_b32 s28, s9
	s_cbranch_execz .LBB60_75
; %bb.74:
	s_lshl_b64 s[30:31], s[12:13], 8
	v_add_nc_u32_e32 v24, 0x2100, v19
	v_add_co_u32 v20, s9, v7, s30
	s_delay_alu instid0(VALU_DEP_1)
	v_add_co_ci_u32_e64 v21, s9, s31, v8, s9
	flat_load_b128 v[20:23], v[20:21]
	s_waitcnt vmcnt(0) lgkmcnt(0)
	ds_store_2addr_b64 v24, v[20:21], v[22:23] offset1:1
.LBB60_75:
	s_or_b32 exec_lo, exec_lo, s28
	v_add_nc_u32_e32 v20, 24, v9
	s_delay_alu instid0(VALU_DEP_1) | instskip(NEXT) | instid1(VALU_DEP_1)
	v_cmp_le_i32_e64 s9, s21, v20
	s_and_saveexec_b32 s21, s9
	s_delay_alu instid0(SALU_CYCLE_1)
	s_xor_b32 s9, exec_lo, s21
	s_cbranch_execz .LBB60_77
; %bb.76:
	v_mov_b32_e32 v20, 0
	s_delay_alu instid0(VALU_DEP_1)
	v_mov_b32_e32 v21, v20
	v_mov_b32_e32 v22, v20
	;; [unrolled: 1-line block ×3, first 2 shown]
	ds_store_b128 v19, v[20:23] offset:12672
                                        ; implicit-def: $vgpr19
.LBB60_77:
	s_and_not1_saveexec_b32 s9, s9
	s_cbranch_execz .LBB60_79
; %bb.78:
	v_mad_u64_u32 v[20:21], null, 0x180, s12, v[7:8]
	v_add_nc_u32_e32 v19, 0x3180, v19
	s_delay_alu instid0(VALU_DEP_2) | instskip(NEXT) | instid1(VALU_DEP_1)
	v_mad_u64_u32 v[22:23], null, 0x180, s13, v[21:22]
	v_mov_b32_e32 v21, v22
	flat_load_b128 v[20:23], v[20:21]
	s_waitcnt vmcnt(0) lgkmcnt(0)
	ds_store_2addr_b64 v19, v[20:21], v[22:23] offset1:1
.LBB60_79:
	s_or_b32 exec_lo, exec_lo, s9
	v_lshlrev_b32_e32 v19, 4, v4
	s_delay_alu instid0(VALU_DEP_1) | instskip(NEXT) | instid1(VALU_DEP_1)
	v_add_co_u32 v7, s9, v7, v19
	v_add_co_ci_u32_e64 v8, s9, 0, v8, s9
	s_delay_alu instid0(VALU_DEP_2) | instskip(NEXT) | instid1(VALU_DEP_1)
	v_sub_co_u32 v7, s9, v7, s24
	v_subrev_co_ci_u32_e64 v8, s9, s25, v8, s9
	s_delay_alu instid0(VALU_DEP_2) | instskip(NEXT) | instid1(VALU_DEP_1)
	v_add_co_u32 v7, s9, 0x210, v7
	v_add_co_ci_u32_e64 v8, s9, 0, v8, s9
	s_delay_alu instid0(VALU_DEP_1)
	v_dual_cndmask_b32 v5, v7, v5 :: v_dual_cndmask_b32 v6, v8, v6
.LBB60_80:
	v_add_nc_u32_e32 v13, 0x4700, v13
	s_lshl_b64 s[24:25], s[12:13], 5
	s_waitcnt lgkmcnt(0)
	s_barrier
	buffer_gl0_inv
	s_and_saveexec_b32 s9, s5
	s_delay_alu instid0(SALU_CYCLE_1)
	s_xor_b32 s5, exec_lo, s9
	s_cbranch_execnz .LBB60_93
; %bb.81:
	s_and_not1_saveexec_b32 s5, s5
	s_cbranch_execnz .LBB60_96
.LBB60_82:
	s_or_b32 exec_lo, exec_lo, s5
	s_and_saveexec_b32 s5, s6
	s_delay_alu instid0(SALU_CYCLE_1)
	s_xor_b32 s5, exec_lo, s5
	s_cbranch_execnz .LBB60_97
.LBB60_83:
	s_and_not1_saveexec_b32 s5, s5
	s_cbranch_execnz .LBB60_100
.LBB60_84:
	s_or_b32 exec_lo, exec_lo, s5
	s_and_saveexec_b32 s5, s7
	s_delay_alu instid0(SALU_CYCLE_1)
	s_xor_b32 s5, exec_lo, s5
	s_cbranch_execnz .LBB60_101
.LBB60_85:
	s_and_not1_saveexec_b32 s5, s5
	s_cbranch_execnz .LBB60_104
.LBB60_86:
	s_or_b32 exec_lo, exec_lo, s5
	s_and_saveexec_b32 s5, s8
	s_delay_alu instid0(SALU_CYCLE_1)
	s_xor_b32 s5, exec_lo, s5
	s_cbranch_execnz .LBB60_105
.LBB60_87:
	s_and_not1_saveexec_b32 s5, s5
	s_cbranch_execz .LBB60_89
.LBB60_88:
	ds_load_b128 v[19:22], v10 offset:1056
	s_waitcnt lgkmcnt(0)
	v_xor_b32_e32 v22, 0x80000000, v22
	ds_store_b128 v12, v[19:22] offset:48
.LBB60_89:
	s_or_b32 exec_lo, exec_lo, s5
	s_waitcnt lgkmcnt(0)
	s_barrier
	buffer_gl0_inv
	ds_load_b128 v[19:22], v13 offset:512
	ds_load_b128 v[14:17], v16
	ds_load_b128 v[23:26], v10
	ds_load_b128 v[27:30], v13 offset:528
	ds_load_b128 v[31:34], v13 offset:544
	v_cmp_eq_u32_e64 s5, 1, v9
	s_waitcnt lgkmcnt(1)
	v_mul_f64 v[40:41], v[29:30], v[25:26]
	v_mul_f64 v[7:8], v[21:22], v[16:17]
	;; [unrolled: 1-line block ×4, first 2 shown]
	s_delay_alu instid0(VALU_DEP_4) | instskip(NEXT) | instid1(VALU_DEP_4)
	v_fma_f64 v[27:28], v[27:28], v[23:24], -v[40:41]
	v_fma_f64 v[7:8], v[19:20], v[14:15], -v[7:8]
	s_delay_alu instid0(VALU_DEP_4)
	v_fma_f64 v[46:47], v[21:22], v[14:15], v[16:17]
	ds_load_b128 v[14:17], v10 offset:528
	ds_load_b128 v[19:22], v10 offset:1056
	v_fma_f64 v[29:30], v[29:30], v[23:24], v[25:26]
	ds_load_b128 v[23:26], v13 offset:560
	s_waitcnt lgkmcnt(0)
	s_barrier
	buffer_gl0_inv
	v_mul_f64 v[10:11], v[33:34], v[16:17]
	v_mul_f64 v[16:17], v[31:32], v[16:17]
	v_add_f64 v[7:8], v[7:8], 0
	v_add_f64 v[40:41], v[46:47], 0
	v_mul_f64 v[46:47], v[25:26], v[21:22]
	v_mul_f64 v[21:22], v[23:24], v[21:22]
	v_fma_f64 v[10:11], v[31:32], v[14:15], -v[10:11]
	v_fma_f64 v[14:15], v[33:34], v[14:15], v[16:17]
	v_add_f64 v[7:8], v[7:8], v[27:28]
	v_add_f64 v[16:17], v[40:41], v[29:30]
	v_fma_f64 v[23:24], v[23:24], v[19:20], -v[46:47]
	v_fma_f64 v[19:20], v[25:26], v[19:20], v[21:22]
	s_delay_alu instid0(VALU_DEP_4) | instskip(NEXT) | instid1(VALU_DEP_4)
	v_add_f64 v[7:8], v[7:8], v[10:11]
	v_add_f64 v[10:11], v[16:17], v[14:15]
	s_delay_alu instid0(VALU_DEP_2) | instskip(NEXT) | instid1(VALU_DEP_2)
	v_add_f64 v[14:15], v[7:8], v[23:24]
	v_add_f64 v[16:17], v[10:11], v[19:20]
	ds_store_b128 v45, v[14:17]
	s_waitcnt lgkmcnt(0)
	s_barrier
	buffer_gl0_inv
	s_and_saveexec_b32 s6, s5
	s_cbranch_execz .LBB60_91
; %bb.90:
	v_lshlrev_b32_e32 v19, 4, v44
	ds_load_b128 v[0:3], v19
	ds_load_b128 v[14:17], v19 offset:16
	s_waitcnt lgkmcnt(0)
	v_add_f64 v[7:8], v[14:15], v[0:1]
	v_add_f64 v[10:11], v[16:17], v[2:3]
	ds_load_b128 v[0:3], v19 offset:32
	ds_load_b128 v[14:17], v19 offset:48
	s_waitcnt lgkmcnt(1)
	v_add_f64 v[0:1], v[7:8], v[0:1]
	v_add_f64 v[2:3], v[10:11], v[2:3]
	s_waitcnt lgkmcnt(0)
	s_delay_alu instid0(VALU_DEP_2) | instskip(NEXT) | instid1(VALU_DEP_2)
	v_add_f64 v[7:8], v[0:1], v[14:15]
	v_add_f64 v[10:11], v[2:3], v[16:17]
	ds_load_b128 v[0:3], v19 offset:64
	ds_load_b128 v[14:17], v19 offset:80
	s_waitcnt lgkmcnt(1)
	v_add_f64 v[0:1], v[7:8], v[0:1]
	v_add_f64 v[2:3], v[10:11], v[2:3]
	s_waitcnt lgkmcnt(0)
	s_delay_alu instid0(VALU_DEP_2) | instskip(NEXT) | instid1(VALU_DEP_2)
	;; [unrolled: 9-line block ×3, first 2 shown]
	v_add_f64 v[0:1], v[0:1], v[14:15]
	v_add_f64 v[2:3], v[2:3], v[16:17]
.LBB60_91:
	s_or_b32 exec_lo, exec_lo, s6
	s_lshl_b64 s[6:7], s[24:25], 4
	v_cmp_ne_u32_e32 vcc_lo, 1, v18
	v_sub_co_u32 v40, s6, v5, s6
	s_delay_alu instid0(VALU_DEP_1)
	v_subrev_co_ci_u32_e64 v41, s6, s7, v6, s6
	s_barrier
	buffer_gl0_inv
	s_cbranch_vccnz .LBB60_108
; %bb.92:
	flat_load_b128 v[5:8], v[40:41]
	v_mad_u32_u24 v10, v9, 33, v4
	s_lshl_b64 s[6:7], s[12:13], 7
	s_delay_alu instid0(SALU_CYCLE_1) | instskip(NEXT) | instid1(VALU_DEP_2)
	v_add_co_u32 v14, vcc_lo, v40, s6
	v_lshlrev_b32_e32 v19, 4, v10
	v_add_co_ci_u32_e32 v15, vcc_lo, s7, v41, vcc_lo
	s_delay_alu instid0(VALU_DEP_2)
	v_add_nc_u32_e32 v11, 0x1080, v19
	s_waitcnt vmcnt(0) lgkmcnt(0)
	ds_store_2addr_b64 v19, v[5:6], v[7:8] offset1:1
	flat_load_b128 v[5:8], v[14:15]
	v_add_co_u32 v14, vcc_lo, v14, s6
	v_add_co_ci_u32_e32 v15, vcc_lo, s7, v15, vcc_lo
	s_waitcnt vmcnt(0) lgkmcnt(0)
	ds_store_2addr_b64 v11, v[5:6], v[7:8] offset1:1
	flat_load_b128 v[5:8], v[14:15]
	v_mad_u64_u32 v[14:15], null, 0x180, s12, v[40:41]
	s_delay_alu instid0(VALU_DEP_1) | instskip(NEXT) | instid1(VALU_DEP_1)
	v_mov_b32_e32 v11, v15
	v_mad_u64_u32 v[15:16], null, 0x180, s13, v[11:12]
	v_add_nc_u32_e32 v11, 0x2100, v19
	v_add_nc_u32_e32 v19, 0x3180, v19
	s_waitcnt vmcnt(0) lgkmcnt(0)
	ds_store_2addr_b64 v11, v[5:6], v[7:8] offset1:1
	v_add_nc_u32_e32 v6, 0x108, v10
	flat_load_b128 v[15:18], v[14:15]
	v_add_nc_u32_e32 v7, 8, v9
	v_add_nc_u32_e32 v8, 16, v9
	;; [unrolled: 1-line block ×5, first 2 shown]
	s_waitcnt vmcnt(0) lgkmcnt(0)
	ds_store_2addr_b64 v19, v[15:16], v[17:18] offset1:1
	s_cbranch_execz .LBB60_109
	s_branch .LBB60_126
.LBB60_93:
	s_mov_b32 s9, exec_lo
	v_cmpx_eq_u32_e64 v11, v4
	s_cbranch_execz .LBB60_95
; %bb.94:
	v_mul_u32_u24_e32 v8, 34, v4
	v_mov_b32_e32 v7, 0
	s_delay_alu instid0(VALU_DEP_1)
	v_dual_mov_b32 v8, v7 :: v_dual_lshlrev_b32 v11, 4, v8
	ds_store_b64 v11, v[7:8] offset:8
.LBB60_95:
	s_or_b32 exec_lo, exec_lo, s9
	s_and_not1_saveexec_b32 s5, s5
	s_cbranch_execz .LBB60_82
.LBB60_96:
	ds_load_b128 v[19:22], v16
	s_waitcnt lgkmcnt(0)
	v_xor_b32_e32 v22, 0x80000000, v22
	ds_store_b128 v12, v[19:22]
	s_or_b32 exec_lo, exec_lo, s5
	s_and_saveexec_b32 s5, s6
	s_delay_alu instid0(SALU_CYCLE_1)
	s_xor_b32 s5, exec_lo, s5
	s_cbranch_execz .LBB60_83
.LBB60_97:
	s_mov_b32 s6, exec_lo
	v_cmpx_eq_u32_e64 v14, v4
	s_cbranch_execz .LBB60_99
; %bb.98:
	v_mul_u32_u24_e32 v8, 34, v4
	v_mov_b32_e32 v7, 0
	s_delay_alu instid0(VALU_DEP_1)
	v_dual_mov_b32 v8, v7 :: v_dual_lshlrev_b32 v11, 4, v8
	ds_store_b64 v11, v[7:8] offset:8
.LBB60_99:
	s_or_b32 exec_lo, exec_lo, s6
	s_and_not1_saveexec_b32 s5, s5
	s_cbranch_execz .LBB60_84
.LBB60_100:
	ds_load_b128 v[19:22], v10
	s_waitcnt lgkmcnt(0)
	v_xor_b32_e32 v22, 0x80000000, v22
	ds_store_b128 v12, v[19:22] offset:16
	s_or_b32 exec_lo, exec_lo, s5
	s_and_saveexec_b32 s5, s7
	s_delay_alu instid0(SALU_CYCLE_1)
	s_xor_b32 s5, exec_lo, s5
	s_cbranch_execz .LBB60_85
.LBB60_101:
	s_mov_b32 s6, exec_lo
	v_cmpx_eq_u32_e64 v15, v4
	s_cbranch_execz .LBB60_103
; %bb.102:
	v_mul_u32_u24_e32 v8, 34, v4
	v_mov_b32_e32 v7, 0
	s_delay_alu instid0(VALU_DEP_1)
	v_dual_mov_b32 v8, v7 :: v_dual_lshlrev_b32 v11, 4, v8
	ds_store_b64 v11, v[7:8] offset:8
.LBB60_103:
	s_or_b32 exec_lo, exec_lo, s6
	s_and_not1_saveexec_b32 s5, s5
	s_cbranch_execz .LBB60_86
.LBB60_104:
	ds_load_b128 v[19:22], v10 offset:528
	s_waitcnt lgkmcnt(0)
	v_xor_b32_e32 v22, 0x80000000, v22
	ds_store_b128 v12, v[19:22] offset:32
	s_or_b32 exec_lo, exec_lo, s5
	s_and_saveexec_b32 s5, s8
	s_delay_alu instid0(SALU_CYCLE_1)
	s_xor_b32 s5, exec_lo, s5
	s_cbranch_execz .LBB60_87
.LBB60_105:
	s_mov_b32 s6, exec_lo
	v_cmpx_eq_u32_e64 v17, v4
	s_cbranch_execz .LBB60_107
; %bb.106:
	v_mul_u32_u24_e32 v8, 34, v4
	v_mov_b32_e32 v7, 0
	s_delay_alu instid0(VALU_DEP_1)
	v_dual_mov_b32 v8, v7 :: v_dual_lshlrev_b32 v11, 4, v8
	ds_store_b64 v11, v[7:8] offset:8
.LBB60_107:
	s_or_b32 exec_lo, exec_lo, s6
	s_and_not1_saveexec_b32 s5, s5
	s_cbranch_execnz .LBB60_88
	s_branch .LBB60_89
.LBB60_108:
                                        ; implicit-def: $vgpr10
                                        ; implicit-def: $vgpr7
                                        ; implicit-def: $vgpr6
                                        ; implicit-def: $vgpr8
                                        ; implicit-def: $vgpr5
                                        ; implicit-def: $vgpr11
                                        ; implicit-def: $vgpr14
.LBB60_109:
	v_or_b32_e32 v5, 32, v4
	s_ashr_i32 s21, s20, 31
	v_mad_u32_u24 v10, v9, 33, v4
	s_lshl_b64 s[8:9], s[20:21], 4
	v_cmp_le_i32_e64 s6, s20, v9
	v_lshlrev_b32_e32 v6, 4, v5
	s_delay_alu instid0(VALU_DEP_3) | instskip(NEXT) | instid1(VALU_DEP_2)
	v_lshlrev_b32_e32 v15, 4, v10
	v_sub_co_u32 v6, vcc_lo, v40, v6
	v_subrev_co_ci_u32_e32 v7, vcc_lo, 0, v41, vcc_lo
	s_delay_alu instid0(VALU_DEP_2) | instskip(NEXT) | instid1(VALU_DEP_2)
	v_add_co_u32 v6, vcc_lo, v6, s8
	v_add_co_ci_u32_e32 v7, vcc_lo, s9, v7, vcc_lo
	s_delay_alu instid0(VALU_DEP_2) | instskip(NEXT) | instid1(VALU_DEP_2)
	v_add_co_u32 v8, vcc_lo, v6, -16
	v_add_co_ci_u32_e32 v6, vcc_lo, -1, v7, vcc_lo
	v_cmp_gt_i32_e32 vcc_lo, s20, v5
	s_delay_alu instid0(VALU_DEP_2) | instskip(SKIP_1) | instid1(SALU_CYCLE_1)
	v_dual_cndmask_b32 v5, v8, v40 :: v_dual_cndmask_b32 v6, v6, v41
	s_and_saveexec_b32 s7, s6
	s_xor_b32 s6, exec_lo, s7
	s_cbranch_execz .LBB60_111
; %bb.110:
	v_mov_b32_e32 v16, 0
	s_delay_alu instid0(VALU_DEP_1)
	v_mov_b32_e32 v17, v16
	v_mov_b32_e32 v18, v16
	;; [unrolled: 1-line block ×3, first 2 shown]
	ds_store_b128 v15, v[16:19]
.LBB60_111:
	s_and_not1_saveexec_b32 s6, s6
	s_cbranch_execz .LBB60_113
; %bb.112:
	flat_load_b128 v[16:19], v[5:6]
	s_waitcnt vmcnt(0) lgkmcnt(0)
	ds_store_2addr_b64 v15, v[16:17], v[18:19] offset1:1
.LBB60_113:
	s_or_b32 exec_lo, exec_lo, s6
	v_add_nc_u32_e32 v7, 8, v9
	s_delay_alu instid0(VALU_DEP_1) | instskip(NEXT) | instid1(VALU_DEP_1)
	v_cmp_le_i32_e64 s6, s20, v7
	s_and_saveexec_b32 s7, s6
	s_delay_alu instid0(SALU_CYCLE_1)
	s_xor_b32 s6, exec_lo, s7
	s_cbranch_execz .LBB60_115
; %bb.114:
	v_mul_u32_u24_e32 v8, 33, v7
	v_mov_b32_e32 v16, 0
	s_delay_alu instid0(VALU_DEP_2) | instskip(NEXT) | instid1(VALU_DEP_2)
	v_add_lshl_u32 v8, v8, v4, 4
	v_mov_b32_e32 v17, v16
	v_mov_b32_e32 v18, v16
	;; [unrolled: 1-line block ×3, first 2 shown]
	ds_store_b128 v8, v[16:19]
.LBB60_115:
	s_and_not1_saveexec_b32 s7, s6
	s_cbranch_execz .LBB60_117
; %bb.116:
	s_lshl_b64 s[24:25], s[12:13], 7
	v_add_nc_u32_e32 v8, 0x1080, v15
	v_add_co_u32 v16, s6, v5, s24
	s_delay_alu instid0(VALU_DEP_1)
	v_add_co_ci_u32_e64 v17, s6, s25, v6, s6
	flat_load_b128 v[16:19], v[16:17]
	s_waitcnt vmcnt(0) lgkmcnt(0)
	ds_store_2addr_b64 v8, v[16:17], v[18:19] offset1:1
.LBB60_117:
	s_or_b32 exec_lo, exec_lo, s7
	v_add_nc_u32_e32 v8, 16, v9
	s_delay_alu instid0(VALU_DEP_1) | instskip(NEXT) | instid1(VALU_DEP_1)
	v_cmp_le_i32_e64 s6, s20, v8
	s_and_saveexec_b32 s7, s6
	s_delay_alu instid0(SALU_CYCLE_1)
	s_xor_b32 s6, exec_lo, s7
	s_cbranch_execz .LBB60_119
; %bb.118:
	v_mul_u32_u24_e32 v11, 33, v8
	v_mov_b32_e32 v16, 0
	s_delay_alu instid0(VALU_DEP_2) | instskip(NEXT) | instid1(VALU_DEP_2)
	v_add_lshl_u32 v11, v11, v4, 4
	v_mov_b32_e32 v17, v16
	v_mov_b32_e32 v18, v16
	v_mov_b32_e32 v19, v16
	ds_store_b128 v11, v[16:19]
.LBB60_119:
	s_and_not1_saveexec_b32 s7, s6
	s_cbranch_execz .LBB60_121
; %bb.120:
	s_lshl_b64 s[24:25], s[12:13], 8
	v_add_nc_u32_e32 v11, 0x2100, v15
	v_add_co_u32 v16, s6, v5, s24
	s_delay_alu instid0(VALU_DEP_1)
	v_add_co_ci_u32_e64 v17, s6, s25, v6, s6
	flat_load_b128 v[16:19], v[16:17]
	s_waitcnt vmcnt(0) lgkmcnt(0)
	ds_store_2addr_b64 v11, v[16:17], v[18:19] offset1:1
.LBB60_121:
	s_or_b32 exec_lo, exec_lo, s7
	v_add_nc_u32_e32 v11, 24, v9
                                        ; implicit-def: $vgpr14
	s_delay_alu instid0(VALU_DEP_1) | instskip(NEXT) | instid1(VALU_DEP_1)
	v_cmp_le_i32_e64 s6, s20, v11
	s_and_saveexec_b32 s7, s6
	s_delay_alu instid0(SALU_CYCLE_1)
	s_xor_b32 s6, exec_lo, s7
	s_cbranch_execz .LBB60_123
; %bb.122:
	v_mov_b32_e32 v16, 0
	s_delay_alu instid0(VALU_DEP_1)
	v_dual_mov_b32 v17, v16 :: v_dual_add_nc_u32 v14, 0x318, v10
	v_mov_b32_e32 v18, v16
	v_mov_b32_e32 v19, v16
	ds_store_b128 v15, v[16:19] offset:12672
                                        ; implicit-def: $vgpr15
.LBB60_123:
	s_and_not1_saveexec_b32 s6, s6
	s_cbranch_execz .LBB60_125
; %bb.124:
	v_mad_u64_u32 v[16:17], null, 0x180, s12, v[5:6]
	s_delay_alu instid0(VALU_DEP_1) | instskip(NEXT) | instid1(VALU_DEP_1)
	v_mov_b32_e32 v14, v17
	v_mad_u64_u32 v[17:18], null, 0x180, s13, v[14:15]
	v_add_nc_u32_e32 v15, 0x3180, v15
	v_add_nc_u32_e32 v14, 0x318, v10
	flat_load_b128 v[16:19], v[16:17]
	s_waitcnt vmcnt(0) lgkmcnt(0)
	ds_store_2addr_b64 v15, v[16:17], v[18:19] offset1:1
.LBB60_125:
	s_or_b32 exec_lo, exec_lo, s6
	v_lshlrev_b32_e32 v4, 4, v4
	s_delay_alu instid0(VALU_DEP_1) | instskip(NEXT) | instid1(VALU_DEP_1)
	v_add_co_u32 v4, s6, v5, v4
	v_add_co_ci_u32_e64 v5, s6, 0, v6, s6
	v_add_nc_u32_e32 v6, 0x108, v10
	s_delay_alu instid0(VALU_DEP_3) | instskip(NEXT) | instid1(VALU_DEP_1)
	v_sub_co_u32 v4, s6, v4, s8
	v_subrev_co_ci_u32_e64 v5, s6, s9, v5, s6
	s_delay_alu instid0(VALU_DEP_2) | instskip(NEXT) | instid1(VALU_DEP_1)
	v_add_co_u32 v4, s6, 0x210, v4
	v_add_co_ci_u32_e64 v5, s6, 0, v5, s6
	s_delay_alu instid0(VALU_DEP_1)
	v_dual_cndmask_b32 v40, v4, v40 :: v_dual_cndmask_b32 v41, v5, v41
	v_add_nc_u32_e32 v5, 0x210, v10
.LBB60_126:
	v_lshlrev_b32_e32 v4, 4, v9
	v_lshlrev_b32_e32 v9, 4, v10
	s_waitcnt lgkmcnt(0)
	s_barrier
	buffer_gl0_inv
	ds_load_b128 v[15:18], v4 offset:18176
	ds_load_b128 v[19:22], v9
	v_lshlrev_b32_e32 v4, 4, v7
	v_lshlrev_b32_e32 v6, 4, v6
	;; [unrolled: 1-line block ×3, first 2 shown]
	s_waitcnt lgkmcnt(0)
	v_mul_f64 v[9:10], v[17:18], v[21:22]
	v_mul_f64 v[29:30], v[15:16], v[21:22]
	ds_load_b128 v[21:24], v4 offset:18176
	ds_load_b128 v[25:28], v6
	v_lshlrev_b32_e32 v4, 4, v8
	v_lshlrev_b32_e32 v8, 4, v5
	s_waitcnt lgkmcnt(0)
	v_mul_f64 v[31:32], v[23:24], v[27:28]
	v_mul_f64 v[27:28], v[21:22], v[27:28]
	v_fma_f64 v[9:10], v[15:16], v[19:20], -v[9:10]
	v_fma_f64 v[19:20], v[17:18], v[19:20], v[29:30]
	ds_load_b128 v[4:7], v4 offset:18176
	ds_load_b128 v[15:18], v8
	v_lshlrev_b32_e32 v8, 4, v11
	s_waitcnt lgkmcnt(0)
	v_mul_f64 v[29:30], v[6:7], v[17:18]
	v_mul_f64 v[33:34], v[4:5], v[17:18]
	v_fma_f64 v[21:22], v[21:22], v[25:26], -v[31:32]
	v_fma_f64 v[23:24], v[23:24], v[25:26], v[27:28]
	v_add_f64 v[25:26], v[9:10], 0
	v_add_f64 v[27:28], v[19:20], 0
	ds_load_b128 v[8:11], v8 offset:18176
	ds_load_b128 v[17:20], v14
	s_waitcnt lgkmcnt(0)
	v_mul_f64 v[31:32], v[10:11], v[19:20]
	v_mul_f64 v[19:20], v[8:9], v[19:20]
	v_fma_f64 v[4:5], v[4:5], v[15:16], -v[29:30]
	v_fma_f64 v[6:7], v[6:7], v[15:16], v[33:34]
	v_add_f64 v[14:15], v[25:26], v[21:22]
	v_add_f64 v[21:22], v[27:28], v[23:24]
	v_fma_f64 v[8:9], v[8:9], v[17:18], -v[31:32]
	v_fma_f64 v[10:11], v[10:11], v[17:18], v[19:20]
	s_delay_alu instid0(VALU_DEP_4) | instskip(NEXT) | instid1(VALU_DEP_4)
	v_add_f64 v[4:5], v[14:15], v[4:5]
	v_add_f64 v[6:7], v[21:22], v[6:7]
	s_delay_alu instid0(VALU_DEP_2) | instskip(NEXT) | instid1(VALU_DEP_2)
	v_add_f64 v[46:47], v[4:5], v[8:9]
	v_add_f64 v[48:49], v[6:7], v[10:11]
	ds_load_b128 v[28:31], v12
	ds_load_b128 v[20:23], v12 offset:16
	ds_load_b128 v[8:11], v12 offset:32
	;; [unrolled: 1-line block ×7, first 2 shown]
	s_waitcnt lgkmcnt(0)
	s_barrier
	buffer_gl0_inv
	ds_store_b128 v45, v[46:49]
	s_waitcnt lgkmcnt(0)
	s_barrier
	buffer_gl0_inv
	s_and_saveexec_b32 s6, s5
	s_cbranch_execz .LBB60_128
; %bb.127:
	v_lshlrev_b32_e32 v54, 4, v44
	ds_load_b128 v[46:49], v54
	ds_load_b128 v[50:53], v54 offset:16
	s_waitcnt lgkmcnt(1)
	v_add_f64 v[0:1], v[0:1], v[46:47]
	v_add_f64 v[2:3], v[2:3], v[48:49]
	s_waitcnt lgkmcnt(0)
	s_delay_alu instid0(VALU_DEP_2) | instskip(NEXT) | instid1(VALU_DEP_2)
	v_add_f64 v[50:51], v[0:1], v[50:51]
	v_add_f64 v[52:53], v[2:3], v[52:53]
	ds_load_b128 v[0:3], v54 offset:32
	ds_load_b128 v[46:49], v54 offset:48
	s_waitcnt lgkmcnt(1)
	v_add_f64 v[0:1], v[50:51], v[0:1]
	v_add_f64 v[2:3], v[52:53], v[2:3]
	s_waitcnt lgkmcnt(0)
	s_delay_alu instid0(VALU_DEP_2) | instskip(NEXT) | instid1(VALU_DEP_2)
	v_add_f64 v[50:51], v[0:1], v[46:47]
	v_add_f64 v[52:53], v[2:3], v[48:49]
	ds_load_b128 v[0:3], v54 offset:64
	;; [unrolled: 9-line block ×3, first 2 shown]
	ds_load_b128 v[46:49], v54 offset:112
	s_waitcnt lgkmcnt(1)
	v_add_f64 v[0:1], v[50:51], v[0:1]
	v_add_f64 v[2:3], v[52:53], v[2:3]
	s_waitcnt lgkmcnt(0)
	s_delay_alu instid0(VALU_DEP_2) | instskip(NEXT) | instid1(VALU_DEP_2)
	v_add_f64 v[0:1], v[0:1], v[46:47]
	v_add_f64 v[2:3], v[2:3], v[48:49]
.LBB60_128:
	s_or_b32 exec_lo, exec_lo, s6
	v_mul_f64 v[46:47], v[30:31], v[34:35]
	v_mul_f64 v[30:31], v[30:31], v[32:33]
	;; [unrolled: 1-line block ×4, first 2 shown]
	s_barrier
	buffer_gl0_inv
	v_fma_f64 v[32:33], v[28:29], v[32:33], v[46:47]
	v_fma_f64 v[28:29], v[28:29], v[34:35], -v[30:31]
	v_mul_f64 v[30:31], v[10:11], v[18:19]
	v_mul_f64 v[10:11], v[10:11], v[16:17]
	v_fma_f64 v[24:25], v[20:21], v[24:25], v[48:49]
	v_fma_f64 v[20:21], v[20:21], v[26:27], -v[22:23]
	v_add_f64 v[22:23], v[32:33], 0
	v_add_f64 v[26:27], v[28:29], 0
	v_mul_f64 v[28:29], v[6:7], v[14:15]
	v_mul_f64 v[6:7], v[6:7], v[12:13]
	v_fma_f64 v[16:17], v[8:9], v[16:17], v[30:31]
	v_fma_f64 v[8:9], v[8:9], v[18:19], -v[10:11]
	v_add_f64 v[10:11], v[22:23], v[24:25]
	v_add_f64 v[18:19], v[26:27], v[20:21]
	v_fma_f64 v[12:13], v[4:5], v[12:13], v[28:29]
	v_fma_f64 v[6:7], v[4:5], v[14:15], -v[6:7]
	s_delay_alu instid0(VALU_DEP_4) | instskip(NEXT) | instid1(VALU_DEP_4)
	v_add_f64 v[4:5], v[10:11], v[16:17]
	v_add_f64 v[8:9], v[18:19], v[8:9]
	s_delay_alu instid0(VALU_DEP_2) | instskip(NEXT) | instid1(VALU_DEP_2)
	v_add_f64 v[4:5], v[4:5], v[12:13]
	v_add_f64 v[6:7], v[8:9], v[6:7]
	ds_store_b128 v45, v[4:7]
	s_waitcnt lgkmcnt(0)
	s_barrier
	buffer_gl0_inv
	s_and_saveexec_b32 s5, s4
	s_cbranch_execz .LBB60_130
; %bb.129:
	v_lshlrev_b32_e32 v12, 4, v44
	ds_load_b128 v[4:7], v12
	ds_load_b128 v[8:11], v12 offset:16
	s_waitcnt lgkmcnt(1)
	v_add_f64 v[0:1], v[0:1], v[4:5]
	v_add_f64 v[2:3], v[2:3], v[6:7]
	s_waitcnt lgkmcnt(0)
	s_delay_alu instid0(VALU_DEP_2) | instskip(NEXT) | instid1(VALU_DEP_2)
	v_add_f64 v[8:9], v[0:1], v[8:9]
	v_add_f64 v[10:11], v[2:3], v[10:11]
	ds_load_b128 v[0:3], v12 offset:32
	ds_load_b128 v[4:7], v12 offset:48
	s_waitcnt lgkmcnt(1)
	v_add_f64 v[0:1], v[8:9], v[0:1]
	v_add_f64 v[2:3], v[10:11], v[2:3]
	s_waitcnt lgkmcnt(0)
	s_delay_alu instid0(VALU_DEP_2) | instskip(NEXT) | instid1(VALU_DEP_2)
	v_add_f64 v[8:9], v[0:1], v[4:5]
	v_add_f64 v[10:11], v[2:3], v[6:7]
	ds_load_b128 v[0:3], v12 offset:64
	ds_load_b128 v[4:7], v12 offset:80
	s_waitcnt lgkmcnt(1)
	v_add_f64 v[0:1], v[8:9], v[0:1]
	v_add_f64 v[2:3], v[10:11], v[2:3]
	s_waitcnt lgkmcnt(0)
	s_delay_alu instid0(VALU_DEP_2) | instskip(NEXT) | instid1(VALU_DEP_2)
	v_add_f64 v[8:9], v[0:1], v[4:5]
	v_add_f64 v[10:11], v[2:3], v[6:7]
	ds_load_b128 v[0:3], v12 offset:96
	ds_load_b128 v[4:7], v12 offset:112
	s_waitcnt lgkmcnt(1)
	v_add_f64 v[0:1], v[8:9], v[0:1]
	v_add_f64 v[2:3], v[10:11], v[2:3]
	s_waitcnt lgkmcnt(0)
	s_delay_alu instid0(VALU_DEP_2) | instskip(NEXT) | instid1(VALU_DEP_2)
	v_add_f64 v[0:1], v[0:1], v[4:5]
	v_add_f64 v[2:3], v[2:3], v[6:7]
.LBB60_130:
	s_or_b32 exec_lo, exec_lo, s5
	s_load_b64 s[0:1], s[0:1], 0x78
	s_mul_hi_u32 s4, s15, s16
	s_mul_i32 s26, s26, s16
	s_mul_i32 s5, s15, s16
	s_add_i32 s4, s4, s26
	s_mul_hi_u32 s6, s5, s17
	s_mul_i32 s7, s4, s17
	s_mul_i32 s4, s5, s17
	s_add_i32 s5, s6, s7
	s_mul_i32 s6, s14, s15
	s_lshl_b64 s[4:5], s[4:5], 4
	v_cmp_le_i32_e32 vcc_lo, s20, v42
	v_lshlrev_b32_e32 v139, 4, v42
	s_waitcnt lgkmcnt(0)
	s_barrier
	buffer_gl0_inv
	s_add_u32 s4, s0, s4
	s_addc_u32 s5, s1, s5
	s_ashr_i32 s7, s6, 31
	s_delay_alu instid0(SALU_CYCLE_1) | instskip(NEXT) | instid1(SALU_CYCLE_1)
	s_lshl_b64 s[0:1], s[6:7], 4
	s_add_u32 s6, s4, s0
	s_addc_u32 s7, s5, s1
	s_and_b32 vcc_lo, s27, vcc_lo
	s_cmp_lt_i32 s14, 1
	s_cbranch_scc1 .LBB60_137
; %bb.131:
	v_dual_mov_b32 v135, 0 :: v_dual_lshlrev_b32 v8, 2, v138
	s_ashr_i32 s21, s20, 31
	s_mul_i32 s1, s18, s11
	s_lshl_b64 s[8:9], s[20:21], 4
	s_delay_alu instid0(VALU_DEP_1)
	v_mad_u64_u32 v[4:5], null, v8, s12, 0
	s_mul_hi_u32 s5, s18, s10
	v_lshlrev_b32_e32 v10, 2, v43
	s_mul_i32 s15, s19, s10
	s_add_i32 s1, s5, s1
	s_mul_i32 s4, s18, s10
	s_add_i32 s5, s1, s15
	s_delay_alu instid0(VALU_DEP_2) | instskip(SKIP_2) | instid1(VALU_DEP_1)
	v_mad_u64_u32 v[6:7], null, v8, s13, v[5:6]
	v_add_nc_u32_e32 v140, 0x4300, v139
	v_sub_co_u32 v7, s0, v40, s22
	v_subrev_co_ci_u32_e64 v8, s0, s23, v41, s0
	s_lshl_b64 s[4:5], s[4:5], 4
	s_delay_alu instid0(VALU_DEP_4) | instskip(NEXT) | instid1(VALU_DEP_3)
	v_mov_b32_e32 v5, v6
	v_sub_co_u32 v7, s0, v7, v38
	s_delay_alu instid0(VALU_DEP_1) | instskip(NEXT) | instid1(VALU_DEP_3)
	v_sub_co_ci_u32_e64 v8, s0, v8, v39, s0
	v_lshlrev_b64 v[4:5], 4, v[4:5]
	v_and_b32_e32 v10, 0x7ffc0, v10
	v_add_nc_u32_e32 v141, 0x4700, v139
	v_lshl_add_u32 v147, v138, 6, 0x4300
	v_mad_u32_u24 v148, 0x10c0, v138, v139
	s_mul_i32 s1, s13, 0xd0
	v_add_co_u32 v4, s0, v7, v4
	s_delay_alu instid0(VALU_DEP_1) | instskip(NEXT) | instid1(VALU_DEP_2)
	v_add_co_ci_u32_e64 v5, s0, v8, v5, s0
	v_add_co_u32 v4, s0, 0xfffffe00, v4
	s_delay_alu instid0(VALU_DEP_1) | instskip(NEXT) | instid1(VALU_DEP_2)
	v_add_co_ci_u32_e64 v5, s0, -1, v5, s0
	v_add_co_u32 v8, s0, v4, s8
	s_delay_alu instid0(VALU_DEP_1) | instskip(SKIP_1) | instid1(VALU_DEP_1)
	v_add_co_ci_u32_e64 v11, s0, s9, v5, s0
	v_add_co_u32 v4, s0, v4, v139
	v_add_co_ci_u32_e64 v5, s0, 0, v5, s0
	s_delay_alu instid0(VALU_DEP_4) | instskip(NEXT) | instid1(VALU_DEP_1)
	v_add_co_u32 v8, s0, v8, -16
	v_add_co_ci_u32_e64 v11, s0, -1, v11, s0
	v_and_b32_e32 v6, 48, v42
	s_delay_alu instid0(VALU_DEP_3) | instskip(NEXT) | instid1(VALU_DEP_3)
	v_dual_cndmask_b32 v4, v4, v8 :: v_dual_and_b32 v9, 15, v42
	v_cndmask_b32_e32 v5, v5, v11, vcc_lo
	v_or_b32_e32 v8, 0xf0, v139
	s_delay_alu instid0(VALU_DEP_4) | instskip(SKIP_1) | instid1(VALU_DEP_1)
	v_lshlrev_b32_e32 v7, 4, v6
	v_sub_co_u32 v142, s0, v36, s4
	v_subrev_co_ci_u32_e64 v143, s0, s5, v37, s0
	s_delay_alu instid0(VALU_DEP_3)
	v_mad_u32_u24 v144, 0x430, v9, v7
	v_and_b32_e32 v7, 0x1fff0, v43
	v_cmp_gt_u32_e64 s0, 64, v43
	v_mad_u32_u24 v145, 0x430, v9, v8
	v_mad_u32_u24 v146, 0x430, v9, v10
	v_or_b32_e32 v150, v6, v9
	v_mad_u32_u24 v149, 0x430, v9, v7
	s_mul_hi_u32 s8, s12, 0xd0
	s_lshl_b64 s[4:5], s[12:13], 4
	s_add_i32 s8, s8, s1
	s_mul_i32 s9, s12, 0xd0
	s_mov_b32 s12, 0
	s_branch .LBB60_133
.LBB60_132:                             ;   in Loop: Header=BB60_133 Depth=1
	s_or_b32 exec_lo, exec_lo, s13
	v_mul_f64 v[151:152], v[10:11], v[38:39]
	v_mul_f64 v[38:39], v[8:9], v[38:39]
	;; [unrolled: 1-line block ×4, first 2 shown]
	s_add_i32 s14, s14, -1
	s_add_i32 s12, s12, 64
	s_cmp_eq_u32 s14, 0
	s_waitcnt_vscnt null, 0x0
	s_barrier
	buffer_gl0_inv
	v_fma_f64 v[8:9], v[8:9], v[36:37], -v[151:152]
	v_fma_f64 v[10:11], v[10:11], v[36:37], v[38:39]
	v_mul_f64 v[36:37], v[14:15], v[46:47]
	v_mul_f64 v[38:39], v[12:13], v[46:47]
	v_fma_f64 v[16:17], v[16:17], v[48:49], -v[153:154]
	v_fma_f64 v[18:19], v[18:19], v[48:49], v[50:51]
	v_add_f64 v[0:1], v[0:1], v[8:9]
	v_add_f64 v[2:3], v[2:3], v[10:11]
	v_mul_f64 v[8:9], v[6:7], v[42:43]
	v_mul_f64 v[10:11], v[4:5], v[42:43]
	v_fma_f64 v[12:13], v[12:13], v[44:45], -v[36:37]
	v_fma_f64 v[14:15], v[14:15], v[44:45], v[38:39]
	v_add_f64 v[0:1], v[0:1], v[16:17]
	v_add_f64 v[2:3], v[2:3], v[18:19]
	v_mul_f64 v[16:17], v[34:35], v[74:75]
	v_mul_f64 v[18:19], v[32:33], v[74:75]
	v_fma_f64 v[4:5], v[4:5], v[40:41], -v[8:9]
	v_fma_f64 v[6:7], v[6:7], v[40:41], v[10:11]
	v_mul_f64 v[8:9], v[30:31], v[82:83]
	v_mul_f64 v[10:11], v[28:29], v[82:83]
	v_add_f64 v[0:1], v[0:1], v[12:13]
	v_add_f64 v[2:3], v[2:3], v[14:15]
	v_fma_f64 v[12:13], v[32:33], v[72:73], -v[16:17]
	v_fma_f64 v[14:15], v[34:35], v[72:73], v[18:19]
	v_fma_f64 v[8:9], v[28:29], v[80:81], -v[8:9]
	v_fma_f64 v[10:11], v[30:31], v[80:81], v[10:11]
	v_add_f64 v[0:1], v[0:1], v[4:5]
	v_add_f64 v[2:3], v[2:3], v[6:7]
	v_mul_f64 v[4:5], v[26:27], v[78:79]
	v_mul_f64 v[6:7], v[24:25], v[78:79]
	s_delay_alu instid0(VALU_DEP_4) | instskip(NEXT) | instid1(VALU_DEP_4)
	v_add_f64 v[0:1], v[0:1], v[12:13]
	v_add_f64 v[2:3], v[2:3], v[14:15]
	v_mul_f64 v[12:13], v[22:23], v[70:71]
	v_mul_f64 v[14:15], v[20:21], v[70:71]
	v_fma_f64 v[4:5], v[24:25], v[76:77], -v[4:5]
	v_fma_f64 v[6:7], v[26:27], v[76:77], v[6:7]
	v_add_f64 v[0:1], v[0:1], v[8:9]
	v_add_f64 v[2:3], v[2:3], v[10:11]
	v_mul_f64 v[8:9], v[66:67], v[102:103]
	v_mul_f64 v[10:11], v[64:65], v[102:103]
	v_fma_f64 v[12:13], v[20:21], v[68:69], -v[12:13]
	v_fma_f64 v[14:15], v[22:23], v[68:69], v[14:15]
	;; [unrolled: 6-line block ×9, first 2 shown]
	v_add_f64 v[0:1], v[0:1], v[12:13]
	v_add_f64 v[2:3], v[2:3], v[14:15]
	v_fma_f64 v[4:5], v[104:105], v[120:121], -v[4:5]
	v_fma_f64 v[6:7], v[106:107], v[120:121], v[6:7]
	s_delay_alu instid0(VALU_DEP_4) | instskip(NEXT) | instid1(VALU_DEP_4)
	v_add_f64 v[0:1], v[0:1], v[8:9]
	v_add_f64 v[2:3], v[2:3], v[10:11]
	s_delay_alu instid0(VALU_DEP_2) | instskip(NEXT) | instid1(VALU_DEP_2)
	v_add_f64 v[0:1], v[0:1], v[4:5]
	v_add_f64 v[2:3], v[2:3], v[6:7]
	v_add_co_u32 v4, s1, v136, s9
	s_delay_alu instid0(VALU_DEP_1)
	v_add_co_ci_u32_e64 v5, s1, s8, v137, s1
	s_cbranch_scc1 .LBB60_137
.LBB60_133:                             ; =>This Inner Loop Header: Depth=1
	s_and_saveexec_b32 s13, s3
	s_cbranch_execz .LBB60_135
; %bb.134:                              ;   in Loop: Header=BB60_133 Depth=1
	s_mul_i32 s1, s12, s11
	s_mul_hi_u32 s15, s12, s10
	s_mul_i32 s16, s12, s10
	s_add_i32 s17, s15, s1
	s_delay_alu instid0(SALU_CYCLE_1) | instskip(NEXT) | instid1(SALU_CYCLE_1)
	s_lshl_b64 s[16:17], s[16:17], 4
	v_add_co_u32 v6, s1, v142, s16
	s_delay_alu instid0(VALU_DEP_1)
	v_add_co_ci_u32_e64 v7, s1, s17, v143, s1
	flat_load_b128 v[6:9], v[6:7]
	s_waitcnt vmcnt(0) lgkmcnt(0)
	ds_store_2addr_b64 v140, v[6:7], v[8:9] offset1:1
.LBB60_135:                             ;   in Loop: Header=BB60_133 Depth=1
	s_or_b32 exec_lo, exec_lo, s13
	v_add_co_u32 v6, s1, v4, s4
	s_delay_alu instid0(VALU_DEP_1) | instskip(SKIP_1) | instid1(VALU_DEP_2)
	v_add_co_ci_u32_e64 v7, s1, s5, v5, s1
	s_waitcnt lgkmcnt(0)
	v_add_co_u32 v12, s1, v6, s4
	s_delay_alu instid0(VALU_DEP_1) | instskip(SKIP_1) | instid1(VALU_DEP_2)
	v_add_co_ci_u32_e64 v13, s1, s5, v7, s1
	s_barrier
	v_add_co_u32 v36, s1, v12, s4
	buffer_gl0_inv
	flat_load_b128 v[8:11], v[4:5]
	v_add_co_ci_u32_e64 v37, s1, s5, v13, s1
	s_clause 0x2
	flat_load_b128 v[16:19], v[6:7]
	flat_load_b128 v[12:15], v[12:13]
	;; [unrolled: 1-line block ×3, first 2 shown]
	ds_load_b128 v[20:23], v141
	v_add_co_u32 v52, s1, v36, s9
	s_delay_alu instid0(VALU_DEP_1) | instskip(NEXT) | instid1(VALU_DEP_2)
	v_add_co_ci_u32_e64 v53, s1, s8, v37, s1
	v_add_co_u32 v54, s1, v52, s4
	s_delay_alu instid0(VALU_DEP_1) | instskip(NEXT) | instid1(VALU_DEP_2)
	v_add_co_ci_u32_e64 v55, s1, s5, v53, s1
	;; [unrolled: 3-line block ×7, first 2 shown]
	v_add_co_u32 v102, s1, v100, s4
	s_delay_alu instid0(VALU_DEP_1)
	v_add_co_ci_u32_e64 v103, s1, s5, v101, s1
	s_waitcnt vmcnt(3) lgkmcnt(0)
	v_mul_f64 v[24:25], v[10:11], v[22:23]
	v_mul_f64 v[26:27], v[10:11], v[20:21]
	s_waitcnt vmcnt(2)
	v_mul_f64 v[28:29], v[18:19], v[22:23]
	v_mul_f64 v[30:31], v[18:19], v[20:21]
	s_waitcnt vmcnt(1)
	;; [unrolled: 3-line block ×3, first 2 shown]
	v_mul_f64 v[38:39], v[6:7], v[22:23]
	v_mul_f64 v[40:41], v[6:7], v[20:21]
	v_fma_f64 v[24:25], v[8:9], v[20:21], v[24:25]
	v_fma_f64 v[26:27], v[8:9], v[22:23], -v[26:27]
	v_fma_f64 v[28:29], v[16:17], v[20:21], v[28:29]
	v_fma_f64 v[30:31], v[16:17], v[22:23], -v[30:31]
	;; [unrolled: 2-line block ×4, first 2 shown]
	ds_load_b128 v[36:39], v147
	ds_store_b128 v148, v[24:27]
	ds_load_b128 v[48:51], v147 offset:16
	ds_store_b128 v148, v[28:31] offset:1072
	ds_load_b128 v[44:47], v147 offset:32
	ds_store_b128 v148, v[32:35] offset:2144
	;; [unrolled: 2-line block ×3, first 2 shown]
	s_waitcnt lgkmcnt(0)
	s_barrier
	buffer_gl0_inv
	ds_load_b128 v[84:87], v146
	ds_load_b128 v[88:91], v146 offset:16
	ds_load_b128 v[116:119], v146 offset:32
	;; [unrolled: 1-line block ×3, first 2 shown]
	s_waitcnt lgkmcnt(0)
	s_barrier
	buffer_gl0_inv
	s_clause 0x2
	flat_load_b128 v[32:35], v[52:53]
	flat_load_b128 v[28:31], v[54:55]
	;; [unrolled: 1-line block ×4, first 2 shown]
	ds_load_b128 v[52:55], v141
	v_add_f64 v[159:160], v[84:85], 0
	v_add_f64 v[161:162], v[86:87], 0
	s_delay_alu instid0(VALU_DEP_2) | instskip(NEXT) | instid1(VALU_DEP_2)
	v_add_f64 v[169:170], v[159:160], v[88:89]
	v_add_f64 v[171:172], v[161:162], v[90:91]
	s_waitcnt vmcnt(2) lgkmcnt(0)
	v_mul_f64 v[60:61], v[30:31], v[54:55]
	v_mul_f64 v[56:57], v[34:35], v[54:55]
	;; [unrolled: 1-line block ×4, first 2 shown]
	s_waitcnt vmcnt(1)
	v_mul_f64 v[64:65], v[26:27], v[54:55]
	v_mul_f64 v[66:67], v[26:27], v[52:53]
	s_waitcnt vmcnt(0)
	v_mul_f64 v[70:71], v[22:23], v[54:55]
	v_mul_f64 v[72:73], v[22:23], v[52:53]
	v_fma_f64 v[60:61], v[28:29], v[52:53], v[60:61]
	v_fma_f64 v[56:57], v[32:33], v[52:53], v[56:57]
	v_fma_f64 v[58:59], v[32:33], v[54:55], -v[58:59]
	v_fma_f64 v[62:63], v[28:29], v[54:55], -v[62:63]
	v_fma_f64 v[64:65], v[24:25], v[52:53], v[64:65]
	v_fma_f64 v[66:67], v[24:25], v[54:55], -v[66:67]
	v_fma_f64 v[52:53], v[20:21], v[52:53], v[70:71]
	v_fma_f64 v[54:55], v[20:21], v[54:55], -v[72:73]
	ds_load_b128 v[72:75], v147 offset:256
	ds_store_b128 v148, v[56:59]
	ds_load_b128 v[80:83], v147 offset:272
	ds_store_b128 v148, v[60:63] offset:1072
	ds_load_b128 v[76:79], v147 offset:288
	ds_store_b128 v148, v[64:67] offset:2144
	;; [unrolled: 2-line block ×3, first 2 shown]
	s_waitcnt lgkmcnt(0)
	s_barrier
	buffer_gl0_inv
	ds_load_b128 v[92:95], v146
	ds_load_b128 v[120:123], v146 offset:16
	ds_load_b128 v[124:127], v146 offset:32
	ds_load_b128 v[128:131], v146 offset:48
	s_waitcnt lgkmcnt(0)
	s_barrier
	buffer_gl0_inv
	flat_load_b128 v[64:67], v[96:97]
	flat_load_b128 v[60:63], v[98:99]
	;; [unrolled: 1-line block ×4, first 2 shown]
	ds_load_b128 v[96:99], v141
	v_add_f64 v[92:93], v[92:93], 0
	v_add_f64 v[94:95], v[94:95], 0
	s_delay_alu instid0(VALU_DEP_2) | instskip(NEXT) | instid1(VALU_DEP_2)
	v_add_f64 v[120:121], v[92:93], v[120:121]
	v_add_f64 v[122:123], v[94:95], v[122:123]
	s_delay_alu instid0(VALU_DEP_2) | instskip(NEXT) | instid1(VALU_DEP_2)
	v_add_f64 v[120:121], v[120:121], v[124:125]
	v_add_f64 v[122:123], v[122:123], v[126:127]
	s_delay_alu instid0(VALU_DEP_1)
	v_add_f64 v[173:174], v[122:123], v[130:131]
	s_waitcnt vmcnt(2) lgkmcnt(0)
	v_mul_f64 v[110:111], v[62:63], v[98:99]
	v_mul_f64 v[100:101], v[66:67], v[98:99]
	;; [unrolled: 1-line block ×4, first 2 shown]
	s_waitcnt vmcnt(1)
	v_mul_f64 v[114:115], v[58:59], v[98:99]
	v_mul_f64 v[136:137], v[58:59], v[96:97]
	s_waitcnt vmcnt(0)
	v_mul_f64 v[155:156], v[54:55], v[98:99]
	v_mul_f64 v[157:158], v[54:55], v[96:97]
	v_fma_f64 v[84:85], v[64:65], v[96:97], v[100:101]
	v_fma_f64 v[86:87], v[64:65], v[98:99], -v[108:109]
	v_fma_f64 v[108:109], v[60:61], v[96:97], v[110:111]
	v_fma_f64 v[110:111], v[60:61], v[98:99], -v[112:113]
	;; [unrolled: 2-line block ×4, first 2 shown]
	v_add_co_u32 v136, s1, v102, s9
	s_delay_alu instid0(VALU_DEP_1) | instskip(SKIP_2) | instid1(VALU_DEP_1)
	v_add_co_ci_u32_e64 v137, s1, s8, v103, s1
	ds_load_b128 v[100:103], v147 offset:512
	v_add_co_u32 v167, s1, v136, s4
	v_add_co_ci_u32_e64 v168, s1, s5, v137, s1
	s_delay_alu instid0(VALU_DEP_2) | instskip(NEXT) | instid1(VALU_DEP_1)
	v_add_co_u32 v175, s1, v167, s4
	v_add_co_ci_u32_e64 v176, s1, s5, v168, s1
	ds_store_b128 v148, v[84:87]
	ds_load_b128 v[112:115], v147 offset:528
	ds_store_b128 v148, v[108:111] offset:1072
	ds_load_b128 v[108:111], v147 offset:544
	ds_store_b128 v148, v[151:154] offset:2144
	;; [unrolled: 2-line block ×3, first 2 shown]
	s_waitcnt lgkmcnt(0)
	s_barrier
	buffer_gl0_inv
	ds_load_b128 v[151:154], v146
	ds_load_b128 v[155:158], v146 offset:16
	ds_load_b128 v[159:162], v146 offset:32
	;; [unrolled: 1-line block ×3, first 2 shown]
	s_waitcnt lgkmcnt(0)
	s_barrier
	buffer_gl0_inv
	flat_load_b128 v[88:91], v[136:137]
	v_add_f64 v[136:137], v[169:170], v[116:117]
	v_add_f64 v[169:170], v[171:172], v[118:119]
	ds_load_b128 v[116:119], v141
	flat_load_b128 v[84:87], v[167:168]
	flat_load_b128 v[92:95], v[175:176]
	v_add_f64 v[171:172], v[120:121], v[128:129]
	v_add_f64 v[167:168], v[136:137], v[104:105]
	;; [unrolled: 1-line block ×3, first 2 shown]
	v_add_co_u32 v136, s1, v175, s4
	s_delay_alu instid0(VALU_DEP_1)
	v_add_co_ci_u32_e64 v137, s1, s5, v176, s1
	s_waitcnt vmcnt(2) lgkmcnt(2)
	v_mul_f64 v[104:105], v[90:91], v[118:119]
	v_mul_f64 v[106:107], v[90:91], v[116:117]
	s_waitcnt vmcnt(1) lgkmcnt(1)
	v_mul_f64 v[124:125], v[86:87], v[118:119]
	s_waitcnt vmcnt(0) lgkmcnt(0)
	v_mul_f64 v[128:129], v[94:95], v[118:119]
	v_mul_f64 v[130:131], v[94:95], v[116:117]
	;; [unrolled: 1-line block ×3, first 2 shown]
	v_fma_f64 v[120:121], v[88:89], v[116:117], v[104:105]
	v_fma_f64 v[122:123], v[88:89], v[118:119], -v[106:107]
	flat_load_b128 v[104:107], v[136:137]
	v_fma_f64 v[124:125], v[84:85], v[116:117], v[124:125]
	v_fma_f64 v[175:176], v[92:93], v[116:117], v[128:129]
	v_fma_f64 v[177:178], v[92:93], v[118:119], -v[130:131]
	v_fma_f64 v[126:127], v[84:85], v[118:119], -v[126:127]
	s_waitcnt vmcnt(0) lgkmcnt(0)
	v_mul_f64 v[128:129], v[106:107], v[118:119]
	v_mul_f64 v[130:131], v[106:107], v[116:117]
	s_delay_alu instid0(VALU_DEP_2) | instskip(NEXT) | instid1(VALU_DEP_2)
	v_fma_f64 v[179:180], v[104:105], v[116:117], v[128:129]
	v_fma_f64 v[181:182], v[104:105], v[118:119], -v[130:131]
	v_add_f64 v[116:117], v[151:152], 0
	v_add_f64 v[118:119], v[153:154], 0
	s_delay_alu instid0(VALU_DEP_2) | instskip(NEXT) | instid1(VALU_DEP_2)
	v_add_f64 v[155:156], v[116:117], v[155:156]
	v_add_f64 v[157:158], v[118:119], v[157:158]
	ds_load_b128 v[116:119], v147 offset:768
	ds_store_b128 v148, v[120:123]
	ds_load_b128 v[128:131], v147 offset:784
	ds_store_b128 v148, v[124:127] offset:1072
	ds_load_b128 v[124:127], v147 offset:800
	ds_store_b128 v148, v[175:178] offset:2144
	;; [unrolled: 2-line block ×3, first 2 shown]
	s_waitcnt lgkmcnt(0)
	s_barrier
	buffer_gl0_inv
	ds_load_b128 v[151:154], v146
	s_waitcnt lgkmcnt(0)
	v_add_f64 v[175:176], v[151:152], 0
	v_add_f64 v[177:178], v[153:154], 0
	ds_load_b128 v[151:154], v146 offset:16
	v_add_f64 v[155:156], v[155:156], v[159:160]
	v_add_f64 v[157:158], v[157:158], v[161:162]
	s_waitcnt lgkmcnt(0)
	v_add_f64 v[175:176], v[175:176], v[151:152]
	v_add_f64 v[177:178], v[177:178], v[153:154]
	ds_load_b128 v[151:154], v146 offset:32
	s_waitcnt lgkmcnt(0)
	v_add_f64 v[159:160], v[175:176], v[151:152]
	v_add_f64 v[161:162], v[177:178], v[153:154]
	;; [unrolled: 1-line block ×4, first 2 shown]
	ds_load_b128 v[155:158], v146 offset:48
	s_waitcnt lgkmcnt(0)
	s_barrier
	buffer_gl0_inv
	v_add_f64 v[155:156], v[159:160], v[155:156]
	v_add_f64 v[157:158], v[161:162], v[157:158]
	ds_store_b128 v149, v[167:170]
	ds_store_b128 v149, v[171:174] offset:256
	ds_store_b128 v149, v[151:154] offset:512
	;; [unrolled: 1-line block ×3, first 2 shown]
	s_waitcnt lgkmcnt(0)
	s_barrier
	buffer_gl0_inv
	s_and_saveexec_b32 s13, s0
	s_cbranch_execz .LBB60_132
; %bb.136:                              ;   in Loop: Header=BB60_133 Depth=1
	ds_load_b128 v[151:154], v144
	ds_load_b128 v[155:158], v144 offset:16
	v_add_nc_u32_e32 v134, s12, v150
	s_waitcnt lgkmcnt(0)
	v_add_f64 v[159:160], v[155:156], v[151:152]
	v_add_f64 v[161:162], v[157:158], v[153:154]
	ds_load_b128 v[151:154], v144 offset:32
	ds_load_b128 v[155:158], v144 offset:48
	s_waitcnt lgkmcnt(1)
	v_add_f64 v[151:152], v[159:160], v[151:152]
	v_add_f64 v[153:154], v[161:162], v[153:154]
	s_waitcnt lgkmcnt(0)
	s_delay_alu instid0(VALU_DEP_2) | instskip(NEXT) | instid1(VALU_DEP_2)
	v_add_f64 v[159:160], v[151:152], v[155:156]
	v_add_f64 v[161:162], v[153:154], v[157:158]
	ds_load_b128 v[151:154], v144 offset:64
	ds_load_b128 v[155:158], v144 offset:80
	s_waitcnt lgkmcnt(1)
	v_add_f64 v[151:152], v[159:160], v[151:152]
	v_add_f64 v[153:154], v[161:162], v[153:154]
	s_waitcnt lgkmcnt(0)
	s_delay_alu instid0(VALU_DEP_2) | instskip(NEXT) | instid1(VALU_DEP_2)
	;; [unrolled: 9-line block ×6, first 2 shown]
	v_add_f64 v[159:160], v[151:152], v[155:156]
	v_add_f64 v[161:162], v[153:154], v[157:158]
	ds_load_b128 v[151:154], v144 offset:224
	ds_load_b128 v[155:158], v145
	s_waitcnt lgkmcnt(1)
	v_add_f64 v[151:152], v[159:160], v[151:152]
	v_add_f64 v[153:154], v[161:162], v[153:154]
	s_waitcnt lgkmcnt(0)
	s_delay_alu instid0(VALU_DEP_2) | instskip(NEXT) | instid1(VALU_DEP_2)
	v_add_f64 v[151:152], v[151:152], v[155:156]
	v_add_f64 v[153:154], v[153:154], v[157:158]
	v_lshlrev_b64 v[155:156], 4, v[134:135]
	s_delay_alu instid0(VALU_DEP_1) | instskip(NEXT) | instid1(VALU_DEP_1)
	v_add_co_u32 v155, s1, s6, v155
	v_add_co_ci_u32_e64 v156, s1, s7, v156, s1
	global_store_b128 v[155:156], v[151:154], off
	s_branch .LBB60_132
.LBB60_137:
	v_mad_u32_u24 v4, 0x430, v138, v139
	s_or_b32 s0, s2, vcc_lo
	s_delay_alu instid0(SALU_CYCLE_1)
	s_xor_b32 s0, s0, -1
	ds_store_b128 v4, v[0:3]
	s_waitcnt lgkmcnt(0)
	s_barrier
	buffer_gl0_inv
	s_and_saveexec_b32 s1, s0
	s_cbranch_execz .LBB60_139
; %bb.138:
	ds_load_b128 v[0:3], v139 offset:1072
	ds_load_b128 v[4:7], v139
	s_waitcnt lgkmcnt(0)
	v_add_f64 v[8:9], v[0:1], v[4:5]
	v_add_f64 v[10:11], v[2:3], v[6:7]
	ds_load_b128 v[0:3], v139 offset:2144
	ds_load_b128 v[4:7], v139 offset:3216
	s_waitcnt lgkmcnt(1)
	v_add_f64 v[0:1], v[8:9], v[0:1]
	v_add_f64 v[2:3], v[10:11], v[2:3]
	s_waitcnt lgkmcnt(0)
	s_delay_alu instid0(VALU_DEP_2) | instskip(NEXT) | instid1(VALU_DEP_2)
	v_add_f64 v[0:1], v[0:1], v[4:5]
	v_add_f64 v[2:3], v[2:3], v[6:7]
	v_lshlrev_b64 v[4:5], 4, v[132:133]
	s_delay_alu instid0(VALU_DEP_1) | instskip(NEXT) | instid1(VALU_DEP_2)
	v_add_co_u32 v4, vcc_lo, s6, v4
	v_add_co_ci_u32_e32 v5, vcc_lo, s7, v5, vcc_lo
	global_store_b128 v[4:5], v[0:3], off
.LBB60_139:
	s_nop 0
	s_sendmsg sendmsg(MSG_DEALLOC_VGPRS)
	s_endpgm
	.section	.rodata,"a",@progbits
	.p2align	6, 0x0
	.amdhsa_kernel _ZL26rocblas_hemvn_kernel_lowerILb1ELi64ELi4ELi33ELi32ELi16El19rocblas_complex_numIdEPKPKS1_PS1_EviT6_lT7_lT5_lS8_lS9_lS7_lT8_i
		.amdhsa_group_segment_fixed_size 19200
		.amdhsa_private_segment_fixed_size 0
		.amdhsa_kernarg_size 392
		.amdhsa_user_sgpr_count 14
		.amdhsa_user_sgpr_dispatch_ptr 0
		.amdhsa_user_sgpr_queue_ptr 0
		.amdhsa_user_sgpr_kernarg_segment_ptr 1
		.amdhsa_user_sgpr_dispatch_id 0
		.amdhsa_user_sgpr_private_segment_size 0
		.amdhsa_wavefront_size32 1
		.amdhsa_uses_dynamic_stack 0
		.amdhsa_enable_private_segment 0
		.amdhsa_system_sgpr_workgroup_id_x 1
		.amdhsa_system_sgpr_workgroup_id_y 0
		.amdhsa_system_sgpr_workgroup_id_z 1
		.amdhsa_system_sgpr_workgroup_info 0
		.amdhsa_system_vgpr_workitem_id 1
		.amdhsa_next_free_vgpr 183
		.amdhsa_next_free_sgpr 32
		.amdhsa_reserve_vcc 1
		.amdhsa_float_round_mode_32 0
		.amdhsa_float_round_mode_16_64 0
		.amdhsa_float_denorm_mode_32 3
		.amdhsa_float_denorm_mode_16_64 3
		.amdhsa_dx10_clamp 1
		.amdhsa_ieee_mode 1
		.amdhsa_fp16_overflow 0
		.amdhsa_workgroup_processor_mode 1
		.amdhsa_memory_ordered 1
		.amdhsa_forward_progress 0
		.amdhsa_shared_vgpr_count 0
		.amdhsa_exception_fp_ieee_invalid_op 0
		.amdhsa_exception_fp_denorm_src 0
		.amdhsa_exception_fp_ieee_div_zero 0
		.amdhsa_exception_fp_ieee_overflow 0
		.amdhsa_exception_fp_ieee_underflow 0
		.amdhsa_exception_fp_ieee_inexact 0
		.amdhsa_exception_int_div_zero 0
	.end_amdhsa_kernel
	.section	.text._ZL26rocblas_hemvn_kernel_lowerILb1ELi64ELi4ELi33ELi32ELi16El19rocblas_complex_numIdEPKPKS1_PS1_EviT6_lT7_lT5_lS8_lS9_lS7_lT8_i,"axG",@progbits,_ZL26rocblas_hemvn_kernel_lowerILb1ELi64ELi4ELi33ELi32ELi16El19rocblas_complex_numIdEPKPKS1_PS1_EviT6_lT7_lT5_lS8_lS9_lS7_lT8_i,comdat
.Lfunc_end60:
	.size	_ZL26rocblas_hemvn_kernel_lowerILb1ELi64ELi4ELi33ELi32ELi16El19rocblas_complex_numIdEPKPKS1_PS1_EviT6_lT7_lT5_lS8_lS9_lS7_lT8_i, .Lfunc_end60-_ZL26rocblas_hemvn_kernel_lowerILb1ELi64ELi4ELi33ELi32ELi16El19rocblas_complex_numIdEPKPKS1_PS1_EviT6_lT7_lT5_lS8_lS9_lS7_lT8_i
                                        ; -- End function
	.section	.AMDGPU.csdata,"",@progbits
; Kernel info:
; codeLenInByte = 11004
; NumSgprs: 34
; NumVgprs: 183
; ScratchSize: 0
; MemoryBound: 0
; FloatMode: 240
; IeeeMode: 1
; LDSByteSize: 19200 bytes/workgroup (compile time only)
; SGPRBlocks: 4
; VGPRBlocks: 22
; NumSGPRsForWavesPerEU: 34
; NumVGPRsForWavesPerEU: 183
; Occupancy: 8
; WaveLimiterHint : 0
; COMPUTE_PGM_RSRC2:SCRATCH_EN: 0
; COMPUTE_PGM_RSRC2:USER_SGPR: 14
; COMPUTE_PGM_RSRC2:TRAP_HANDLER: 0
; COMPUTE_PGM_RSRC2:TGID_X_EN: 1
; COMPUTE_PGM_RSRC2:TGID_Y_EN: 0
; COMPUTE_PGM_RSRC2:TGID_Z_EN: 1
; COMPUTE_PGM_RSRC2:TIDIG_COMP_CNT: 1
	.section	.text._ZL36rocblas_hemvn_kernel_lower_block_sumILi64El19rocblas_complex_numIdEPKPS1_S1_EviT1_lS5_lT2_lT0_lPT3_i,"axG",@progbits,_ZL36rocblas_hemvn_kernel_lower_block_sumILi64El19rocblas_complex_numIdEPKPS1_S1_EviT1_lS5_lT2_lT0_lPT3_i,comdat
	.globl	_ZL36rocblas_hemvn_kernel_lower_block_sumILi64El19rocblas_complex_numIdEPKPS1_S1_EviT1_lS5_lT2_lT0_lPT3_i ; -- Begin function _ZL36rocblas_hemvn_kernel_lower_block_sumILi64El19rocblas_complex_numIdEPKPS1_S1_EviT1_lS5_lT2_lT0_lPT3_i
	.p2align	8
	.type	_ZL36rocblas_hemvn_kernel_lower_block_sumILi64El19rocblas_complex_numIdEPKPS1_S1_EviT1_lS5_lT2_lT0_lPT3_i,@function
_ZL36rocblas_hemvn_kernel_lower_block_sumILi64El19rocblas_complex_numIdEPKPS1_S1_EviT1_lS5_lT2_lT0_lPT3_i: ; @_ZL36rocblas_hemvn_kernel_lower_block_sumILi64El19rocblas_complex_numIdEPKPS1_S1_EviT1_lS5_lT2_lT0_lPT3_i
; %bb.0:
	s_clause 0x1
	s_load_b128 s[8:11], s[0:1], 0x8
	s_load_b128 s[4:7], s[0:1], 0x20
	s_mov_b32 s12, s15
	s_waitcnt lgkmcnt(0)
	v_cmp_neq_f64_e64 s2, s[8:9], 0
	v_cmp_neq_f64_e64 s3, s[10:11], 0
	s_delay_alu instid0(VALU_DEP_1)
	s_or_b32 s2, s2, s3
	s_mov_b32 s3, -1
	s_and_b32 vcc_lo, exec_lo, s2
	s_cbranch_vccnz .LBB61_2
; %bb.1:
	v_cmp_neq_f64_e64 s3, s[4:5], 1.0
	v_cmp_neq_f64_e64 s13, s[6:7], 0
	s_delay_alu instid0(VALU_DEP_1)
	s_or_b32 s3, s3, s13
.LBB61_2:
	s_delay_alu instid0(SALU_CYCLE_1)
	s_and_not1_b32 vcc_lo, exec_lo, s3
	s_cbranch_vccnz .LBB61_22
; %bb.3:
	s_clause 0x1
	s_load_b64 s[22:23], s[0:1], 0x38
	s_load_b32 s20, s[0:1], 0x0
	s_mov_b32 s13, 0
	s_xor_b32 s21, s2, -1
	s_lshl_b64 s[24:25], s[12:13], 3
	s_load_b128 s[16:19], s[0:1], 0x40
	v_lshl_or_b32 v4, s14, 6, v0
	s_waitcnt lgkmcnt(0)
	s_add_u32 s2, s22, s24
	s_addc_u32 s3, s23, s25
	s_load_b64 s[22:23], s[2:3], 0x0
	v_cmp_gt_i32_e64 s2, s20, v4
	s_lshl_b64 s[16:17], s[16:17], 4
	s_waitcnt lgkmcnt(0)
	s_add_u32 s3, s22, s16
	s_addc_u32 s15, s23, s17
	s_and_not1_b32 vcc_lo, exec_lo, s21
	s_cbranch_vccnz .LBB61_8
; %bb.4:
	s_mov_b32 s16, 0
                                        ; implicit-def: $vgpr2_vgpr3
                                        ; implicit-def: $vgpr5_vgpr6
	s_and_saveexec_b32 s17, s2
	s_cbranch_execz .LBB61_9
; %bb.5:
	v_cmp_neq_f64_e64 s2, s[4:5], 0
	v_cmp_neq_f64_e64 s13, s[6:7], 0
	v_ashrrev_i32_e32 v0, 31, v4
	v_mul_lo_u32 v1, v4, s19
	v_mad_u64_u32 v[5:6], null, v4, s18, 0
	v_mov_b32_e32 v2, 0
	s_delay_alu instid0(VALU_DEP_4) | instskip(SKIP_1) | instid1(VALU_DEP_2)
	v_mul_lo_u32 v0, v0, s18
	v_mov_b32_e32 v3, 0
	v_add3_u32 v6, v6, v1, v0
	s_delay_alu instid0(VALU_DEP_2) | instskip(SKIP_1) | instid1(SALU_CYCLE_1)
	v_dual_mov_b32 v0, v2 :: v_dual_mov_b32 v1, v3
	s_or_b32 s2, s2, s13
	s_and_not1_b32 vcc_lo, exec_lo, s2
	s_cbranch_vccnz .LBB61_7
; %bb.6:
	v_lshlrev_b64 v[0:1], 4, v[5:6]
	s_delay_alu instid0(VALU_DEP_1) | instskip(NEXT) | instid1(VALU_DEP_2)
	v_add_co_u32 v0, vcc_lo, s3, v0
	v_add_co_ci_u32_e32 v1, vcc_lo, s15, v1, vcc_lo
	global_load_b128 v[7:10], v[0:1], off
	s_waitcnt vmcnt(0)
	v_mul_f64 v[0:1], s[6:7], v[9:10]
	v_mul_f64 v[2:3], s[4:5], v[9:10]
	s_delay_alu instid0(VALU_DEP_2) | instskip(NEXT) | instid1(VALU_DEP_2)
	v_fma_f64 v[0:1], s[4:5], v[7:8], -v[0:1]
	v_fma_f64 v[2:3], s[6:7], v[7:8], v[2:3]
.LBB61_7:
	s_mov_b32 s13, exec_lo
	s_or_b32 exec_lo, exec_lo, s17
	s_delay_alu instid0(SALU_CYCLE_1)
	s_and_b32 vcc_lo, exec_lo, s16
	s_cbranch_vccnz .LBB61_10
	s_branch .LBB61_20
.LBB61_8:
                                        ; implicit-def: $vgpr2_vgpr3
                                        ; implicit-def: $vgpr5_vgpr6
	s_cbranch_execnz .LBB61_10
	s_branch .LBB61_20
.LBB61_9:
	s_or_b32 exec_lo, exec_lo, s17
	s_delay_alu instid0(SALU_CYCLE_1)
	s_and_b32 vcc_lo, exec_lo, s16
	s_cbranch_vccz .LBB61_20
.LBB61_10:
	s_mov_b32 s2, exec_lo
                                        ; implicit-def: $vgpr2_vgpr3
                                        ; implicit-def: $vgpr5_vgpr6
	v_cmpx_gt_i32_e64 s20, v4
	s_cbranch_execz .LBB61_19
; %bb.11:
	s_load_b32 s16, s[0:1], 0x68
	v_mov_b32_e32 v0, 0
	v_mov_b32_e32 v1, 0
	s_delay_alu instid0(VALU_DEP_1)
	v_dual_mov_b32 v3, v1 :: v_dual_mov_b32 v2, v0
	s_waitcnt lgkmcnt(0)
	s_cmp_ge_i32 s14, s16
	s_cbranch_scc1 .LBB61_14
; %bb.12:
	s_load_b64 s[0:1], s[0:1], 0x58
	v_mad_u64_u32 v[0:1], null, s14, s20, v[4:5]
	s_ashr_i32 s21, s20, 31
	s_mul_hi_u32 s17, s20, s12
	s_mul_i32 s22, s21, s12
	s_mul_i32 s12, s20, s12
	s_add_i32 s17, s17, s22
	s_mul_hi_u32 s23, s12, s16
	s_delay_alu instid0(VALU_DEP_1) | instskip(SKIP_3) | instid1(VALU_DEP_1)
	v_ashrrev_i32_e32 v1, 31, v0
	s_mul_i32 s17, s17, s16
	s_mul_i32 s22, s12, s16
	s_add_i32 s23, s23, s17
	v_lshlrev_b64 v[2:3], 4, v[0:1]
	s_lshl_b64 s[22:23], s[22:23], 4
	v_mov_b32_e32 v0, 0
	v_mov_b32_e32 v1, 0
	s_waitcnt lgkmcnt(0)
	s_add_u32 s0, s0, s22
	s_addc_u32 s1, s1, s23
	v_add_co_u32 v2, vcc_lo, s0, v2
	v_add_co_ci_u32_e32 v3, vcc_lo, s1, v3, vcc_lo
	s_lshl_b64 s[0:1], s[20:21], 4
	s_delay_alu instid0(VALU_DEP_2) | instskip(NEXT) | instid1(VALU_DEP_2)
	v_add_co_u32 v5, vcc_lo, v2, 8
	v_add_co_ci_u32_e32 v6, vcc_lo, 0, v3, vcc_lo
	v_dual_mov_b32 v3, v1 :: v_dual_mov_b32 v2, v0
.LBB61_13:                              ; =>This Inner Loop Header: Depth=1
	global_load_b128 v[7:10], v[5:6], off offset:-8
	v_add_co_u32 v5, vcc_lo, v5, s0
	v_add_co_ci_u32_e32 v6, vcc_lo, s1, v6, vcc_lo
	s_add_i32 s14, s14, 1
	s_delay_alu instid0(SALU_CYCLE_1)
	s_cmp_ge_i32 s14, s16
	s_waitcnt vmcnt(0)
	v_add_f64 v[2:3], v[2:3], v[7:8]
	v_add_f64 v[0:1], v[0:1], v[9:10]
	s_cbranch_scc0 .LBB61_13
.LBB61_14:
	s_delay_alu instid0(VALU_DEP_1) | instskip(SKIP_3) | instid1(VALU_DEP_4)
	v_mul_f64 v[5:6], s[10:11], v[0:1]
	v_mul_f64 v[7:8], s[8:9], v[0:1]
	v_cmp_neq_f64_e64 s0, s[4:5], 0
	v_cmp_neq_f64_e64 s1, s[6:7], 0
	v_fma_f64 v[0:1], s[8:9], v[2:3], -v[5:6]
	s_delay_alu instid0(VALU_DEP_4) | instskip(SKIP_3) | instid1(SALU_CYCLE_1)
	v_fma_f64 v[2:3], s[10:11], v[2:3], v[7:8]
	v_ashrrev_i32_e32 v5, 31, v4
	v_mul_lo_u32 v7, v4, s19
	s_or_b32 s0, s0, s1
	s_and_not1_b32 vcc_lo, exec_lo, s0
	s_delay_alu instid0(VALU_DEP_2)
	v_mul_lo_u32 v8, v5, s18
	s_cbranch_vccz .LBB61_16
; %bb.15:
	v_mad_u64_u32 v[5:6], null, v4, s18, 0
	s_delay_alu instid0(VALU_DEP_1)
	v_add3_u32 v6, v6, v7, v8
	s_cbranch_execz .LBB61_17
	s_branch .LBB61_18
.LBB61_16:
                                        ; implicit-def: $vgpr5_vgpr6
.LBB61_17:
	v_mad_u64_u32 v[5:6], null, v4, s18, 0
	s_delay_alu instid0(VALU_DEP_1) | instskip(NEXT) | instid1(VALU_DEP_1)
	v_add3_u32 v6, v6, v7, v8
	v_lshlrev_b64 v[7:8], 4, v[5:6]
	s_delay_alu instid0(VALU_DEP_1) | instskip(NEXT) | instid1(VALU_DEP_2)
	v_add_co_u32 v7, vcc_lo, s3, v7
	v_add_co_ci_u32_e32 v8, vcc_lo, s15, v8, vcc_lo
	global_load_b128 v[7:10], v[7:8], off
	s_waitcnt vmcnt(0)
	v_mul_f64 v[11:12], s[6:7], v[9:10]
	v_mul_f64 v[9:10], s[4:5], v[9:10]
	s_delay_alu instid0(VALU_DEP_2) | instskip(NEXT) | instid1(VALU_DEP_2)
	v_fma_f64 v[11:12], s[4:5], v[7:8], -v[11:12]
	v_fma_f64 v[7:8], s[6:7], v[7:8], v[9:10]
	s_delay_alu instid0(VALU_DEP_2) | instskip(NEXT) | instid1(VALU_DEP_2)
	v_add_f64 v[0:1], v[0:1], v[11:12]
	v_add_f64 v[2:3], v[2:3], v[7:8]
.LBB61_18:
	s_or_b32 s13, s13, exec_lo
.LBB61_19:
	s_or_b32 exec_lo, exec_lo, s2
.LBB61_20:
	s_and_saveexec_b32 s0, s13
	s_cbranch_execz .LBB61_22
; %bb.21:
	v_lshlrev_b64 v[4:5], 4, v[5:6]
	s_delay_alu instid0(VALU_DEP_1) | instskip(NEXT) | instid1(VALU_DEP_2)
	v_add_co_u32 v4, vcc_lo, s3, v4
	v_add_co_ci_u32_e32 v5, vcc_lo, s15, v5, vcc_lo
	global_store_b128 v[4:5], v[0:3], off
.LBB61_22:
	s_nop 0
	s_sendmsg sendmsg(MSG_DEALLOC_VGPRS)
	s_endpgm
	.section	.rodata,"a",@progbits
	.p2align	6, 0x0
	.amdhsa_kernel _ZL36rocblas_hemvn_kernel_lower_block_sumILi64El19rocblas_complex_numIdEPKPS1_S1_EviT1_lS5_lT2_lT0_lPT3_i
		.amdhsa_group_segment_fixed_size 0
		.amdhsa_private_segment_fixed_size 0
		.amdhsa_kernarg_size 360
		.amdhsa_user_sgpr_count 14
		.amdhsa_user_sgpr_dispatch_ptr 0
		.amdhsa_user_sgpr_queue_ptr 0
		.amdhsa_user_sgpr_kernarg_segment_ptr 1
		.amdhsa_user_sgpr_dispatch_id 0
		.amdhsa_user_sgpr_private_segment_size 0
		.amdhsa_wavefront_size32 1
		.amdhsa_uses_dynamic_stack 0
		.amdhsa_enable_private_segment 0
		.amdhsa_system_sgpr_workgroup_id_x 1
		.amdhsa_system_sgpr_workgroup_id_y 0
		.amdhsa_system_sgpr_workgroup_id_z 1
		.amdhsa_system_sgpr_workgroup_info 0
		.amdhsa_system_vgpr_workitem_id 0
		.amdhsa_next_free_vgpr 13
		.amdhsa_next_free_sgpr 26
		.amdhsa_reserve_vcc 1
		.amdhsa_float_round_mode_32 0
		.amdhsa_float_round_mode_16_64 0
		.amdhsa_float_denorm_mode_32 3
		.amdhsa_float_denorm_mode_16_64 3
		.amdhsa_dx10_clamp 1
		.amdhsa_ieee_mode 1
		.amdhsa_fp16_overflow 0
		.amdhsa_workgroup_processor_mode 1
		.amdhsa_memory_ordered 1
		.amdhsa_forward_progress 0
		.amdhsa_shared_vgpr_count 0
		.amdhsa_exception_fp_ieee_invalid_op 0
		.amdhsa_exception_fp_denorm_src 0
		.amdhsa_exception_fp_ieee_div_zero 0
		.amdhsa_exception_fp_ieee_overflow 0
		.amdhsa_exception_fp_ieee_underflow 0
		.amdhsa_exception_fp_ieee_inexact 0
		.amdhsa_exception_int_div_zero 0
	.end_amdhsa_kernel
	.section	.text._ZL36rocblas_hemvn_kernel_lower_block_sumILi64El19rocblas_complex_numIdEPKPS1_S1_EviT1_lS5_lT2_lT0_lPT3_i,"axG",@progbits,_ZL36rocblas_hemvn_kernel_lower_block_sumILi64El19rocblas_complex_numIdEPKPS1_S1_EviT1_lS5_lT2_lT0_lPT3_i,comdat
.Lfunc_end61:
	.size	_ZL36rocblas_hemvn_kernel_lower_block_sumILi64El19rocblas_complex_numIdEPKPS1_S1_EviT1_lS5_lT2_lT0_lPT3_i, .Lfunc_end61-_ZL36rocblas_hemvn_kernel_lower_block_sumILi64El19rocblas_complex_numIdEPKPS1_S1_EviT1_lS5_lT2_lT0_lPT3_i
                                        ; -- End function
	.section	.AMDGPU.csdata,"",@progbits
; Kernel info:
; codeLenInByte = 956
; NumSgprs: 28
; NumVgprs: 13
; ScratchSize: 0
; MemoryBound: 0
; FloatMode: 240
; IeeeMode: 1
; LDSByteSize: 0 bytes/workgroup (compile time only)
; SGPRBlocks: 3
; VGPRBlocks: 1
; NumSGPRsForWavesPerEU: 28
; NumVGPRsForWavesPerEU: 13
; Occupancy: 16
; WaveLimiterHint : 1
; COMPUTE_PGM_RSRC2:SCRATCH_EN: 0
; COMPUTE_PGM_RSRC2:USER_SGPR: 14
; COMPUTE_PGM_RSRC2:TRAP_HANDLER: 0
; COMPUTE_PGM_RSRC2:TGID_X_EN: 1
; COMPUTE_PGM_RSRC2:TGID_Y_EN: 0
; COMPUTE_PGM_RSRC2:TGID_Z_EN: 1
; COMPUTE_PGM_RSRC2:TIDIG_COMP_CNT: 0
	.section	.text._ZL26rocblas_hemvn_kernel_lowerILb1ELi64ELi4ELi33ELi32ELi16Ei19rocblas_complex_numIdEPKPKS1_PS1_EviT6_lT7_lT5_lS8_lS9_lS7_lT8_i,"axG",@progbits,_ZL26rocblas_hemvn_kernel_lowerILb1ELi64ELi4ELi33ELi32ELi16Ei19rocblas_complex_numIdEPKPKS1_PS1_EviT6_lT7_lT5_lS8_lS9_lS7_lT8_i,comdat
	.globl	_ZL26rocblas_hemvn_kernel_lowerILb1ELi64ELi4ELi33ELi32ELi16Ei19rocblas_complex_numIdEPKPKS1_PS1_EviT6_lT7_lT5_lS8_lS9_lS7_lT8_i ; -- Begin function _ZL26rocblas_hemvn_kernel_lowerILb1ELi64ELi4ELi33ELi32ELi16Ei19rocblas_complex_numIdEPKPKS1_PS1_EviT6_lT7_lT5_lS8_lS9_lS7_lT8_i
	.p2align	8
	.type	_ZL26rocblas_hemvn_kernel_lowerILb1ELi64ELi4ELi33ELi32ELi16Ei19rocblas_complex_numIdEPKPKS1_PS1_EviT6_lT7_lT5_lS8_lS9_lS7_lT8_i,@function
_ZL26rocblas_hemvn_kernel_lowerILb1ELi64ELi4ELi33ELi32ELi16Ei19rocblas_complex_numIdEPKPKS1_PS1_EviT6_lT7_lT5_lS8_lS9_lS7_lT8_i: ; @_ZL26rocblas_hemvn_kernel_lowerILb1ELi64ELi4ELi33ELi32ELi16Ei19rocblas_complex_numIdEPKPKS1_PS1_EviT6_lT7_lT5_lS8_lS9_lS7_lT8_i
; %bb.0:
	s_load_b64 s[4:5], s[0:1], 0x94
	s_add_u32 s2, s0, 0x88
	s_addc_u32 s3, s1, 0
	s_waitcnt lgkmcnt(0)
	s_lshr_b32 s6, s4, 16
	s_and_b32 s4, s4, 0xffff
	s_and_b32 s5, s5, 0xffff
	s_mul_i32 s4, s6, s4
	s_delay_alu instid0(SALU_CYCLE_1) | instskip(NEXT) | instid1(SALU_CYCLE_1)
	s_mul_i32 s4, s4, s5
	s_cmpk_lg_i32 s4, 0x100
	s_cbranch_scc1 .LBB62_139
; %bb.1:
	s_load_b128 s[4:7], s[0:1], 0x8
	s_mov_b32 s10, s15
	s_waitcnt lgkmcnt(0)
	v_cmp_neq_f64_e64 s4, s[4:5], 0
	v_cmp_neq_f64_e64 s5, s[6:7], 0
	s_delay_alu instid0(VALU_DEP_1)
	s_or_b32 s6, s4, s5
	s_mov_b64 s[4:5], 0
	s_and_b32 vcc_lo, exec_lo, s6
	s_cbranch_vccnz .LBB62_3
; %bb.2:
	s_load_b128 s[16:19], s[0:1], 0x60
	s_waitcnt lgkmcnt(0)
	v_cmp_neq_f64_e64 s7, s[16:17], 1.0
	v_cmp_neq_f64_e64 s8, s[18:19], 0
	s_delay_alu instid0(VALU_DEP_1)
	s_or_b32 s7, s7, s8
	s_cbranch_execz .LBB62_4
	s_branch .LBB62_5
.LBB62_3:
	s_mov_b32 s7, 0
                                        ; implicit-def: $sgpr4_sgpr5
.LBB62_4:
	s_load_b128 s[16:19], s[0:1], 0x20
	s_mov_b32 s11, 0
	s_mov_b32 s7, -1
	s_lshl_b64 s[4:5], s[10:11], 3
	s_waitcnt lgkmcnt(0)
	s_add_u32 s4, s16, s4
	s_addc_u32 s5, s17, s5
	s_lshl_b64 s[8:9], s[18:19], 4
	s_load_b64 s[4:5], s[4:5], 0x0
	s_waitcnt lgkmcnt(0)
	s_add_u32 s4, s4, s8
	s_addc_u32 s5, s5, s9
.LBB62_5:
	s_and_not1_b32 vcc_lo, exec_lo, s7
	s_cbranch_vccnz .LBB62_139
; %bb.6:
	v_cndmask_b32_e64 v1, 0, 1, s6
	s_and_not1_b32 vcc_lo, exec_lo, s6
	s_mov_b64 s[6:7], 0
	s_cbranch_vccnz .LBB62_8
; %bb.7:
	s_load_b128 s[16:19], s[0:1], 0x40
	s_mov_b32 s11, 0
	s_delay_alu instid0(SALU_CYCLE_1)
	s_lshl_b64 s[6:7], s[10:11], 3
	s_waitcnt lgkmcnt(0)
	s_add_u32 s6, s16, s6
	s_addc_u32 s7, s17, s7
	s_lshl_b64 s[8:9], s[18:19], 4
	s_load_b64 s[6:7], s[6:7], 0x0
	s_waitcnt lgkmcnt(0)
	s_add_u32 s6, s6, s8
	s_addc_u32 s7, s7, s9
.LBB62_8:
	s_delay_alu instid0(VALU_DEP_1)
	v_cmp_ne_u32_e32 vcc_lo, 1, v1
	s_cbranch_vccnz .LBB62_139
; %bb.9:
	s_clause 0x1
	s_load_b32 s11, s[0:1], 0x50
	s_load_b32 s15, s[0:1], 0x0
	v_and_b32_e32 v42, 0x3ff, v0
	s_lshl_b32 s18, s14, 6
	s_load_b32 s26, s[2:3], 0x0
	v_bfe_u32 v149, v0, 10, 10
	s_delay_alu instid0(VALU_DEP_2) | instskip(SKIP_1) | instid1(VALU_DEP_1)
	v_add_nc_u32_e32 v144, s18, v42
	s_waitcnt lgkmcnt(0)
	v_mul_lo_u32 v1, v144, s11
	s_ashr_i32 s27, s15, 31
	s_delay_alu instid0(SALU_CYCLE_1) | instskip(SKIP_4) | instid1(VALU_DEP_2)
	s_lshr_b32 s2, s27, 26
	s_add_i32 s8, s26, -1
	s_add_i32 s3, s15, s2
	v_cmp_ne_u32_e64 s2, 0, v149
	s_and_not1_b32 s3, s3, 63
	v_ashrrev_i32_e32 v2, 31, v1
	s_sub_i32 s9, s15, s3
	v_cmp_eq_u32_e64 s3, 0, v149
	s_cmp_eq_u32 s14, s8
	s_cselect_b32 s12, s9, 0
	v_lshlrev_b64 v[0:1], 4, v[1:2]
	s_delay_alu instid0(VALU_DEP_1) | instskip(NEXT) | instid1(VALU_DEP_2)
	v_add_co_u32 v36, vcc_lo, s6, v0
	v_add_co_ci_u32_e32 v37, vcc_lo, s7, v1, vcc_lo
	s_mov_b32 s6, -1
	s_and_saveexec_b32 s7, s3
	s_cbranch_execz .LBB62_14
; %bb.10:
	v_cmp_le_i32_e32 vcc_lo, s12, v42
	s_cmp_lg_u32 s12, 0
	v_lshl_add_u32 v0, v42, 4, 0x4700
	s_cselect_b32 s8, -1, 0
	s_delay_alu instid0(SALU_CYCLE_1) | instskip(NEXT) | instid1(SALU_CYCLE_1)
	s_and_b32 s8, s8, vcc_lo
	s_and_saveexec_b32 s9, s8
	s_delay_alu instid0(SALU_CYCLE_1)
	s_xor_b32 s8, exec_lo, s9
	s_cbranch_execz .LBB62_12
; %bb.11:
	v_mov_b32_e32 v1, 0
	s_delay_alu instid0(VALU_DEP_1)
	v_mov_b32_e32 v2, v1
	v_mov_b32_e32 v3, v1
	;; [unrolled: 1-line block ×3, first 2 shown]
	ds_store_b128 v0, v[1:4]
                                        ; implicit-def: $vgpr0
.LBB62_12:
	s_and_not1_saveexec_b32 s8, s8
	s_cbranch_execz .LBB62_14
; %bb.13:
	flat_load_b128 v[1:4], v[36:37]
	s_waitcnt vmcnt(0) lgkmcnt(0)
	ds_store_2addr_b64 v0, v[1:2], v[3:4] offset1:1
.LBB62_14:
	s_or_b32 exec_lo, exec_lo, s7
	s_load_b32 s16, s[0:1], 0x30
	v_lshl_add_u32 v43, v149, 6, v42
	v_and_b32_e32 v4, 31, v42
	s_ashr_i32 s19, s18, 31
	s_delay_alu instid0(SALU_CYCLE_1) | instskip(NEXT) | instid1(VALU_DEP_2)
	s_lshl_b64 s[8:9], s[18:19], 4
	v_lshrrev_b32_e32 v9, 5, v43
	s_add_u32 s7, s4, s8
	s_addc_u32 s8, s5, s9
	s_waitcnt lgkmcnt(0)
	s_delay_alu instid0(VALU_DEP_1) | instskip(SKIP_1) | instid1(SALU_CYCLE_1)
	v_mad_u64_u32 v[0:1], null, v9, s16, v[4:5]
	s_mul_i32 s4, s18, s16
	s_ashr_i32 s5, s4, 31
	s_delay_alu instid0(SALU_CYCLE_1) | instskip(NEXT) | instid1(SALU_CYCLE_1)
	s_lshl_b64 s[20:21], s[4:5], 4
	s_add_u32 s4, s20, s7
	s_delay_alu instid0(VALU_DEP_1) | instskip(SKIP_3) | instid1(VALU_DEP_1)
	v_ashrrev_i32_e32 v1, 31, v0
	s_addc_u32 s5, s21, s8
	s_cmp_lg_u32 s12, 0
	s_cselect_b32 s19, -1, 0
	v_lshlrev_b64 v[38:39], 4, v[0:1]
	s_cmp_eq_u32 s12, 0
	s_cselect_b32 s9, -1, 0
	s_delay_alu instid0(VALU_DEP_1) | instskip(NEXT) | instid1(VALU_DEP_2)
	v_add_co_u32 v5, vcc_lo, s4, v38
	v_add_co_ci_u32_e32 v6, vcc_lo, s5, v39, vcc_lo
	s_and_b32 vcc_lo, exec_lo, s19
	s_cbranch_vccnz .LBB62_16
; %bb.15:
	flat_load_b128 v[0:3], v[5:6]
	s_lshl_b32 s4, s16, 3
	v_mul_u32_u24_e32 v7, 33, v9
	s_ashr_i32 s5, s4, 31
	s_ashr_i32 s17, s16, 31
	s_lshl_b64 s[4:5], s[4:5], 4
	s_mov_b32 s6, 0
	v_add_lshl_u32 v10, v7, v4, 4
	v_add_co_u32 v7, vcc_lo, v5, s4
	v_add_co_ci_u32_e32 v8, vcc_lo, s5, v6, vcc_lo
	s_lshl_b64 s[4:5], s[16:17], 7
	s_delay_alu instid0(VALU_DEP_3)
	v_add_nc_u32_e32 v11, 0x1080, v10
	s_waitcnt vmcnt(0) lgkmcnt(0)
	ds_store_2addr_b64 v10, v[0:1], v[2:3] offset1:1
	flat_load_b128 v[0:3], v[7:8]
	v_add_co_u32 v7, vcc_lo, v7, s4
	v_add_co_ci_u32_e32 v8, vcc_lo, s5, v8, vcc_lo
	s_waitcnt vmcnt(0) lgkmcnt(0)
	ds_store_2addr_b64 v11, v[0:1], v[2:3] offset1:1
	flat_load_b128 v[0:3], v[7:8]
	v_add_co_u32 v7, vcc_lo, v7, s4
	v_add_nc_u32_e32 v11, 0x2100, v10
	v_add_co_ci_u32_e32 v8, vcc_lo, s5, v8, vcc_lo
	s_waitcnt vmcnt(0) lgkmcnt(0)
	ds_store_2addr_b64 v11, v[0:1], v[2:3] offset1:1
	flat_load_b128 v[0:3], v[7:8]
	v_add_nc_u32_e32 v7, 0x3180, v10
	s_waitcnt vmcnt(0) lgkmcnt(0)
	ds_store_2addr_b64 v7, v[0:1], v[2:3] offset1:1
.LBB62_16:
	s_and_not1_b32 vcc_lo, exec_lo, s6
	s_cbranch_vccnz .LBB62_34
; %bb.17:
	v_lshlrev_b32_e32 v2, 4, v4
	s_ashr_i32 s13, s12, 31
	v_mul_u32_u24_e32 v3, 33, v9
	s_lshl_b64 s[6:7], s[12:13], 4
	v_cmp_le_i32_e64 s4, s12, v9
	v_sub_co_u32 v0, vcc_lo, v5, v2
	v_subrev_co_ci_u32_e32 v1, vcc_lo, 0, v6, vcc_lo
	v_add_lshl_u32 v3, v3, v4, 4
	s_delay_alu instid0(VALU_DEP_3) | instskip(NEXT) | instid1(VALU_DEP_3)
	v_add_co_u32 v0, vcc_lo, v0, s6
	v_add_co_ci_u32_e32 v1, vcc_lo, s7, v1, vcc_lo
	s_delay_alu instid0(VALU_DEP_2) | instskip(NEXT) | instid1(VALU_DEP_2)
	v_add_co_u32 v0, vcc_lo, v0, -16
	v_add_co_ci_u32_e32 v1, vcc_lo, -1, v1, vcc_lo
	v_cmp_gt_i32_e32 vcc_lo, s12, v4
	s_delay_alu instid0(VALU_DEP_2) | instskip(SKIP_1) | instid1(SALU_CYCLE_1)
	v_dual_cndmask_b32 v1, v1, v6 :: v_dual_cndmask_b32 v0, v0, v5
	s_and_saveexec_b32 s5, s4
	s_xor_b32 s4, exec_lo, s5
	s_cbranch_execz .LBB62_19
; %bb.18:
	v_mov_b32_e32 v10, 0
	s_delay_alu instid0(VALU_DEP_1)
	v_mov_b32_e32 v11, v10
	v_mov_b32_e32 v12, v10
	;; [unrolled: 1-line block ×3, first 2 shown]
	ds_store_b128 v3, v[10:13]
.LBB62_19:
	s_and_not1_saveexec_b32 s4, s4
	s_cbranch_execz .LBB62_21
; %bb.20:
	flat_load_b128 v[10:13], v[0:1]
	s_waitcnt vmcnt(0) lgkmcnt(0)
	ds_store_2addr_b64 v3, v[10:11], v[12:13] offset1:1
.LBB62_21:
	s_or_b32 exec_lo, exec_lo, s4
	v_add_nc_u32_e32 v7, 8, v9
	s_delay_alu instid0(VALU_DEP_1) | instskip(NEXT) | instid1(VALU_DEP_1)
	v_cmp_le_i32_e64 s4, s12, v7
	s_and_saveexec_b32 s5, s4
	s_delay_alu instid0(SALU_CYCLE_1)
	s_xor_b32 s4, exec_lo, s5
	s_cbranch_execz .LBB62_23
; %bb.22:
	v_mul_u32_u24_e32 v7, 33, v7
	v_mov_b32_e32 v10, 0
	s_delay_alu instid0(VALU_DEP_2) | instskip(NEXT) | instid1(VALU_DEP_2)
	v_add_lshl_u32 v7, v7, v4, 4
	v_mov_b32_e32 v11, v10
	v_mov_b32_e32 v12, v10
	;; [unrolled: 1-line block ×3, first 2 shown]
	ds_store_b128 v7, v[10:13]
.LBB62_23:
	s_and_not1_saveexec_b32 s5, s4
	s_cbranch_execz .LBB62_25
; %bb.24:
	s_lshl_b32 s22, s16, 3
	s_delay_alu instid0(SALU_CYCLE_1) | instskip(NEXT) | instid1(SALU_CYCLE_1)
	s_ashr_i32 s23, s22, 31
	s_lshl_b64 s[22:23], s[22:23], 4
	s_delay_alu instid0(SALU_CYCLE_1) | instskip(NEXT) | instid1(VALU_DEP_1)
	v_add_co_u32 v7, s4, v0, s22
	v_add_co_ci_u32_e64 v8, s4, s23, v1, s4
	flat_load_b128 v[10:13], v[7:8]
	v_add_nc_u32_e32 v7, 0x1080, v3
	s_waitcnt vmcnt(0) lgkmcnt(0)
	ds_store_2addr_b64 v7, v[10:11], v[12:13] offset1:1
.LBB62_25:
	s_or_b32 exec_lo, exec_lo, s5
	v_add_nc_u32_e32 v7, 16, v9
	s_delay_alu instid0(VALU_DEP_1) | instskip(NEXT) | instid1(VALU_DEP_1)
	v_cmp_le_i32_e64 s4, s12, v7
	s_and_saveexec_b32 s5, s4
	s_delay_alu instid0(SALU_CYCLE_1)
	s_xor_b32 s4, exec_lo, s5
	s_cbranch_execz .LBB62_27
; %bb.26:
	v_mul_u32_u24_e32 v7, 33, v7
	v_mov_b32_e32 v10, 0
	s_delay_alu instid0(VALU_DEP_2) | instskip(NEXT) | instid1(VALU_DEP_2)
	v_add_lshl_u32 v7, v7, v4, 4
	v_mov_b32_e32 v11, v10
	v_mov_b32_e32 v12, v10
	;; [unrolled: 1-line block ×3, first 2 shown]
	ds_store_b128 v7, v[10:13]
.LBB62_27:
	s_and_not1_saveexec_b32 s5, s4
	s_cbranch_execz .LBB62_29
; %bb.28:
	s_lshl_b32 s22, s16, 4
	s_delay_alu instid0(SALU_CYCLE_1) | instskip(NEXT) | instid1(SALU_CYCLE_1)
	s_ashr_i32 s23, s22, 31
	s_lshl_b64 s[22:23], s[22:23], 4
	s_delay_alu instid0(SALU_CYCLE_1) | instskip(NEXT) | instid1(VALU_DEP_1)
	v_add_co_u32 v7, s4, v0, s22
	v_add_co_ci_u32_e64 v8, s4, s23, v1, s4
	flat_load_b128 v[10:13], v[7:8]
	v_add_nc_u32_e32 v7, 0x2100, v3
	s_waitcnt vmcnt(0) lgkmcnt(0)
	ds_store_2addr_b64 v7, v[10:11], v[12:13] offset1:1
.LBB62_29:
	s_or_b32 exec_lo, exec_lo, s5
	v_add_nc_u32_e32 v7, 24, v9
	s_delay_alu instid0(VALU_DEP_1) | instskip(NEXT) | instid1(VALU_DEP_1)
	v_cmp_le_i32_e64 s4, s12, v7
	s_and_saveexec_b32 s5, s4
	s_delay_alu instid0(SALU_CYCLE_1)
	s_xor_b32 s4, exec_lo, s5
	s_cbranch_execz .LBB62_31
; %bb.30:
	v_mov_b32_e32 v10, 0
	s_delay_alu instid0(VALU_DEP_1)
	v_mov_b32_e32 v11, v10
	v_mov_b32_e32 v12, v10
	;; [unrolled: 1-line block ×3, first 2 shown]
	ds_store_b128 v3, v[10:13] offset:12672
                                        ; implicit-def: $vgpr3
.LBB62_31:
	s_and_not1_saveexec_b32 s5, s4
	s_cbranch_execz .LBB62_33
; %bb.32:
	s_mul_i32 s22, s16, 24
	v_add_nc_u32_e32 v3, 0x3180, v3
	s_ashr_i32 s23, s22, 31
	s_delay_alu instid0(SALU_CYCLE_1) | instskip(NEXT) | instid1(SALU_CYCLE_1)
	s_lshl_b64 s[22:23], s[22:23], 4
	v_add_co_u32 v7, s4, v0, s22
	s_delay_alu instid0(VALU_DEP_1)
	v_add_co_ci_u32_e64 v8, s4, s23, v1, s4
	flat_load_b128 v[10:13], v[7:8]
	s_waitcnt vmcnt(0) lgkmcnt(0)
	ds_store_2addr_b64 v3, v[10:11], v[12:13] offset1:1
.LBB62_33:
	s_or_b32 exec_lo, exec_lo, s5
	v_add_co_u32 v0, s4, v0, v2
	s_delay_alu instid0(VALU_DEP_1) | instskip(NEXT) | instid1(VALU_DEP_2)
	v_add_co_ci_u32_e64 v1, s4, 0, v1, s4
	v_sub_co_u32 v0, s4, v0, s6
	s_delay_alu instid0(VALU_DEP_1) | instskip(NEXT) | instid1(VALU_DEP_2)
	v_subrev_co_ci_u32_e64 v1, s4, s7, v1, s4
	v_add_co_u32 v0, s4, v0, 16
	s_delay_alu instid0(VALU_DEP_1) | instskip(NEXT) | instid1(VALU_DEP_1)
	v_add_co_ci_u32_e64 v1, s4, 0, v1, s4
	v_dual_cndmask_b32 v5, v0, v5 :: v_dual_cndmask_b32 v6, v1, v6
.LBB62_34:
	v_lshlrev_b32_e32 v11, 2, v9
	s_waitcnt lgkmcnt(0)
	s_barrier
	buffer_gl0_inv
	v_cmp_ge_u32_e64 s5, v11, v4
	s_delay_alu instid0(VALU_DEP_1) | instskip(NEXT) | instid1(SALU_CYCLE_1)
	s_and_saveexec_b32 s4, s5
	s_xor_b32 s4, exec_lo, s4
	s_cbranch_execz .LBB62_38
; %bb.35:
	s_mov_b32 s6, exec_lo
	v_cmpx_eq_u32_e64 v11, v4
	s_cbranch_execz .LBB62_37
; %bb.36:
	v_mul_u32_u24_e32 v1, 34, v4
	v_mov_b32_e32 v0, 0
	s_delay_alu instid0(VALU_DEP_1)
	v_dual_mov_b32 v1, v0 :: v_dual_lshlrev_b32 v2, 4, v1
	ds_store_b64 v2, v[0:1] offset:8
.LBB62_37:
	s_or_b32 exec_lo, exec_lo, s6
.LBB62_38:
	s_or_saveexec_b32 s4, s4
	v_mul_u32_u24_e32 v44, 33, v4
	v_mul_u32_u24_e32 v0, 0x84, v9
	s_delay_alu instid0(VALU_DEP_2)
	v_add_lshl_u32 v12, v11, v44, 4
	s_xor_b32 exec_lo, exec_lo, s4
	s_cbranch_execz .LBB62_40
; %bb.39:
	s_delay_alu instid0(VALU_DEP_2)
	v_add_lshl_u32 v1, v0, v4, 4
	ds_load_b128 v[13:16], v1
	s_waitcnt lgkmcnt(0)
	v_xor_b32_e32 v16, 0x80000000, v16
	ds_store_b128 v12, v[13:16]
.LBB62_40:
	s_or_b32 exec_lo, exec_lo, s4
	v_or_b32_e32 v14, 1, v11
	s_delay_alu instid0(VALU_DEP_1) | instskip(NEXT) | instid1(VALU_DEP_1)
	v_cmp_ge_u32_e64 s6, v14, v4
	s_and_saveexec_b32 s4, s6
	s_delay_alu instid0(SALU_CYCLE_1)
	s_xor_b32 s4, exec_lo, s4
	s_cbranch_execz .LBB62_44
; %bb.41:
	s_mov_b32 s7, exec_lo
	v_cmpx_eq_u32_e64 v14, v4
	s_cbranch_execz .LBB62_43
; %bb.42:
	v_mul_u32_u24_e32 v2, 34, v4
	v_mov_b32_e32 v1, 0
	s_delay_alu instid0(VALU_DEP_1)
	v_dual_mov_b32 v2, v1 :: v_dual_lshlrev_b32 v3, 4, v2
	ds_store_b64 v3, v[1:2] offset:8
.LBB62_43:
	s_or_b32 exec_lo, exec_lo, s7
.LBB62_44:
	s_or_saveexec_b32 s4, s4
	v_mul_u32_u24_e32 v1, 33, v14
	s_xor_b32 exec_lo, exec_lo, s4
	s_cbranch_execz .LBB62_46
; %bb.45:
	s_delay_alu instid0(VALU_DEP_1)
	v_add_lshl_u32 v2, v1, v4, 4
	ds_load_b128 v[15:18], v2
	s_waitcnt lgkmcnt(0)
	v_xor_b32_e32 v18, 0x80000000, v18
	ds_store_b128 v12, v[15:18] offset:16
.LBB62_46:
	s_or_b32 exec_lo, exec_lo, s4
	v_or_b32_e32 v15, 2, v11
	s_delay_alu instid0(VALU_DEP_1) | instskip(NEXT) | instid1(VALU_DEP_1)
	v_cmp_ge_u32_e64 s7, v15, v4
	s_and_saveexec_b32 s4, s7
	s_delay_alu instid0(SALU_CYCLE_1)
	s_xor_b32 s4, exec_lo, s4
	s_cbranch_execz .LBB62_50
; %bb.47:
	s_mov_b32 s8, exec_lo
	v_cmpx_eq_u32_e64 v15, v4
	s_cbranch_execz .LBB62_49
; %bb.48:
	v_mul_u32_u24_e32 v3, 34, v4
	s_delay_alu instid0(VALU_DEP_1) | instskip(NEXT) | instid1(VALU_DEP_1)
	v_dual_mov_b32 v2, 0 :: v_dual_lshlrev_b32 v7, 4, v3
	v_mov_b32_e32 v3, v2
	ds_store_b64 v7, v[2:3] offset:8
.LBB62_49:
	s_or_b32 exec_lo, exec_lo, s8
.LBB62_50:
	s_and_not1_saveexec_b32 s4, s4
	s_cbranch_execz .LBB62_52
; %bb.51:
	v_mul_u32_u24_e32 v2, 33, v15
	s_delay_alu instid0(VALU_DEP_1)
	v_add_lshl_u32 v2, v2, v4, 4
	ds_load_b128 v[16:19], v2
	s_waitcnt lgkmcnt(0)
	v_xor_b32_e32 v19, 0x80000000, v19
	ds_store_b128 v12, v[16:19] offset:32
.LBB62_52:
	s_or_b32 exec_lo, exec_lo, s4
	v_or_b32_e32 v17, 3, v11
	s_delay_alu instid0(VALU_DEP_1) | instskip(NEXT) | instid1(VALU_DEP_1)
	v_cmp_ge_u32_e64 s8, v17, v4
	s_and_saveexec_b32 s4, s8
	s_delay_alu instid0(SALU_CYCLE_1)
	s_xor_b32 s4, exec_lo, s4
	s_cbranch_execz .LBB62_56
; %bb.53:
	s_mov_b32 s13, exec_lo
	v_cmpx_eq_u32_e64 v17, v4
	s_cbranch_execz .LBB62_55
; %bb.54:
	v_mul_u32_u24_e32 v3, 34, v4
	s_delay_alu instid0(VALU_DEP_1) | instskip(NEXT) | instid1(VALU_DEP_1)
	v_dual_mov_b32 v2, 0 :: v_dual_lshlrev_b32 v7, 4, v3
	v_mov_b32_e32 v3, v2
	ds_store_b64 v7, v[2:3] offset:8
.LBB62_55:
	s_or_b32 exec_lo, exec_lo, s13
.LBB62_56:
	s_and_not1_saveexec_b32 s4, s4
	s_cbranch_execz .LBB62_58
; %bb.57:
	v_mul_u32_u24_e32 v2, 33, v17
	s_delay_alu instid0(VALU_DEP_1)
	v_add_lshl_u32 v2, v2, v4, 4
	ds_load_b128 v[18:21], v2
	s_waitcnt lgkmcnt(0)
	v_xor_b32_e32 v21, 0x80000000, v21
	ds_store_b128 v12, v[18:21] offset:48
.LBB62_58:
	s_or_b32 exec_lo, exec_lo, s4
	v_add_lshl_u32 v16, v0, v4, 4
	v_lshlrev_b32_e32 v13, 4, v11
	s_waitcnt lgkmcnt(0)
	s_barrier
	buffer_gl0_inv
	ds_load_b128 v[18:21], v16
	ds_load_b128 v[22:25], v13 offset:18176
	v_add_lshl_u32 v10, v1, v4, 4
	ds_load_b128 v[0:3], v13 offset:18192
	ds_load_b128 v[26:29], v10
	v_cmp_gt_u32_e64 s4, 32, v43
	s_waitcnt lgkmcnt(2)
	v_mul_f64 v[7:8], v[24:25], v[20:21]
	v_mul_f64 v[20:21], v[22:23], v[20:21]
	s_waitcnt lgkmcnt(0)
	v_mul_f64 v[40:41], v[2:3], v[28:29]
	v_mul_f64 v[45:46], v[0:1], v[28:29]
	s_delay_alu instid0(VALU_DEP_4) | instskip(NEXT) | instid1(VALU_DEP_4)
	v_fma_f64 v[7:8], v[22:23], v[18:19], -v[7:8]
	v_fma_f64 v[47:48], v[24:25], v[18:19], v[20:21]
	ds_load_b128 v[18:21], v10 offset:528
	ds_load_b128 v[22:25], v13 offset:18208
	;; [unrolled: 1-line block ×4, first 2 shown]
	s_waitcnt lgkmcnt(0)
	s_barrier
	v_fma_f64 v[0:1], v[0:1], v[26:27], -v[40:41]
	v_fma_f64 v[2:3], v[2:3], v[26:27], v[45:46]
	v_add_lshl_u32 v45, v9, v44, 4
	buffer_gl0_inv
	v_mul_f64 v[49:50], v[24:25], v[20:21]
	v_mul_f64 v[20:21], v[22:23], v[20:21]
	;; [unrolled: 1-line block ×4, first 2 shown]
	v_add_f64 v[7:8], v[7:8], 0
	v_add_f64 v[26:27], v[47:48], 0
	v_fma_f64 v[22:23], v[22:23], v[18:19], -v[49:50]
	v_fma_f64 v[18:19], v[24:25], v[18:19], v[20:21]
	v_fma_f64 v[20:21], v[30:31], v[32:33], v[34:35]
	v_add_f64 v[0:1], v[7:8], v[0:1]
	v_add_f64 v[2:3], v[26:27], v[2:3]
	v_fma_f64 v[7:8], v[28:29], v[32:33], -v[40:41]
	s_delay_alu instid0(VALU_DEP_3) | instskip(NEXT) | instid1(VALU_DEP_3)
	v_add_f64 v[0:1], v[0:1], v[22:23]
	v_add_f64 v[2:3], v[2:3], v[18:19]
	s_delay_alu instid0(VALU_DEP_2) | instskip(SKIP_1) | instid1(VALU_DEP_3)
	v_add_f64 v[18:19], v[0:1], v[7:8]
	v_mov_b32_e32 v0, 0
	v_add_f64 v[20:21], v[2:3], v[20:21]
	v_mov_b32_e32 v1, 0
	s_delay_alu instid0(VALU_DEP_1)
	v_dual_mov_b32 v3, v1 :: v_dual_mov_b32 v2, v0
	ds_store_b128 v45, v[18:21]
	s_waitcnt lgkmcnt(0)
	s_barrier
	buffer_gl0_inv
	s_and_saveexec_b32 s13, s4
	s_cbranch_execz .LBB62_60
; %bb.59:
	v_lshlrev_b32_e32 v24, 4, v44
	ds_load_b128 v[0:3], v24
	ds_load_b128 v[18:21], v24 offset:16
	s_waitcnt lgkmcnt(0)
	v_add_f64 v[7:8], v[18:19], v[0:1]
	v_add_f64 v[22:23], v[20:21], v[2:3]
	ds_load_b128 v[0:3], v24 offset:32
	ds_load_b128 v[18:21], v24 offset:48
	s_waitcnt lgkmcnt(1)
	v_add_f64 v[0:1], v[7:8], v[0:1]
	v_add_f64 v[2:3], v[22:23], v[2:3]
	s_waitcnt lgkmcnt(0)
	s_delay_alu instid0(VALU_DEP_2) | instskip(NEXT) | instid1(VALU_DEP_2)
	v_add_f64 v[7:8], v[0:1], v[18:19]
	v_add_f64 v[22:23], v[2:3], v[20:21]
	ds_load_b128 v[0:3], v24 offset:64
	ds_load_b128 v[18:21], v24 offset:80
	s_waitcnt lgkmcnt(1)
	v_add_f64 v[0:1], v[7:8], v[0:1]
	v_add_f64 v[2:3], v[22:23], v[2:3]
	s_waitcnt lgkmcnt(0)
	s_delay_alu instid0(VALU_DEP_2) | instskip(NEXT) | instid1(VALU_DEP_2)
	;; [unrolled: 9-line block ×3, first 2 shown]
	v_add_f64 v[0:1], v[0:1], v[18:19]
	v_add_f64 v[2:3], v[2:3], v[20:21]
.LBB62_60:
	s_or_b32 exec_lo, exec_lo, s13
	s_lshl_b32 s22, s16, 5
	v_cndmask_b32_e64 v18, 0, 1, s9
	s_ashr_i32 s23, s22, 31
	s_delay_alu instid0(SALU_CYCLE_1)
	s_lshl_b64 s[22:23], s[22:23], 4
	s_barrier
	v_add_co_u32 v7, vcc_lo, v5, s22
	v_add_co_ci_u32_e32 v8, vcc_lo, s23, v6, vcc_lo
	buffer_gl0_inv
	v_add_co_u32 v5, vcc_lo, 0x200, v7
	v_add_co_ci_u32_e32 v6, vcc_lo, 0, v8, vcc_lo
	s_and_not1_b32 vcc_lo, exec_lo, s9
	s_cbranch_vccnz .LBB62_62
; %bb.61:
	flat_load_b128 v[19:22], v[5:6]
	s_lshl_b32 s24, s16, 3
	v_mul_u32_u24_e32 v23, 33, v9
	s_ashr_i32 s25, s24, 31
	s_ashr_i32 s17, s16, 31
	s_lshl_b64 s[24:25], s[24:25], 4
	s_delay_alu instid0(SALU_CYCLE_1) | instskip(SKIP_3) | instid1(VALU_DEP_2)
	v_add_co_u32 v7, vcc_lo, v7, s24
	v_add_lshl_u32 v23, v23, v4, 4
	v_add_co_ci_u32_e32 v8, vcc_lo, s25, v8, vcc_lo
	s_lshl_b64 s[24:25], s[16:17], 7
	v_add_nc_u32_e32 v24, 0x1080, v23
	s_waitcnt vmcnt(0) lgkmcnt(0)
	ds_store_2addr_b64 v23, v[19:20], v[21:22] offset1:1
	flat_load_b128 v[19:22], v[7:8] offset:512
	v_add_co_u32 v7, vcc_lo, v7, s24
	v_add_co_ci_u32_e32 v8, vcc_lo, s25, v8, vcc_lo
	s_waitcnt vmcnt(0) lgkmcnt(0)
	ds_store_2addr_b64 v24, v[19:20], v[21:22] offset1:1
	flat_load_b128 v[19:22], v[7:8] offset:512
	v_add_co_u32 v7, vcc_lo, v7, s24
	v_add_nc_u32_e32 v24, 0x2100, v23
	v_add_co_ci_u32_e32 v8, vcc_lo, s25, v8, vcc_lo
	s_waitcnt vmcnt(0) lgkmcnt(0)
	ds_store_2addr_b64 v24, v[19:20], v[21:22] offset1:1
	flat_load_b128 v[19:22], v[7:8] offset:512
	v_add_nc_u32_e32 v7, 0x3180, v23
	s_waitcnt vmcnt(0) lgkmcnt(0)
	ds_store_2addr_b64 v7, v[19:20], v[21:22] offset1:1
	s_cbranch_execz .LBB62_63
	s_branch .LBB62_80
.LBB62_62:
.LBB62_63:
	v_or_b32_e32 v7, 32, v4
	s_ashr_i32 s13, s12, 31
	v_mul_u32_u24_e32 v20, 33, v9
	s_lshl_b64 s[24:25], s[12:13], 4
	s_sub_i32 s13, s12, 32
	v_lshlrev_b32_e32 v8, 4, v7
	v_cmp_le_i32_e64 s9, s13, v9
	s_delay_alu instid0(VALU_DEP_2) | instskip(SKIP_1) | instid1(VALU_DEP_2)
	v_sub_co_u32 v8, vcc_lo, v5, v8
	v_subrev_co_ci_u32_e32 v19, vcc_lo, 0, v6, vcc_lo
	v_add_co_u32 v8, vcc_lo, v8, s24
	s_delay_alu instid0(VALU_DEP_2) | instskip(NEXT) | instid1(VALU_DEP_2)
	v_add_co_ci_u32_e32 v19, vcc_lo, s25, v19, vcc_lo
	v_add_co_u32 v21, vcc_lo, v8, -16
	s_delay_alu instid0(VALU_DEP_2) | instskip(SKIP_2) | instid1(VALU_DEP_3)
	v_add_co_ci_u32_e32 v8, vcc_lo, -1, v19, vcc_lo
	v_cmp_gt_i32_e32 vcc_lo, s12, v7
	v_add_lshl_u32 v19, v20, v4, 4
	v_dual_cndmask_b32 v7, v21, v5 :: v_dual_cndmask_b32 v8, v8, v6
	s_and_saveexec_b32 s17, s9
	s_delay_alu instid0(SALU_CYCLE_1)
	s_xor_b32 s9, exec_lo, s17
	s_cbranch_execz .LBB62_65
; %bb.64:
	v_mov_b32_e32 v20, 0
	s_delay_alu instid0(VALU_DEP_1)
	v_mov_b32_e32 v21, v20
	v_mov_b32_e32 v22, v20
	;; [unrolled: 1-line block ×3, first 2 shown]
	ds_store_b128 v19, v[20:23]
.LBB62_65:
	s_and_not1_saveexec_b32 s9, s9
	s_cbranch_execz .LBB62_67
; %bb.66:
	flat_load_b128 v[20:23], v[7:8]
	s_waitcnt vmcnt(0) lgkmcnt(0)
	ds_store_2addr_b64 v19, v[20:21], v[22:23] offset1:1
.LBB62_67:
	s_or_b32 exec_lo, exec_lo, s9
	v_add_nc_u32_e32 v20, 8, v9
	s_delay_alu instid0(VALU_DEP_1) | instskip(NEXT) | instid1(VALU_DEP_1)
	v_cmp_le_i32_e64 s9, s13, v20
	s_and_saveexec_b32 s17, s9
	s_delay_alu instid0(SALU_CYCLE_1)
	s_xor_b32 s9, exec_lo, s17
	s_cbranch_execz .LBB62_69
; %bb.68:
	v_mul_u32_u24_e32 v21, 33, v20
	v_mov_b32_e32 v20, 0
	s_delay_alu instid0(VALU_DEP_2) | instskip(NEXT) | instid1(VALU_DEP_2)
	v_add_lshl_u32 v24, v21, v4, 4
	v_mov_b32_e32 v21, v20
	v_mov_b32_e32 v22, v20
	;; [unrolled: 1-line block ×3, first 2 shown]
	ds_store_b128 v24, v[20:23]
.LBB62_69:
	s_and_not1_saveexec_b32 s17, s9
	s_cbranch_execz .LBB62_71
; %bb.70:
	s_lshl_b32 s28, s16, 3
	v_add_nc_u32_e32 v24, 0x1080, v19
	s_ashr_i32 s29, s28, 31
	s_delay_alu instid0(SALU_CYCLE_1) | instskip(NEXT) | instid1(SALU_CYCLE_1)
	s_lshl_b64 s[28:29], s[28:29], 4
	v_add_co_u32 v20, s9, v7, s28
	s_delay_alu instid0(VALU_DEP_1)
	v_add_co_ci_u32_e64 v21, s9, s29, v8, s9
	flat_load_b128 v[20:23], v[20:21]
	s_waitcnt vmcnt(0) lgkmcnt(0)
	ds_store_2addr_b64 v24, v[20:21], v[22:23] offset1:1
.LBB62_71:
	s_or_b32 exec_lo, exec_lo, s17
	v_add_nc_u32_e32 v20, 16, v9
	s_delay_alu instid0(VALU_DEP_1) | instskip(NEXT) | instid1(VALU_DEP_1)
	v_cmp_le_i32_e64 s9, s13, v20
	s_and_saveexec_b32 s17, s9
	s_delay_alu instid0(SALU_CYCLE_1)
	s_xor_b32 s9, exec_lo, s17
	s_cbranch_execz .LBB62_73
; %bb.72:
	v_mul_u32_u24_e32 v21, 33, v20
	v_mov_b32_e32 v20, 0
	s_delay_alu instid0(VALU_DEP_2) | instskip(NEXT) | instid1(VALU_DEP_2)
	v_add_lshl_u32 v24, v21, v4, 4
	v_mov_b32_e32 v21, v20
	v_mov_b32_e32 v22, v20
	;; [unrolled: 1-line block ×3, first 2 shown]
	ds_store_b128 v24, v[20:23]
.LBB62_73:
	s_and_not1_saveexec_b32 s17, s9
	s_cbranch_execz .LBB62_75
; %bb.74:
	s_lshl_b32 s28, s16, 4
	v_add_nc_u32_e32 v24, 0x2100, v19
	s_ashr_i32 s29, s28, 31
	s_delay_alu instid0(SALU_CYCLE_1) | instskip(NEXT) | instid1(SALU_CYCLE_1)
	s_lshl_b64 s[28:29], s[28:29], 4
	v_add_co_u32 v20, s9, v7, s28
	s_delay_alu instid0(VALU_DEP_1)
	v_add_co_ci_u32_e64 v21, s9, s29, v8, s9
	flat_load_b128 v[20:23], v[20:21]
	s_waitcnt vmcnt(0) lgkmcnt(0)
	ds_store_2addr_b64 v24, v[20:21], v[22:23] offset1:1
.LBB62_75:
	s_or_b32 exec_lo, exec_lo, s17
	v_add_nc_u32_e32 v20, 24, v9
	s_delay_alu instid0(VALU_DEP_1) | instskip(NEXT) | instid1(VALU_DEP_1)
	v_cmp_le_i32_e64 s9, s13, v20
	s_and_saveexec_b32 s13, s9
	s_delay_alu instid0(SALU_CYCLE_1)
	s_xor_b32 s9, exec_lo, s13
	s_cbranch_execz .LBB62_77
; %bb.76:
	v_mov_b32_e32 v20, 0
	s_delay_alu instid0(VALU_DEP_1)
	v_mov_b32_e32 v21, v20
	v_mov_b32_e32 v22, v20
	;; [unrolled: 1-line block ×3, first 2 shown]
	ds_store_b128 v19, v[20:23] offset:12672
                                        ; implicit-def: $vgpr19
.LBB62_77:
	s_and_not1_saveexec_b32 s13, s9
	s_cbranch_execz .LBB62_79
; %bb.78:
	s_mul_i32 s28, s16, 24
	v_add_nc_u32_e32 v19, 0x3180, v19
	s_ashr_i32 s29, s28, 31
	s_delay_alu instid0(SALU_CYCLE_1) | instskip(NEXT) | instid1(SALU_CYCLE_1)
	s_lshl_b64 s[28:29], s[28:29], 4
	v_add_co_u32 v20, s9, v7, s28
	s_delay_alu instid0(VALU_DEP_1)
	v_add_co_ci_u32_e64 v21, s9, s29, v8, s9
	flat_load_b128 v[20:23], v[20:21]
	s_waitcnt vmcnt(0) lgkmcnt(0)
	ds_store_2addr_b64 v19, v[20:21], v[22:23] offset1:1
.LBB62_79:
	s_or_b32 exec_lo, exec_lo, s13
	v_lshlrev_b32_e32 v19, 4, v4
	s_delay_alu instid0(VALU_DEP_1) | instskip(NEXT) | instid1(VALU_DEP_1)
	v_add_co_u32 v7, s9, v7, v19
	v_add_co_ci_u32_e64 v8, s9, 0, v8, s9
	s_delay_alu instid0(VALU_DEP_2) | instskip(NEXT) | instid1(VALU_DEP_1)
	v_sub_co_u32 v7, s9, v7, s24
	v_subrev_co_ci_u32_e64 v8, s9, s25, v8, s9
	s_delay_alu instid0(VALU_DEP_2) | instskip(NEXT) | instid1(VALU_DEP_1)
	v_add_co_u32 v7, s9, 0x210, v7
	v_add_co_ci_u32_e64 v8, s9, 0, v8, s9
	s_delay_alu instid0(VALU_DEP_1)
	v_dual_cndmask_b32 v5, v7, v5 :: v_dual_cndmask_b32 v6, v8, v6
.LBB62_80:
	v_add_nc_u32_e32 v13, 0x4700, v13
	s_waitcnt lgkmcnt(0)
	s_barrier
	buffer_gl0_inv
	s_and_saveexec_b32 s9, s5
	s_delay_alu instid0(SALU_CYCLE_1)
	s_xor_b32 s5, exec_lo, s9
	s_cbranch_execnz .LBB62_93
; %bb.81:
	s_and_not1_saveexec_b32 s5, s5
	s_cbranch_execnz .LBB62_96
.LBB62_82:
	s_or_b32 exec_lo, exec_lo, s5
	s_and_saveexec_b32 s5, s6
	s_delay_alu instid0(SALU_CYCLE_1)
	s_xor_b32 s5, exec_lo, s5
	s_cbranch_execnz .LBB62_97
.LBB62_83:
	s_and_not1_saveexec_b32 s5, s5
	s_cbranch_execnz .LBB62_100
.LBB62_84:
	s_or_b32 exec_lo, exec_lo, s5
	s_and_saveexec_b32 s5, s7
	s_delay_alu instid0(SALU_CYCLE_1)
	s_xor_b32 s5, exec_lo, s5
	s_cbranch_execnz .LBB62_101
.LBB62_85:
	s_and_not1_saveexec_b32 s5, s5
	s_cbranch_execnz .LBB62_104
.LBB62_86:
	s_or_b32 exec_lo, exec_lo, s5
	s_and_saveexec_b32 s5, s8
	s_delay_alu instid0(SALU_CYCLE_1)
	s_xor_b32 s5, exec_lo, s5
	s_cbranch_execnz .LBB62_105
.LBB62_87:
	s_and_not1_saveexec_b32 s5, s5
	s_cbranch_execz .LBB62_89
.LBB62_88:
	ds_load_b128 v[19:22], v10 offset:1056
	s_waitcnt lgkmcnt(0)
	v_xor_b32_e32 v22, 0x80000000, v22
	ds_store_b128 v12, v[19:22] offset:48
.LBB62_89:
	s_or_b32 exec_lo, exec_lo, s5
	s_waitcnt lgkmcnt(0)
	s_barrier
	buffer_gl0_inv
	ds_load_b128 v[19:22], v13 offset:512
	ds_load_b128 v[14:17], v16
	ds_load_b128 v[23:26], v10
	ds_load_b128 v[27:30], v13 offset:528
	ds_load_b128 v[31:34], v13 offset:544
	v_cmp_eq_u32_e64 s5, 1, v9
	s_waitcnt lgkmcnt(1)
	v_mul_f64 v[40:41], v[29:30], v[25:26]
	v_mul_f64 v[7:8], v[21:22], v[16:17]
	;; [unrolled: 1-line block ×4, first 2 shown]
	s_delay_alu instid0(VALU_DEP_4) | instskip(NEXT) | instid1(VALU_DEP_4)
	v_fma_f64 v[27:28], v[27:28], v[23:24], -v[40:41]
	v_fma_f64 v[7:8], v[19:20], v[14:15], -v[7:8]
	s_delay_alu instid0(VALU_DEP_4)
	v_fma_f64 v[46:47], v[21:22], v[14:15], v[16:17]
	ds_load_b128 v[14:17], v10 offset:528
	ds_load_b128 v[19:22], v10 offset:1056
	v_fma_f64 v[29:30], v[29:30], v[23:24], v[25:26]
	ds_load_b128 v[23:26], v13 offset:560
	s_waitcnt lgkmcnt(0)
	s_barrier
	buffer_gl0_inv
	v_mul_f64 v[10:11], v[33:34], v[16:17]
	v_mul_f64 v[16:17], v[31:32], v[16:17]
	v_add_f64 v[7:8], v[7:8], 0
	v_add_f64 v[40:41], v[46:47], 0
	v_mul_f64 v[46:47], v[25:26], v[21:22]
	v_mul_f64 v[21:22], v[23:24], v[21:22]
	v_fma_f64 v[10:11], v[31:32], v[14:15], -v[10:11]
	v_fma_f64 v[14:15], v[33:34], v[14:15], v[16:17]
	v_add_f64 v[7:8], v[7:8], v[27:28]
	v_add_f64 v[16:17], v[40:41], v[29:30]
	v_fma_f64 v[23:24], v[23:24], v[19:20], -v[46:47]
	v_fma_f64 v[19:20], v[25:26], v[19:20], v[21:22]
	s_delay_alu instid0(VALU_DEP_4) | instskip(NEXT) | instid1(VALU_DEP_4)
	v_add_f64 v[7:8], v[7:8], v[10:11]
	v_add_f64 v[10:11], v[16:17], v[14:15]
	s_delay_alu instid0(VALU_DEP_2) | instskip(NEXT) | instid1(VALU_DEP_2)
	v_add_f64 v[14:15], v[7:8], v[23:24]
	v_add_f64 v[16:17], v[10:11], v[19:20]
	ds_store_b128 v45, v[14:17]
	s_waitcnt lgkmcnt(0)
	s_barrier
	buffer_gl0_inv
	s_and_saveexec_b32 s6, s5
	s_cbranch_execz .LBB62_91
; %bb.90:
	v_lshlrev_b32_e32 v19, 4, v44
	ds_load_b128 v[0:3], v19
	ds_load_b128 v[14:17], v19 offset:16
	s_waitcnt lgkmcnt(0)
	v_add_f64 v[7:8], v[14:15], v[0:1]
	v_add_f64 v[10:11], v[16:17], v[2:3]
	ds_load_b128 v[0:3], v19 offset:32
	ds_load_b128 v[14:17], v19 offset:48
	s_waitcnt lgkmcnt(1)
	v_add_f64 v[0:1], v[7:8], v[0:1]
	v_add_f64 v[2:3], v[10:11], v[2:3]
	s_waitcnt lgkmcnt(0)
	s_delay_alu instid0(VALU_DEP_2) | instskip(NEXT) | instid1(VALU_DEP_2)
	v_add_f64 v[7:8], v[0:1], v[14:15]
	v_add_f64 v[10:11], v[2:3], v[16:17]
	ds_load_b128 v[0:3], v19 offset:64
	ds_load_b128 v[14:17], v19 offset:80
	s_waitcnt lgkmcnt(1)
	v_add_f64 v[0:1], v[7:8], v[0:1]
	v_add_f64 v[2:3], v[10:11], v[2:3]
	s_waitcnt lgkmcnt(0)
	s_delay_alu instid0(VALU_DEP_2) | instskip(NEXT) | instid1(VALU_DEP_2)
	v_add_f64 v[7:8], v[0:1], v[14:15]
	v_add_f64 v[10:11], v[2:3], v[16:17]
	ds_load_b128 v[0:3], v19 offset:96
	ds_load_b128 v[14:17], v19 offset:112
	s_waitcnt lgkmcnt(1)
	v_add_f64 v[0:1], v[7:8], v[0:1]
	v_add_f64 v[2:3], v[10:11], v[2:3]
	s_waitcnt lgkmcnt(0)
	s_delay_alu instid0(VALU_DEP_2) | instskip(NEXT) | instid1(VALU_DEP_2)
	v_add_f64 v[0:1], v[0:1], v[14:15]
	v_add_f64 v[2:3], v[2:3], v[16:17]
.LBB62_91:
	s_or_b32 exec_lo, exec_lo, s6
	v_cmp_ne_u32_e32 vcc_lo, 1, v18
	v_sub_co_u32 v40, s6, v5, s22
	s_delay_alu instid0(VALU_DEP_1)
	v_subrev_co_ci_u32_e64 v41, s6, s23, v6, s6
	s_barrier
	buffer_gl0_inv
	s_cbranch_vccnz .LBB62_108
; %bb.92:
	flat_load_b128 v[14:17], v[40:41]
	s_lshl_b32 s6, s16, 3
	v_mad_u32_u24 v8, v9, 33, v4
	s_ashr_i32 s7, s6, 31
	s_ashr_i32 s17, s16, 31
	s_lshl_b64 s[6:7], s[6:7], 4
	v_add_nc_u32_e32 v10, 16, v9
	v_add_co_u32 v5, vcc_lo, v40, s6
	v_lshlrev_b32_e32 v19, 4, v8
	v_add_co_ci_u32_e32 v6, vcc_lo, s7, v41, vcc_lo
	s_lshl_b64 s[6:7], s[16:17], 7
	v_add_nc_u32_e32 v11, 24, v9
	s_delay_alu instid0(VALU_DEP_3)
	v_add_nc_u32_e32 v7, 0x1080, v19
	s_waitcnt vmcnt(0) lgkmcnt(0)
	ds_store_2addr_b64 v19, v[14:15], v[16:17] offset1:1
	flat_load_b128 v[14:17], v[5:6]
	v_add_co_u32 v5, vcc_lo, v5, s6
	v_add_co_ci_u32_e32 v6, vcc_lo, s7, v6, vcc_lo
	s_waitcnt vmcnt(0) lgkmcnt(0)
	ds_store_2addr_b64 v7, v[14:15], v[16:17] offset1:1
	flat_load_b128 v[14:17], v[5:6]
	v_add_co_u32 v5, vcc_lo, v5, s6
	v_add_nc_u32_e32 v7, 0x2100, v19
	v_add_co_ci_u32_e32 v6, vcc_lo, s7, v6, vcc_lo
	v_add_nc_u32_e32 v19, 0x3180, v19
	s_waitcnt vmcnt(0) lgkmcnt(0)
	ds_store_2addr_b64 v7, v[14:15], v[16:17] offset1:1
	flat_load_b128 v[15:18], v[5:6]
	v_add_nc_u32_e32 v7, 8, v9
	v_add_nc_u32_e32 v6, 0x108, v8
	;; [unrolled: 1-line block ×4, first 2 shown]
	s_waitcnt vmcnt(0) lgkmcnt(0)
	ds_store_2addr_b64 v19, v[15:16], v[17:18] offset1:1
	s_cbranch_execz .LBB62_109
	s_branch .LBB62_126
.LBB62_93:
	s_mov_b32 s9, exec_lo
	v_cmpx_eq_u32_e64 v11, v4
	s_cbranch_execz .LBB62_95
; %bb.94:
	v_mul_u32_u24_e32 v8, 34, v4
	v_mov_b32_e32 v7, 0
	s_delay_alu instid0(VALU_DEP_1)
	v_dual_mov_b32 v8, v7 :: v_dual_lshlrev_b32 v11, 4, v8
	ds_store_b64 v11, v[7:8] offset:8
.LBB62_95:
	s_or_b32 exec_lo, exec_lo, s9
	s_and_not1_saveexec_b32 s5, s5
	s_cbranch_execz .LBB62_82
.LBB62_96:
	ds_load_b128 v[19:22], v16
	s_waitcnt lgkmcnt(0)
	v_xor_b32_e32 v22, 0x80000000, v22
	ds_store_b128 v12, v[19:22]
	s_or_b32 exec_lo, exec_lo, s5
	s_and_saveexec_b32 s5, s6
	s_delay_alu instid0(SALU_CYCLE_1)
	s_xor_b32 s5, exec_lo, s5
	s_cbranch_execz .LBB62_83
.LBB62_97:
	s_mov_b32 s6, exec_lo
	v_cmpx_eq_u32_e64 v14, v4
	s_cbranch_execz .LBB62_99
; %bb.98:
	v_mul_u32_u24_e32 v8, 34, v4
	v_mov_b32_e32 v7, 0
	s_delay_alu instid0(VALU_DEP_1)
	v_dual_mov_b32 v8, v7 :: v_dual_lshlrev_b32 v11, 4, v8
	ds_store_b64 v11, v[7:8] offset:8
.LBB62_99:
	s_or_b32 exec_lo, exec_lo, s6
	s_and_not1_saveexec_b32 s5, s5
	s_cbranch_execz .LBB62_84
.LBB62_100:
	ds_load_b128 v[19:22], v10
	s_waitcnt lgkmcnt(0)
	v_xor_b32_e32 v22, 0x80000000, v22
	ds_store_b128 v12, v[19:22] offset:16
	s_or_b32 exec_lo, exec_lo, s5
	s_and_saveexec_b32 s5, s7
	s_delay_alu instid0(SALU_CYCLE_1)
	s_xor_b32 s5, exec_lo, s5
	s_cbranch_execz .LBB62_85
.LBB62_101:
	s_mov_b32 s6, exec_lo
	v_cmpx_eq_u32_e64 v15, v4
	s_cbranch_execz .LBB62_103
; %bb.102:
	v_mul_u32_u24_e32 v8, 34, v4
	v_mov_b32_e32 v7, 0
	s_delay_alu instid0(VALU_DEP_1)
	v_dual_mov_b32 v8, v7 :: v_dual_lshlrev_b32 v11, 4, v8
	ds_store_b64 v11, v[7:8] offset:8
.LBB62_103:
	s_or_b32 exec_lo, exec_lo, s6
	s_and_not1_saveexec_b32 s5, s5
	s_cbranch_execz .LBB62_86
.LBB62_104:
	ds_load_b128 v[19:22], v10 offset:528
	s_waitcnt lgkmcnt(0)
	v_xor_b32_e32 v22, 0x80000000, v22
	ds_store_b128 v12, v[19:22] offset:32
	s_or_b32 exec_lo, exec_lo, s5
	s_and_saveexec_b32 s5, s8
	s_delay_alu instid0(SALU_CYCLE_1)
	s_xor_b32 s5, exec_lo, s5
	s_cbranch_execz .LBB62_87
.LBB62_105:
	s_mov_b32 s6, exec_lo
	v_cmpx_eq_u32_e64 v17, v4
	s_cbranch_execz .LBB62_107
; %bb.106:
	v_mul_u32_u24_e32 v8, 34, v4
	v_mov_b32_e32 v7, 0
	s_delay_alu instid0(VALU_DEP_1)
	v_dual_mov_b32 v8, v7 :: v_dual_lshlrev_b32 v11, 4, v8
	ds_store_b64 v11, v[7:8] offset:8
.LBB62_107:
	s_or_b32 exec_lo, exec_lo, s6
	s_and_not1_saveexec_b32 s5, s5
	s_cbranch_execnz .LBB62_88
	s_branch .LBB62_89
.LBB62_108:
                                        ; implicit-def: $vgpr8
                                        ; implicit-def: $vgpr7
                                        ; implicit-def: $vgpr6
                                        ; implicit-def: $vgpr10
                                        ; implicit-def: $vgpr5
                                        ; implicit-def: $vgpr11
                                        ; implicit-def: $vgpr14
.LBB62_109:
	v_or_b32_e32 v5, 32, v4
	s_ashr_i32 s13, s12, 31
	v_mad_u32_u24 v8, v9, 33, v4
	s_lshl_b64 s[8:9], s[12:13], 4
	v_cmp_le_i32_e64 s6, s12, v9
	v_lshlrev_b32_e32 v6, 4, v5
	s_delay_alu instid0(VALU_DEP_3) | instskip(NEXT) | instid1(VALU_DEP_2)
	v_lshlrev_b32_e32 v15, 4, v8
	v_sub_co_u32 v6, vcc_lo, v40, v6
	v_subrev_co_ci_u32_e32 v7, vcc_lo, 0, v41, vcc_lo
	s_delay_alu instid0(VALU_DEP_2) | instskip(NEXT) | instid1(VALU_DEP_2)
	v_add_co_u32 v6, vcc_lo, v6, s8
	v_add_co_ci_u32_e32 v7, vcc_lo, s9, v7, vcc_lo
	s_delay_alu instid0(VALU_DEP_2) | instskip(NEXT) | instid1(VALU_DEP_2)
	v_add_co_u32 v10, vcc_lo, v6, -16
	v_add_co_ci_u32_e32 v6, vcc_lo, -1, v7, vcc_lo
	v_cmp_gt_i32_e32 vcc_lo, s12, v5
	s_delay_alu instid0(VALU_DEP_3) | instskip(NEXT) | instid1(VALU_DEP_3)
	v_cndmask_b32_e32 v5, v10, v40, vcc_lo
	v_cndmask_b32_e32 v6, v6, v41, vcc_lo
	s_and_saveexec_b32 s7, s6
	s_delay_alu instid0(SALU_CYCLE_1)
	s_xor_b32 s6, exec_lo, s7
	s_cbranch_execz .LBB62_111
; %bb.110:
	v_mov_b32_e32 v16, 0
	s_delay_alu instid0(VALU_DEP_1)
	v_mov_b32_e32 v17, v16
	v_mov_b32_e32 v18, v16
	;; [unrolled: 1-line block ×3, first 2 shown]
	ds_store_b128 v15, v[16:19]
.LBB62_111:
	s_and_not1_saveexec_b32 s6, s6
	s_cbranch_execz .LBB62_113
; %bb.112:
	flat_load_b128 v[16:19], v[5:6]
	s_waitcnt vmcnt(0) lgkmcnt(0)
	ds_store_2addr_b64 v15, v[16:17], v[18:19] offset1:1
.LBB62_113:
	s_or_b32 exec_lo, exec_lo, s6
	v_add_nc_u32_e32 v7, 8, v9
	s_delay_alu instid0(VALU_DEP_1) | instskip(NEXT) | instid1(VALU_DEP_1)
	v_cmp_le_i32_e64 s6, s12, v7
	s_and_saveexec_b32 s7, s6
	s_delay_alu instid0(SALU_CYCLE_1)
	s_xor_b32 s6, exec_lo, s7
	s_cbranch_execz .LBB62_115
; %bb.114:
	v_mul_u32_u24_e32 v10, 33, v7
	v_mov_b32_e32 v16, 0
	s_delay_alu instid0(VALU_DEP_2) | instskip(NEXT) | instid1(VALU_DEP_2)
	v_add_lshl_u32 v10, v10, v4, 4
	v_mov_b32_e32 v17, v16
	v_mov_b32_e32 v18, v16
	;; [unrolled: 1-line block ×3, first 2 shown]
	ds_store_b128 v10, v[16:19]
.LBB62_115:
	s_and_not1_saveexec_b32 s7, s6
	s_cbranch_execz .LBB62_117
; %bb.116:
	s_lshl_b32 s22, s16, 3
	s_delay_alu instid0(SALU_CYCLE_1) | instskip(NEXT) | instid1(SALU_CYCLE_1)
	s_ashr_i32 s23, s22, 31
	s_lshl_b64 s[22:23], s[22:23], 4
	s_delay_alu instid0(SALU_CYCLE_1) | instskip(NEXT) | instid1(VALU_DEP_1)
	v_add_co_u32 v10, s6, v5, s22
	v_add_co_ci_u32_e64 v11, s6, s23, v6, s6
	flat_load_b128 v[16:19], v[10:11]
	v_add_nc_u32_e32 v10, 0x1080, v15
	s_waitcnt vmcnt(0) lgkmcnt(0)
	ds_store_2addr_b64 v10, v[16:17], v[18:19] offset1:1
.LBB62_117:
	s_or_b32 exec_lo, exec_lo, s7
	v_add_nc_u32_e32 v10, 16, v9
	s_delay_alu instid0(VALU_DEP_1) | instskip(NEXT) | instid1(VALU_DEP_1)
	v_cmp_le_i32_e64 s6, s12, v10
	s_and_saveexec_b32 s7, s6
	s_delay_alu instid0(SALU_CYCLE_1)
	s_xor_b32 s6, exec_lo, s7
	s_cbranch_execz .LBB62_119
; %bb.118:
	v_mul_u32_u24_e32 v11, 33, v10
	v_mov_b32_e32 v16, 0
	s_delay_alu instid0(VALU_DEP_2) | instskip(NEXT) | instid1(VALU_DEP_2)
	v_add_lshl_u32 v11, v11, v4, 4
	v_mov_b32_e32 v17, v16
	v_mov_b32_e32 v18, v16
	;; [unrolled: 1-line block ×3, first 2 shown]
	ds_store_b128 v11, v[16:19]
.LBB62_119:
	s_and_not1_saveexec_b32 s7, s6
	s_cbranch_execz .LBB62_121
; %bb.120:
	s_lshl_b32 s22, s16, 4
	v_add_nc_u32_e32 v11, 0x2100, v15
	s_ashr_i32 s23, s22, 31
	s_delay_alu instid0(SALU_CYCLE_1) | instskip(NEXT) | instid1(SALU_CYCLE_1)
	s_lshl_b64 s[22:23], s[22:23], 4
	v_add_co_u32 v16, s6, v5, s22
	s_delay_alu instid0(VALU_DEP_1)
	v_add_co_ci_u32_e64 v17, s6, s23, v6, s6
	flat_load_b128 v[16:19], v[16:17]
	s_waitcnt vmcnt(0) lgkmcnt(0)
	ds_store_2addr_b64 v11, v[16:17], v[18:19] offset1:1
.LBB62_121:
	s_or_b32 exec_lo, exec_lo, s7
	v_add_nc_u32_e32 v11, 24, v9
                                        ; implicit-def: $vgpr14
	s_delay_alu instid0(VALU_DEP_1) | instskip(NEXT) | instid1(VALU_DEP_1)
	v_cmp_le_i32_e64 s6, s12, v11
	s_and_saveexec_b32 s7, s6
	s_delay_alu instid0(SALU_CYCLE_1)
	s_xor_b32 s6, exec_lo, s7
	s_cbranch_execz .LBB62_123
; %bb.122:
	v_mad_u32_u24 v14, v11, 33, v4
	v_mov_b32_e32 v15, 0
	s_delay_alu instid0(VALU_DEP_1)
	v_dual_mov_b32 v16, v15 :: v_dual_lshlrev_b32 v19, 4, v14
	v_mov_b32_e32 v17, v15
	v_mov_b32_e32 v18, v15
	ds_store_b128 v19, v[15:18]
                                        ; implicit-def: $vgpr15
.LBB62_123:
	s_and_not1_saveexec_b32 s7, s6
	s_cbranch_execz .LBB62_125
; %bb.124:
	s_mul_i32 s22, s16, 24
	v_add_nc_u32_e32 v15, 0x3180, v15
	s_ashr_i32 s23, s22, 31
	v_add_nc_u32_e32 v14, 0x318, v8
	s_lshl_b64 s[22:23], s[22:23], 4
	s_delay_alu instid0(SALU_CYCLE_1) | instskip(NEXT) | instid1(VALU_DEP_1)
	v_add_co_u32 v16, s6, v5, s22
	v_add_co_ci_u32_e64 v17, s6, s23, v6, s6
	flat_load_b128 v[16:19], v[16:17]
	s_waitcnt vmcnt(0) lgkmcnt(0)
	ds_store_2addr_b64 v15, v[16:17], v[18:19] offset1:1
.LBB62_125:
	s_or_b32 exec_lo, exec_lo, s7
	v_lshlrev_b32_e32 v4, 4, v4
	s_delay_alu instid0(VALU_DEP_1) | instskip(NEXT) | instid1(VALU_DEP_1)
	v_add_co_u32 v4, s6, v5, v4
	v_add_co_ci_u32_e64 v5, s6, 0, v6, s6
	v_add_nc_u32_e32 v6, 0x108, v8
	s_delay_alu instid0(VALU_DEP_3) | instskip(NEXT) | instid1(VALU_DEP_1)
	v_sub_co_u32 v4, s6, v4, s8
	v_subrev_co_ci_u32_e64 v5, s6, s9, v5, s6
	s_delay_alu instid0(VALU_DEP_2) | instskip(NEXT) | instid1(VALU_DEP_1)
	v_add_co_u32 v4, s6, 0x210, v4
	v_add_co_ci_u32_e64 v5, s6, 0, v5, s6
	s_delay_alu instid0(VALU_DEP_1)
	v_dual_cndmask_b32 v40, v4, v40 :: v_dual_cndmask_b32 v41, v5, v41
	v_add_nc_u32_e32 v5, 0x210, v8
.LBB62_126:
	v_lshlrev_b32_e32 v4, 4, v9
	v_lshlrev_b32_e32 v8, 4, v8
	s_waitcnt lgkmcnt(0)
	s_barrier
	buffer_gl0_inv
	ds_load_b128 v[15:18], v4 offset:18176
	ds_load_b128 v[19:22], v8
	v_lshlrev_b32_e32 v4, 4, v7
	v_lshlrev_b32_e32 v5, 4, v5
	s_waitcnt lgkmcnt(0)
	v_mul_f64 v[25:26], v[17:18], v[21:22]
	v_mul_f64 v[27:28], v[15:16], v[21:22]
	v_lshlrev_b32_e32 v21, 4, v6
	ds_load_b128 v[6:9], v4 offset:18176
	ds_load_b128 v[21:24], v21
	v_lshlrev_b32_e32 v4, 4, v10
	s_waitcnt lgkmcnt(0)
	v_mul_f64 v[29:30], v[8:9], v[23:24]
	v_mul_f64 v[31:32], v[6:7], v[23:24]
	v_fma_f64 v[33:34], v[15:16], v[19:20], -v[25:26]
	v_fma_f64 v[19:20], v[17:18], v[19:20], v[27:28]
	ds_load_b128 v[15:18], v4 offset:18176
	ds_load_b128 v[23:26], v5
	v_lshlrev_b32_e32 v4, 4, v11
	s_waitcnt lgkmcnt(0)
	v_mul_f64 v[27:28], v[17:18], v[25:26]
	v_mul_f64 v[25:26], v[15:16], v[25:26]
	v_fma_f64 v[29:30], v[6:7], v[21:22], -v[29:30]
	v_fma_f64 v[21:22], v[8:9], v[21:22], v[31:32]
	v_lshlrev_b32_e32 v8, 4, v14
	ds_load_b128 v[4:7], v4 offset:18176
	ds_load_b128 v[8:11], v8
	v_add_f64 v[31:32], v[33:34], 0
	v_add_f64 v[19:20], v[19:20], 0
	s_waitcnt lgkmcnt(0)
	v_mul_f64 v[33:34], v[6:7], v[10:11]
	v_mul_f64 v[10:11], v[4:5], v[10:11]
	v_fma_f64 v[14:15], v[15:16], v[23:24], -v[27:28]
	v_fma_f64 v[16:17], v[17:18], v[23:24], v[25:26]
	v_add_f64 v[23:24], v[31:32], v[29:30]
	v_add_f64 v[18:19], v[19:20], v[21:22]
	v_fma_f64 v[4:5], v[4:5], v[8:9], -v[33:34]
	v_fma_f64 v[6:7], v[6:7], v[8:9], v[10:11]
	s_delay_alu instid0(VALU_DEP_4) | instskip(NEXT) | instid1(VALU_DEP_4)
	v_add_f64 v[8:9], v[23:24], v[14:15]
	v_add_f64 v[10:11], v[18:19], v[16:17]
	s_delay_alu instid0(VALU_DEP_2) | instskip(NEXT) | instid1(VALU_DEP_2)
	v_add_f64 v[46:47], v[8:9], v[4:5]
	v_add_f64 v[48:49], v[10:11], v[6:7]
	ds_load_b128 v[28:31], v12
	ds_load_b128 v[20:23], v12 offset:16
	ds_load_b128 v[8:11], v12 offset:32
	;; [unrolled: 1-line block ×7, first 2 shown]
	s_waitcnt lgkmcnt(0)
	s_barrier
	buffer_gl0_inv
	ds_store_b128 v45, v[46:49]
	s_waitcnt lgkmcnt(0)
	s_barrier
	buffer_gl0_inv
	s_and_saveexec_b32 s6, s5
	s_cbranch_execz .LBB62_128
; %bb.127:
	v_lshlrev_b32_e32 v54, 4, v44
	ds_load_b128 v[46:49], v54
	ds_load_b128 v[50:53], v54 offset:16
	s_waitcnt lgkmcnt(1)
	v_add_f64 v[0:1], v[0:1], v[46:47]
	v_add_f64 v[2:3], v[2:3], v[48:49]
	s_waitcnt lgkmcnt(0)
	s_delay_alu instid0(VALU_DEP_2) | instskip(NEXT) | instid1(VALU_DEP_2)
	v_add_f64 v[50:51], v[0:1], v[50:51]
	v_add_f64 v[52:53], v[2:3], v[52:53]
	ds_load_b128 v[0:3], v54 offset:32
	ds_load_b128 v[46:49], v54 offset:48
	s_waitcnt lgkmcnt(1)
	v_add_f64 v[0:1], v[50:51], v[0:1]
	v_add_f64 v[2:3], v[52:53], v[2:3]
	s_waitcnt lgkmcnt(0)
	s_delay_alu instid0(VALU_DEP_2) | instskip(NEXT) | instid1(VALU_DEP_2)
	v_add_f64 v[50:51], v[0:1], v[46:47]
	v_add_f64 v[52:53], v[2:3], v[48:49]
	ds_load_b128 v[0:3], v54 offset:64
	;; [unrolled: 9-line block ×3, first 2 shown]
	ds_load_b128 v[46:49], v54 offset:112
	s_waitcnt lgkmcnt(1)
	v_add_f64 v[0:1], v[50:51], v[0:1]
	v_add_f64 v[2:3], v[52:53], v[2:3]
	s_waitcnt lgkmcnt(0)
	s_delay_alu instid0(VALU_DEP_2) | instskip(NEXT) | instid1(VALU_DEP_2)
	v_add_f64 v[0:1], v[0:1], v[46:47]
	v_add_f64 v[2:3], v[2:3], v[48:49]
.LBB62_128:
	s_or_b32 exec_lo, exec_lo, s6
	v_mul_f64 v[46:47], v[30:31], v[34:35]
	v_mul_f64 v[30:31], v[30:31], v[32:33]
	;; [unrolled: 1-line block ×4, first 2 shown]
	s_barrier
	buffer_gl0_inv
	v_fma_f64 v[32:33], v[28:29], v[32:33], v[46:47]
	v_fma_f64 v[28:29], v[28:29], v[34:35], -v[30:31]
	v_mul_f64 v[30:31], v[10:11], v[18:19]
	v_mul_f64 v[10:11], v[10:11], v[16:17]
	v_fma_f64 v[24:25], v[20:21], v[24:25], v[48:49]
	v_fma_f64 v[20:21], v[20:21], v[26:27], -v[22:23]
	v_add_f64 v[22:23], v[32:33], 0
	v_add_f64 v[26:27], v[28:29], 0
	v_mul_f64 v[28:29], v[6:7], v[14:15]
	v_mul_f64 v[6:7], v[6:7], v[12:13]
	v_fma_f64 v[16:17], v[8:9], v[16:17], v[30:31]
	v_fma_f64 v[8:9], v[8:9], v[18:19], -v[10:11]
	v_add_f64 v[10:11], v[22:23], v[24:25]
	v_add_f64 v[18:19], v[26:27], v[20:21]
	v_fma_f64 v[12:13], v[4:5], v[12:13], v[28:29]
	v_fma_f64 v[6:7], v[4:5], v[14:15], -v[6:7]
	s_delay_alu instid0(VALU_DEP_4) | instskip(NEXT) | instid1(VALU_DEP_4)
	v_add_f64 v[4:5], v[10:11], v[16:17]
	v_add_f64 v[8:9], v[18:19], v[8:9]
	s_delay_alu instid0(VALU_DEP_2) | instskip(NEXT) | instid1(VALU_DEP_2)
	v_add_f64 v[4:5], v[4:5], v[12:13]
	v_add_f64 v[6:7], v[8:9], v[6:7]
	ds_store_b128 v45, v[4:7]
	s_waitcnt lgkmcnt(0)
	s_barrier
	buffer_gl0_inv
	s_and_saveexec_b32 s5, s4
	s_cbranch_execz .LBB62_130
; %bb.129:
	v_lshlrev_b32_e32 v12, 4, v44
	ds_load_b128 v[4:7], v12
	ds_load_b128 v[8:11], v12 offset:16
	s_waitcnt lgkmcnt(1)
	v_add_f64 v[0:1], v[0:1], v[4:5]
	v_add_f64 v[2:3], v[2:3], v[6:7]
	s_waitcnt lgkmcnt(0)
	s_delay_alu instid0(VALU_DEP_2) | instskip(NEXT) | instid1(VALU_DEP_2)
	v_add_f64 v[8:9], v[0:1], v[8:9]
	v_add_f64 v[10:11], v[2:3], v[10:11]
	ds_load_b128 v[0:3], v12 offset:32
	ds_load_b128 v[4:7], v12 offset:48
	s_waitcnt lgkmcnt(1)
	v_add_f64 v[0:1], v[8:9], v[0:1]
	v_add_f64 v[2:3], v[10:11], v[2:3]
	s_waitcnt lgkmcnt(0)
	s_delay_alu instid0(VALU_DEP_2) | instskip(NEXT) | instid1(VALU_DEP_2)
	v_add_f64 v[8:9], v[0:1], v[4:5]
	v_add_f64 v[10:11], v[2:3], v[6:7]
	ds_load_b128 v[0:3], v12 offset:64
	;; [unrolled: 9-line block ×3, first 2 shown]
	ds_load_b128 v[4:7], v12 offset:112
	s_waitcnt lgkmcnt(1)
	v_add_f64 v[0:1], v[8:9], v[0:1]
	v_add_f64 v[2:3], v[10:11], v[2:3]
	s_waitcnt lgkmcnt(0)
	s_delay_alu instid0(VALU_DEP_2) | instskip(NEXT) | instid1(VALU_DEP_2)
	v_add_f64 v[0:1], v[0:1], v[4:5]
	v_add_f64 v[2:3], v[2:3], v[6:7]
.LBB62_130:
	s_or_b32 exec_lo, exec_lo, s5
	s_load_b64 s[0:1], s[0:1], 0x78
	s_mul_hi_u32 s4, s15, s10
	s_mul_i32 s27, s27, s10
	s_mul_i32 s5, s15, s10
	s_add_i32 s4, s4, s27
	s_mul_hi_u32 s6, s5, s26
	s_mul_i32 s7, s4, s26
	s_mul_i32 s4, s5, s26
	s_add_i32 s5, s6, s7
	s_mul_i32 s6, s14, s15
	s_lshl_b64 s[4:5], s[4:5], 4
	v_cmp_le_i32_e32 vcc_lo, s12, v42
	v_lshlrev_b32_e32 v150, 4, v42
	s_waitcnt lgkmcnt(0)
	s_barrier
	buffer_gl0_inv
	s_add_u32 s4, s0, s4
	s_addc_u32 s5, s1, s5
	s_ashr_i32 s7, s6, 31
	s_delay_alu instid0(SALU_CYCLE_1) | instskip(NEXT) | instid1(SALU_CYCLE_1)
	s_lshl_b64 s[0:1], s[6:7], 4
	s_add_u32 s8, s4, s0
	s_addc_u32 s9, s5, s1
	s_and_b32 vcc_lo, s19, vcc_lo
	s_cmp_lt_i32 s14, 1
	s_cbranch_scc1 .LBB62_137
; %bb.131:
	v_mul_lo_u32 v4, v149, s16
	v_sub_co_u32 v7, s0, v40, s20
	s_delay_alu instid0(VALU_DEP_1) | instskip(SKIP_1) | instid1(VALU_DEP_2)
	v_subrev_co_ci_u32_e64 v8, s0, s21, v41, s0
	s_ashr_i32 s13, s12, 31
	v_sub_co_u32 v7, s0, v7, v38
	s_delay_alu instid0(VALU_DEP_4) | instskip(NEXT) | instid1(VALU_DEP_3)
	v_lshl_add_u32 v4, v4, 2, v42
	v_sub_co_ci_u32_e64 v8, s0, v8, v39, s0
	s_lshl_b64 s[6:7], s[12:13], 4
	v_lshlrev_b32_e32 v10, 2, v43
	s_delay_alu instid0(VALU_DEP_3) | instskip(SKIP_3) | instid1(VALU_DEP_2)
	v_ashrrev_i32_e32 v5, 31, v4
	s_mul_i32 s4, s18, s11
	v_dual_mov_b32 v146, 0 :: v_dual_add_nc_u32 v151, 0x4300, v150
	s_ashr_i32 s5, s4, 31
	v_lshlrev_b64 v[4:5], 4, v[4:5]
	s_lshl_b64 s[4:5], s[4:5], 4
	v_add_nc_u32_e32 v154, 0x4700, v150
	v_lshl_add_u32 v158, v149, 6, 0x4300
	v_mad_u32_u24 v159, 0x10c0, v149, v150
	s_ashr_i32 s17, s16, 31
	v_add_co_u32 v4, s0, v7, v4
	s_delay_alu instid0(VALU_DEP_1) | instskip(SKIP_1) | instid1(VALU_DEP_2)
	v_add_co_ci_u32_e64 v5, s0, v8, v5, s0
	s_lshl_b32 s10, s11, 6
	v_add_co_u32 v4, s0, 0xfffffe00, v4
	s_delay_alu instid0(VALU_DEP_1) | instskip(SKIP_1) | instid1(VALU_DEP_2)
	v_add_co_ci_u32_e64 v5, s0, -1, v5, s0
	s_mul_hi_i32 s11, s16, 0xd0
	v_sub_co_u32 v7, s0, v4, v150
	s_delay_alu instid0(VALU_DEP_1) | instskip(SKIP_1) | instid1(VALU_DEP_2)
	v_subrev_co_ci_u32_e64 v8, s0, 0, v5, s0
	s_mul_i32 s12, s16, 0xd0
	v_add_co_u32 v7, s0, v7, s6
	s_delay_alu instid0(VALU_DEP_1) | instskip(SKIP_1) | instid1(VALU_DEP_2)
	v_add_co_ci_u32_e64 v8, s0, s7, v8, s0
	s_mov_b32 s6, 0
	v_add_co_u32 v7, s0, v7, -16
	v_and_b32_e32 v9, 48, v42
	s_delay_alu instid0(VALU_DEP_3) | instskip(NEXT) | instid1(VALU_DEP_3)
	v_add_co_ci_u32_e64 v8, s0, -1, v8, s0
	v_cndmask_b32_e32 v4, v4, v7, vcc_lo
	v_and_b32_e32 v6, 15, v42
	v_or_b32_e32 v7, 0xf0, v150
	s_delay_alu instid0(VALU_DEP_4)
	v_cndmask_b32_e32 v5, v5, v8, vcc_lo
	v_lshlrev_b32_e32 v11, 4, v9
	v_and_b32_e32 v8, 0x7ffc0, v10
	v_sub_co_u32 v152, s0, v36, s4
	v_mad_u32_u24 v156, 0x430, v6, v7
	v_and_b32_e32 v7, 0x1fff0, v43
	v_subrev_co_ci_u32_e64 v153, s0, s5, v37, s0
	v_cmp_gt_u32_e64 s0, 64, v43
	v_mad_u32_u24 v155, 0x430, v6, v11
	v_mad_u32_u24 v157, 0x430, v6, v8
	;; [unrolled: 1-line block ×3, first 2 shown]
	v_or_b32_e32 v145, v9, v6
	s_lshl_b64 s[4:5], s[16:17], 4
	s_branch .LBB62_133
.LBB62_132:                             ;   in Loop: Header=BB62_133 Depth=1
	s_or_b32 exec_lo, exec_lo, s7
	v_mul_f64 v[108:109], v[10:11], v[38:39]
	v_mul_f64 v[38:39], v[8:9], v[38:39]
	v_mul_f64 v[110:111], v[18:19], v[50:51]
	v_mul_f64 v[50:51], v[16:17], v[50:51]
	v_add_nc_u32_e32 v145, 64, v145
	s_add_i32 s14, s14, -1
	s_add_i32 s6, s6, s10
	s_cmp_eq_u32 s14, 0
	s_waitcnt_vscnt null, 0x0
	s_barrier
	buffer_gl0_inv
	v_fma_f64 v[8:9], v[8:9], v[36:37], -v[108:109]
	v_fma_f64 v[10:11], v[10:11], v[36:37], v[38:39]
	v_mul_f64 v[36:37], v[14:15], v[46:47]
	v_mul_f64 v[38:39], v[12:13], v[46:47]
	v_fma_f64 v[16:17], v[16:17], v[48:49], -v[110:111]
	v_fma_f64 v[18:19], v[18:19], v[48:49], v[50:51]
	v_add_f64 v[0:1], v[0:1], v[8:9]
	v_add_f64 v[2:3], v[2:3], v[10:11]
	v_mul_f64 v[8:9], v[6:7], v[42:43]
	v_mul_f64 v[10:11], v[4:5], v[42:43]
	v_fma_f64 v[12:13], v[12:13], v[44:45], -v[36:37]
	v_fma_f64 v[14:15], v[14:15], v[44:45], v[38:39]
	v_add_f64 v[0:1], v[0:1], v[16:17]
	v_add_f64 v[2:3], v[2:3], v[18:19]
	v_mul_f64 v[16:17], v[34:35], v[74:75]
	v_mul_f64 v[18:19], v[32:33], v[74:75]
	v_fma_f64 v[4:5], v[4:5], v[40:41], -v[8:9]
	v_fma_f64 v[6:7], v[6:7], v[40:41], v[10:11]
	v_mul_f64 v[8:9], v[30:31], v[82:83]
	v_mul_f64 v[10:11], v[28:29], v[82:83]
	v_add_f64 v[0:1], v[0:1], v[12:13]
	v_add_f64 v[2:3], v[2:3], v[14:15]
	v_fma_f64 v[12:13], v[32:33], v[72:73], -v[16:17]
	v_fma_f64 v[14:15], v[34:35], v[72:73], v[18:19]
	v_fma_f64 v[8:9], v[28:29], v[80:81], -v[8:9]
	v_fma_f64 v[10:11], v[30:31], v[80:81], v[10:11]
	v_add_f64 v[0:1], v[0:1], v[4:5]
	v_add_f64 v[2:3], v[2:3], v[6:7]
	v_mul_f64 v[4:5], v[26:27], v[78:79]
	v_mul_f64 v[6:7], v[24:25], v[78:79]
	s_delay_alu instid0(VALU_DEP_4) | instskip(NEXT) | instid1(VALU_DEP_4)
	v_add_f64 v[0:1], v[0:1], v[12:13]
	v_add_f64 v[2:3], v[2:3], v[14:15]
	v_mul_f64 v[12:13], v[22:23], v[70:71]
	v_mul_f64 v[14:15], v[20:21], v[70:71]
	v_fma_f64 v[4:5], v[24:25], v[76:77], -v[4:5]
	v_fma_f64 v[6:7], v[26:27], v[76:77], v[6:7]
	v_add_f64 v[0:1], v[0:1], v[8:9]
	v_add_f64 v[2:3], v[2:3], v[10:11]
	v_mul_f64 v[8:9], v[66:67], v[102:103]
	v_mul_f64 v[10:11], v[64:65], v[102:103]
	v_fma_f64 v[12:13], v[20:21], v[68:69], -v[12:13]
	v_fma_f64 v[14:15], v[22:23], v[68:69], v[14:15]
	;; [unrolled: 6-line block ×9, first 2 shown]
	v_add_f64 v[0:1], v[0:1], v[12:13]
	v_add_f64 v[2:3], v[2:3], v[14:15]
	v_fma_f64 v[4:5], v[120:121], v[128:129], -v[4:5]
	v_fma_f64 v[6:7], v[122:123], v[128:129], v[6:7]
	s_delay_alu instid0(VALU_DEP_4) | instskip(NEXT) | instid1(VALU_DEP_4)
	v_add_f64 v[0:1], v[0:1], v[8:9]
	v_add_f64 v[2:3], v[2:3], v[10:11]
	s_delay_alu instid0(VALU_DEP_2) | instskip(NEXT) | instid1(VALU_DEP_2)
	v_add_f64 v[0:1], v[0:1], v[4:5]
	v_add_f64 v[2:3], v[2:3], v[6:7]
	v_add_co_u32 v4, s1, v147, s12
	s_delay_alu instid0(VALU_DEP_1)
	v_add_co_ci_u32_e64 v5, s1, s11, v148, s1
	s_cbranch_scc1 .LBB62_137
.LBB62_133:                             ; =>This Inner Loop Header: Depth=1
	s_and_saveexec_b32 s13, s3
	s_cbranch_execz .LBB62_135
; %bb.134:                              ;   in Loop: Header=BB62_133 Depth=1
	s_ashr_i32 s7, s6, 31
	s_delay_alu instid0(SALU_CYCLE_1) | instskip(NEXT) | instid1(SALU_CYCLE_1)
	s_lshl_b64 s[16:17], s[6:7], 4
	v_add_co_u32 v6, s1, v152, s16
	s_delay_alu instid0(VALU_DEP_1)
	v_add_co_ci_u32_e64 v7, s1, s17, v153, s1
	flat_load_b128 v[6:9], v[6:7]
	s_waitcnt vmcnt(0) lgkmcnt(0)
	ds_store_2addr_b64 v151, v[6:7], v[8:9] offset1:1
.LBB62_135:                             ;   in Loop: Header=BB62_133 Depth=1
	s_or_b32 exec_lo, exec_lo, s13
	v_add_co_u32 v6, s1, v4, s4
	s_delay_alu instid0(VALU_DEP_1) | instskip(SKIP_1) | instid1(VALU_DEP_2)
	v_add_co_ci_u32_e64 v7, s1, s5, v5, s1
	s_waitcnt lgkmcnt(0)
	v_add_co_u32 v12, s1, v6, s4
	s_delay_alu instid0(VALU_DEP_1) | instskip(SKIP_1) | instid1(VALU_DEP_2)
	v_add_co_ci_u32_e64 v13, s1, s5, v7, s1
	s_barrier
	v_add_co_u32 v40, s1, v12, s4
	buffer_gl0_inv
	flat_load_b128 v[8:11], v[4:5]
	v_add_co_ci_u32_e64 v41, s1, s5, v13, s1
	s_clause 0x2
	flat_load_b128 v[16:19], v[6:7]
	flat_load_b128 v[12:15], v[12:13]
	;; [unrolled: 1-line block ×3, first 2 shown]
	ds_load_b128 v[20:23], v154
	ds_load_b128 v[36:39], v158
	v_add_co_u32 v52, s1, v40, s12
	s_delay_alu instid0(VALU_DEP_1) | instskip(NEXT) | instid1(VALU_DEP_2)
	v_add_co_ci_u32_e64 v53, s1, s11, v41, s1
	v_add_co_u32 v54, s1, v52, s4
	s_delay_alu instid0(VALU_DEP_1) | instskip(NEXT) | instid1(VALU_DEP_2)
	v_add_co_ci_u32_e64 v55, s1, s5, v53, s1
	;; [unrolled: 3-line block ×11, first 2 shown]
	v_add_co_u32 v147, s1, v136, s4
	s_delay_alu instid0(VALU_DEP_1)
	v_add_co_ci_u32_e64 v148, s1, s5, v137, s1
	s_waitcnt vmcnt(3) lgkmcnt(1)
	v_mul_f64 v[24:25], v[10:11], v[22:23]
	v_mul_f64 v[26:27], v[10:11], v[20:21]
	s_waitcnt vmcnt(2)
	v_mul_f64 v[28:29], v[18:19], v[22:23]
	v_mul_f64 v[30:31], v[18:19], v[20:21]
	s_waitcnt vmcnt(1)
	;; [unrolled: 3-line block ×3, first 2 shown]
	v_mul_f64 v[42:43], v[6:7], v[22:23]
	v_mul_f64 v[44:45], v[6:7], v[20:21]
	v_fma_f64 v[24:25], v[8:9], v[20:21], v[24:25]
	v_fma_f64 v[26:27], v[8:9], v[22:23], -v[26:27]
	v_fma_f64 v[28:29], v[16:17], v[20:21], v[28:29]
	v_fma_f64 v[30:31], v[16:17], v[22:23], -v[30:31]
	;; [unrolled: 2-line block ×4, first 2 shown]
	ds_store_b128 v159, v[24:27]
	ds_load_b128 v[48:51], v158 offset:16
	ds_store_b128 v159, v[28:31] offset:1072
	ds_load_b128 v[44:47], v158 offset:32
	ds_store_b128 v159, v[32:35] offset:2144
	;; [unrolled: 2-line block ×3, first 2 shown]
	s_waitcnt lgkmcnt(0)
	s_barrier
	buffer_gl0_inv
	ds_load_b128 v[128:131], v157
	ds_load_b128 v[140:143], v157 offset:16
	ds_load_b128 v[116:119], v157 offset:32
	;; [unrolled: 1-line block ×3, first 2 shown]
	s_waitcnt lgkmcnt(0)
	s_barrier
	buffer_gl0_inv
	s_clause 0x2
	flat_load_b128 v[32:35], v[52:53]
	flat_load_b128 v[28:31], v[54:55]
	;; [unrolled: 1-line block ×4, first 2 shown]
	ds_load_b128 v[52:55], v154
	ds_load_b128 v[72:75], v158 offset:256
	v_add_f64 v[205:206], v[128:129], 0
	v_add_f64 v[207:208], v[130:131], 0
	s_waitcnt vmcnt(2) lgkmcnt(1)
	v_mul_f64 v[60:61], v[30:31], v[54:55]
	v_mul_f64 v[56:57], v[34:35], v[54:55]
	v_mul_f64 v[58:59], v[34:35], v[52:53]
	v_mul_f64 v[62:63], v[30:31], v[52:53]
	s_waitcnt vmcnt(1)
	v_mul_f64 v[64:65], v[26:27], v[54:55]
	v_mul_f64 v[66:67], v[26:27], v[52:53]
	s_waitcnt vmcnt(0)
	v_mul_f64 v[70:71], v[22:23], v[54:55]
	v_mul_f64 v[76:77], v[22:23], v[52:53]
	v_fma_f64 v[60:61], v[28:29], v[52:53], v[60:61]
	v_fma_f64 v[56:57], v[32:33], v[52:53], v[56:57]
	v_fma_f64 v[58:59], v[32:33], v[54:55], -v[58:59]
	v_fma_f64 v[62:63], v[28:29], v[54:55], -v[62:63]
	v_fma_f64 v[64:65], v[24:25], v[52:53], v[64:65]
	v_fma_f64 v[66:67], v[24:25], v[54:55], -v[66:67]
	v_fma_f64 v[52:53], v[20:21], v[52:53], v[70:71]
	v_fma_f64 v[54:55], v[20:21], v[54:55], -v[76:77]
	ds_store_b128 v159, v[56:59]
	ds_load_b128 v[80:83], v158 offset:272
	ds_store_b128 v159, v[60:63] offset:1072
	ds_load_b128 v[76:79], v158 offset:288
	ds_store_b128 v159, v[64:67] offset:2144
	;; [unrolled: 2-line block ×3, first 2 shown]
	s_waitcnt lgkmcnt(0)
	s_barrier
	buffer_gl0_inv
	ds_load_b128 v[161:164], v157
	ds_load_b128 v[165:168], v157 offset:16
	ds_load_b128 v[169:172], v157 offset:32
	;; [unrolled: 1-line block ×3, first 2 shown]
	s_waitcnt lgkmcnt(0)
	s_barrier
	buffer_gl0_inv
	flat_load_b128 v[64:67], v[84:85]
	flat_load_b128 v[60:63], v[86:87]
	;; [unrolled: 1-line block ×4, first 2 shown]
	ds_load_b128 v[84:87], v154
	ds_load_b128 v[100:103], v158 offset:512
	v_add_f64 v[161:162], v[161:162], 0
	v_add_f64 v[163:164], v[163:164], 0
	s_delay_alu instid0(VALU_DEP_2) | instskip(NEXT) | instid1(VALU_DEP_2)
	v_add_f64 v[161:162], v[161:162], v[165:166]
	v_add_f64 v[163:164], v[163:164], v[167:168]
	s_delay_alu instid0(VALU_DEP_2) | instskip(NEXT) | instid1(VALU_DEP_2)
	v_add_f64 v[161:162], v[161:162], v[169:170]
	v_add_f64 v[163:164], v[163:164], v[171:172]
	s_waitcnt vmcnt(2) lgkmcnt(1)
	v_mul_f64 v[92:93], v[62:63], v[86:87]
	v_mul_f64 v[88:89], v[66:67], v[86:87]
	;; [unrolled: 1-line block ×4, first 2 shown]
	s_waitcnt vmcnt(1)
	v_mul_f64 v[96:97], v[58:59], v[86:87]
	v_mul_f64 v[98:99], v[58:59], v[84:85]
	s_waitcnt vmcnt(0)
	v_mul_f64 v[106:107], v[54:55], v[86:87]
	v_mul_f64 v[112:113], v[54:55], v[84:85]
	v_fma_f64 v[92:93], v[60:61], v[84:85], v[92:93]
	v_fma_f64 v[88:89], v[64:65], v[84:85], v[88:89]
	v_fma_f64 v[90:91], v[64:65], v[86:87], -v[90:91]
	v_fma_f64 v[94:95], v[60:61], v[86:87], -v[94:95]
	v_fma_f64 v[96:97], v[56:57], v[84:85], v[96:97]
	v_fma_f64 v[98:99], v[56:57], v[86:87], -v[98:99]
	v_fma_f64 v[84:85], v[52:53], v[84:85], v[106:107]
	v_fma_f64 v[86:87], v[52:53], v[86:87], -v[112:113]
	ds_store_b128 v159, v[88:91]
	ds_load_b128 v[112:115], v158 offset:528
	ds_store_b128 v159, v[92:95] offset:1072
	ds_load_b128 v[104:107], v158 offset:544
	ds_store_b128 v159, v[96:99] offset:2144
	ds_load_b128 v[96:99], v158 offset:560
	ds_store_b128 v159, v[84:87] offset:3216
	s_waitcnt lgkmcnt(0)
	s_barrier
	buffer_gl0_inv
	ds_load_b128 v[177:180], v157
	ds_load_b128 v[181:184], v157 offset:16
	ds_load_b128 v[185:188], v157 offset:32
	;; [unrolled: 1-line block ×3, first 2 shown]
	s_waitcnt lgkmcnt(0)
	s_barrier
	buffer_gl0_inv
	flat_load_b128 v[88:91], v[120:121]
	flat_load_b128 v[84:87], v[122:123]
	;; [unrolled: 1-line block ×3, first 2 shown]
	ds_load_b128 v[132:135], v154
	ds_load_b128 v[124:127], v158 offset:768
	v_add_f64 v[177:178], v[177:178], 0
	v_add_f64 v[179:180], v[179:180], 0
	s_delay_alu instid0(VALU_DEP_2) | instskip(NEXT) | instid1(VALU_DEP_2)
	v_add_f64 v[165:166], v[177:178], v[181:182]
	v_add_f64 v[167:168], v[179:180], v[183:184]
	s_delay_alu instid0(VALU_DEP_2) | instskip(NEXT) | instid1(VALU_DEP_2)
	v_add_f64 v[165:166], v[165:166], v[185:186]
	v_add_f64 v[167:168], v[167:168], v[187:188]
	s_waitcnt vmcnt(2) lgkmcnt(1)
	v_mul_f64 v[120:121], v[90:91], v[134:135]
	v_mul_f64 v[122:123], v[90:91], v[132:133]
	s_waitcnt vmcnt(1)
	v_mul_f64 v[193:194], v[86:87], v[134:135]
	v_mul_f64 v[195:196], v[86:87], v[132:133]
	s_waitcnt vmcnt(0)
	v_mul_f64 v[197:198], v[94:95], v[134:135]
	v_mul_f64 v[199:200], v[94:95], v[132:133]
	v_fma_f64 v[136:137], v[88:89], v[132:133], v[120:121]
	v_fma_f64 v[138:139], v[88:89], v[134:135], -v[122:123]
	flat_load_b128 v[120:123], v[147:148]
	v_fma_f64 v[193:194], v[84:85], v[132:133], v[193:194]
	v_fma_f64 v[195:196], v[84:85], v[134:135], -v[195:196]
	v_fma_f64 v[197:198], v[92:93], v[132:133], v[197:198]
	v_fma_f64 v[199:200], v[92:93], v[134:135], -v[199:200]
	ds_store_b128 v159, v[136:139]
	ds_load_b128 v[136:139], v158 offset:784
	ds_store_b128 v159, v[193:196] offset:1072
	s_waitcnt vmcnt(0) lgkmcnt(3)
	v_mul_f64 v[201:202], v[122:123], v[134:135]
	v_mul_f64 v[203:204], v[122:123], v[132:133]
	s_delay_alu instid0(VALU_DEP_2) | instskip(NEXT) | instid1(VALU_DEP_2)
	v_fma_f64 v[201:202], v[120:121], v[132:133], v[201:202]
	v_fma_f64 v[203:204], v[120:121], v[134:135], -v[203:204]
	ds_load_b128 v[132:135], v158 offset:800
	ds_store_b128 v159, v[197:200] offset:2144
	ds_load_b128 v[128:131], v158 offset:816
	v_add_f64 v[197:198], v[205:206], v[140:141]
	v_add_f64 v[199:200], v[207:208], v[142:143]
	ds_store_b128 v159, v[201:204] offset:3216
	s_waitcnt lgkmcnt(0)
	s_barrier
	buffer_gl0_inv
	ds_load_b128 v[193:196], v157
	ds_load_b128 v[140:143], v157 offset:16
	v_add_f64 v[181:182], v[197:198], v[116:117]
	v_add_f64 v[183:184], v[199:200], v[118:119]
	ds_load_b128 v[116:119], v157 offset:48
	s_waitcnt lgkmcnt(2)
	v_add_f64 v[193:194], v[193:194], 0
	v_add_f64 v[195:196], v[195:196], 0
	;; [unrolled: 1-line block ×4, first 2 shown]
	s_waitcnt lgkmcnt(1)
	s_delay_alu instid0(VALU_DEP_4) | instskip(NEXT) | instid1(VALU_DEP_4)
	v_add_f64 v[177:178], v[193:194], v[140:141]
	v_add_f64 v[179:180], v[195:196], v[142:143]
	ds_load_b128 v[140:143], v157 offset:32
	s_waitcnt lgkmcnt(0)
	s_barrier
	buffer_gl0_inv
	v_add_f64 v[169:170], v[177:178], v[140:141]
	v_add_f64 v[171:172], v[179:180], v[142:143]
	;; [unrolled: 1-line block ×8, first 2 shown]
	ds_store_b128 v160, v[108:111]
	ds_store_b128 v160, v[140:143] offset:256
	ds_store_b128 v160, v[161:164] offset:512
	;; [unrolled: 1-line block ×3, first 2 shown]
	s_waitcnt lgkmcnt(0)
	s_barrier
	buffer_gl0_inv
	s_and_saveexec_b32 s7, s0
	s_cbranch_execz .LBB62_132
; %bb.136:                              ;   in Loop: Header=BB62_133 Depth=1
	ds_load_b128 v[108:111], v155
	ds_load_b128 v[116:119], v155 offset:16
	s_waitcnt lgkmcnt(0)
	v_add_f64 v[140:141], v[116:117], v[108:109]
	v_add_f64 v[142:143], v[118:119], v[110:111]
	ds_load_b128 v[108:111], v155 offset:32
	ds_load_b128 v[116:119], v155 offset:48
	s_waitcnt lgkmcnt(1)
	v_add_f64 v[108:109], v[140:141], v[108:109]
	v_add_f64 v[110:111], v[142:143], v[110:111]
	s_waitcnt lgkmcnt(0)
	s_delay_alu instid0(VALU_DEP_2) | instskip(NEXT) | instid1(VALU_DEP_2)
	v_add_f64 v[140:141], v[108:109], v[116:117]
	v_add_f64 v[142:143], v[110:111], v[118:119]
	ds_load_b128 v[108:111], v155 offset:64
	ds_load_b128 v[116:119], v155 offset:80
	s_waitcnt lgkmcnt(1)
	v_add_f64 v[108:109], v[140:141], v[108:109]
	v_add_f64 v[110:111], v[142:143], v[110:111]
	s_waitcnt lgkmcnt(0)
	s_delay_alu instid0(VALU_DEP_2) | instskip(NEXT) | instid1(VALU_DEP_2)
	;; [unrolled: 9-line block ×6, first 2 shown]
	v_add_f64 v[140:141], v[108:109], v[116:117]
	v_add_f64 v[142:143], v[110:111], v[118:119]
	ds_load_b128 v[108:111], v155 offset:224
	ds_load_b128 v[116:119], v156
	s_waitcnt lgkmcnt(1)
	v_add_f64 v[108:109], v[140:141], v[108:109]
	v_add_f64 v[110:111], v[142:143], v[110:111]
	s_waitcnt lgkmcnt(0)
	s_delay_alu instid0(VALU_DEP_2) | instskip(NEXT) | instid1(VALU_DEP_2)
	v_add_f64 v[108:109], v[108:109], v[116:117]
	v_add_f64 v[110:111], v[110:111], v[118:119]
	v_lshlrev_b64 v[116:117], 4, v[145:146]
	s_delay_alu instid0(VALU_DEP_1) | instskip(NEXT) | instid1(VALU_DEP_1)
	v_add_co_u32 v116, s1, s8, v116
	v_add_co_ci_u32_e64 v117, s1, s9, v117, s1
	global_store_b128 v[116:117], v[108:111], off
	s_branch .LBB62_132
.LBB62_137:
	v_mad_u32_u24 v4, 0x430, v149, v150
	s_or_b32 s0, s2, vcc_lo
	s_delay_alu instid0(SALU_CYCLE_1)
	s_xor_b32 s0, s0, -1
	ds_store_b128 v4, v[0:3]
	s_waitcnt lgkmcnt(0)
	s_barrier
	buffer_gl0_inv
	s_and_saveexec_b32 s1, s0
	s_cbranch_execz .LBB62_139
; %bb.138:
	ds_load_b128 v[0:3], v150 offset:1072
	ds_load_b128 v[4:7], v150
	v_ashrrev_i32_e32 v145, 31, v144
	s_waitcnt lgkmcnt(0)
	v_add_f64 v[8:9], v[0:1], v[4:5]
	v_add_f64 v[10:11], v[2:3], v[6:7]
	ds_load_b128 v[0:3], v150 offset:2144
	ds_load_b128 v[4:7], v150 offset:3216
	s_waitcnt lgkmcnt(1)
	v_add_f64 v[0:1], v[8:9], v[0:1]
	v_add_f64 v[2:3], v[10:11], v[2:3]
	s_waitcnt lgkmcnt(0)
	s_delay_alu instid0(VALU_DEP_2) | instskip(NEXT) | instid1(VALU_DEP_2)
	v_add_f64 v[0:1], v[0:1], v[4:5]
	v_add_f64 v[2:3], v[2:3], v[6:7]
	v_lshlrev_b64 v[4:5], 4, v[144:145]
	s_delay_alu instid0(VALU_DEP_1) | instskip(NEXT) | instid1(VALU_DEP_2)
	v_add_co_u32 v4, vcc_lo, s8, v4
	v_add_co_ci_u32_e32 v5, vcc_lo, s9, v5, vcc_lo
	global_store_b128 v[4:5], v[0:3], off
.LBB62_139:
	s_nop 0
	s_sendmsg sendmsg(MSG_DEALLOC_VGPRS)
	s_endpgm
	.section	.rodata,"a",@progbits
	.p2align	6, 0x0
	.amdhsa_kernel _ZL26rocblas_hemvn_kernel_lowerILb1ELi64ELi4ELi33ELi32ELi16Ei19rocblas_complex_numIdEPKPKS1_PS1_EviT6_lT7_lT5_lS8_lS9_lS7_lT8_i
		.amdhsa_group_segment_fixed_size 19200
		.amdhsa_private_segment_fixed_size 0
		.amdhsa_kernarg_size 392
		.amdhsa_user_sgpr_count 14
		.amdhsa_user_sgpr_dispatch_ptr 0
		.amdhsa_user_sgpr_queue_ptr 0
		.amdhsa_user_sgpr_kernarg_segment_ptr 1
		.amdhsa_user_sgpr_dispatch_id 0
		.amdhsa_user_sgpr_private_segment_size 0
		.amdhsa_wavefront_size32 1
		.amdhsa_uses_dynamic_stack 0
		.amdhsa_enable_private_segment 0
		.amdhsa_system_sgpr_workgroup_id_x 1
		.amdhsa_system_sgpr_workgroup_id_y 0
		.amdhsa_system_sgpr_workgroup_id_z 1
		.amdhsa_system_sgpr_workgroup_info 0
		.amdhsa_system_vgpr_workitem_id 1
		.amdhsa_next_free_vgpr 209
		.amdhsa_next_free_sgpr 30
		.amdhsa_reserve_vcc 1
		.amdhsa_float_round_mode_32 0
		.amdhsa_float_round_mode_16_64 0
		.amdhsa_float_denorm_mode_32 3
		.amdhsa_float_denorm_mode_16_64 3
		.amdhsa_dx10_clamp 1
		.amdhsa_ieee_mode 1
		.amdhsa_fp16_overflow 0
		.amdhsa_workgroup_processor_mode 1
		.amdhsa_memory_ordered 1
		.amdhsa_forward_progress 0
		.amdhsa_shared_vgpr_count 0
		.amdhsa_exception_fp_ieee_invalid_op 0
		.amdhsa_exception_fp_denorm_src 0
		.amdhsa_exception_fp_ieee_div_zero 0
		.amdhsa_exception_fp_ieee_overflow 0
		.amdhsa_exception_fp_ieee_underflow 0
		.amdhsa_exception_fp_ieee_inexact 0
		.amdhsa_exception_int_div_zero 0
	.end_amdhsa_kernel
	.section	.text._ZL26rocblas_hemvn_kernel_lowerILb1ELi64ELi4ELi33ELi32ELi16Ei19rocblas_complex_numIdEPKPKS1_PS1_EviT6_lT7_lT5_lS8_lS9_lS7_lT8_i,"axG",@progbits,_ZL26rocblas_hemvn_kernel_lowerILb1ELi64ELi4ELi33ELi32ELi16Ei19rocblas_complex_numIdEPKPKS1_PS1_EviT6_lT7_lT5_lS8_lS9_lS7_lT8_i,comdat
.Lfunc_end62:
	.size	_ZL26rocblas_hemvn_kernel_lowerILb1ELi64ELi4ELi33ELi32ELi16Ei19rocblas_complex_numIdEPKPKS1_PS1_EviT6_lT7_lT5_lS8_lS9_lS7_lT8_i, .Lfunc_end62-_ZL26rocblas_hemvn_kernel_lowerILb1ELi64ELi4ELi33ELi32ELi16Ei19rocblas_complex_numIdEPKPKS1_PS1_EviT6_lT7_lT5_lS8_lS9_lS7_lT8_i
                                        ; -- End function
	.section	.AMDGPU.csdata,"",@progbits
; Kernel info:
; codeLenInByte = 11012
; NumSgprs: 32
; NumVgprs: 209
; ScratchSize: 0
; MemoryBound: 0
; FloatMode: 240
; IeeeMode: 1
; LDSByteSize: 19200 bytes/workgroup (compile time only)
; SGPRBlocks: 3
; VGPRBlocks: 26
; NumSGPRsForWavesPerEU: 32
; NumVGPRsForWavesPerEU: 209
; Occupancy: 7
; WaveLimiterHint : 1
; COMPUTE_PGM_RSRC2:SCRATCH_EN: 0
; COMPUTE_PGM_RSRC2:USER_SGPR: 14
; COMPUTE_PGM_RSRC2:TRAP_HANDLER: 0
; COMPUTE_PGM_RSRC2:TGID_X_EN: 1
; COMPUTE_PGM_RSRC2:TGID_Y_EN: 0
; COMPUTE_PGM_RSRC2:TGID_Z_EN: 1
; COMPUTE_PGM_RSRC2:TIDIG_COMP_CNT: 1
	.section	.text._ZL36rocblas_hemvn_kernel_lower_block_sumILi64Ei19rocblas_complex_numIdEPKPS1_S1_EviT1_lS5_lT2_lT0_lPT3_i,"axG",@progbits,_ZL36rocblas_hemvn_kernel_lower_block_sumILi64Ei19rocblas_complex_numIdEPKPS1_S1_EviT1_lS5_lT2_lT0_lPT3_i,comdat
	.globl	_ZL36rocblas_hemvn_kernel_lower_block_sumILi64Ei19rocblas_complex_numIdEPKPS1_S1_EviT1_lS5_lT2_lT0_lPT3_i ; -- Begin function _ZL36rocblas_hemvn_kernel_lower_block_sumILi64Ei19rocblas_complex_numIdEPKPS1_S1_EviT1_lS5_lT2_lT0_lPT3_i
	.p2align	8
	.type	_ZL36rocblas_hemvn_kernel_lower_block_sumILi64Ei19rocblas_complex_numIdEPKPS1_S1_EviT1_lS5_lT2_lT0_lPT3_i,@function
_ZL36rocblas_hemvn_kernel_lower_block_sumILi64Ei19rocblas_complex_numIdEPKPS1_S1_EviT1_lS5_lT2_lT0_lPT3_i: ; @_ZL36rocblas_hemvn_kernel_lower_block_sumILi64Ei19rocblas_complex_numIdEPKPS1_S1_EviT1_lS5_lT2_lT0_lPT3_i
; %bb.0:
	s_clause 0x1
	s_load_b128 s[8:11], s[0:1], 0x8
	s_load_b128 s[4:7], s[0:1], 0x20
	s_mov_b32 s12, s15
	s_waitcnt lgkmcnt(0)
	v_cmp_neq_f64_e64 s2, s[8:9], 0
	v_cmp_neq_f64_e64 s3, s[10:11], 0
	s_delay_alu instid0(VALU_DEP_1)
	s_or_b32 s2, s2, s3
	s_mov_b32 s3, -1
	s_and_b32 vcc_lo, exec_lo, s2
	s_cbranch_vccnz .LBB63_2
; %bb.1:
	v_cmp_neq_f64_e64 s3, s[4:5], 1.0
	v_cmp_neq_f64_e64 s13, s[6:7], 0
	s_delay_alu instid0(VALU_DEP_1)
	s_or_b32 s3, s3, s13
.LBB63_2:
	s_delay_alu instid0(SALU_CYCLE_1)
	s_and_not1_b32 vcc_lo, exec_lo, s3
	s_cbranch_vccnz .LBB63_22
; %bb.3:
	s_clause 0x1
	s_load_b128 s[20:23], s[0:1], 0x38
	s_load_b32 s18, s[0:1], 0x48
	s_mov_b32 s13, 0
	s_xor_b32 s17, s2, -1
	s_lshl_b64 s[24:25], s[12:13], 3
	s_load_b32 s16, s[0:1], 0x0
	v_lshl_or_b32 v4, s14, 6, v0
	s_waitcnt lgkmcnt(0)
	s_add_u32 s2, s20, s24
	s_addc_u32 s3, s21, s25
	s_lshl_b64 s[22:23], s[22:23], 4
	s_load_b64 s[20:21], s[2:3], 0x0
	v_cmp_gt_i32_e64 s2, s16, v4
	s_waitcnt lgkmcnt(0)
	s_add_u32 s3, s20, s22
	s_addc_u32 s15, s21, s23
	s_and_not1_b32 vcc_lo, exec_lo, s17
	s_cbranch_vccnz .LBB63_8
; %bb.4:
	s_mov_b32 s17, 0
                                        ; implicit-def: $vgpr2_vgpr3
                                        ; implicit-def: $vgpr5_vgpr6
	s_and_saveexec_b32 s19, s2
	s_cbranch_execz .LBB63_9
; %bb.5:
	v_cmp_neq_f64_e64 s2, s[4:5], 0
	v_cmp_neq_f64_e64 s13, s[6:7], 0
	v_mul_lo_u32 v5, v4, s18
	v_mov_b32_e32 v2, 0
	v_mov_b32_e32 v3, 0
	s_delay_alu instid0(VALU_DEP_1) | instskip(NEXT) | instid1(VALU_DEP_4)
	v_dual_mov_b32 v0, v2 :: v_dual_mov_b32 v1, v3
	v_ashrrev_i32_e32 v6, 31, v5
	s_or_b32 s2, s2, s13
	s_delay_alu instid0(SALU_CYCLE_1)
	s_and_not1_b32 vcc_lo, exec_lo, s2
	s_cbranch_vccnz .LBB63_7
; %bb.6:
	s_delay_alu instid0(VALU_DEP_1) | instskip(NEXT) | instid1(VALU_DEP_1)
	v_lshlrev_b64 v[0:1], 4, v[5:6]
	v_add_co_u32 v0, vcc_lo, s3, v0
	s_delay_alu instid0(VALU_DEP_2) | instskip(SKIP_4) | instid1(VALU_DEP_2)
	v_add_co_ci_u32_e32 v1, vcc_lo, s15, v1, vcc_lo
	global_load_b128 v[7:10], v[0:1], off
	s_waitcnt vmcnt(0)
	v_mul_f64 v[0:1], s[6:7], v[9:10]
	v_mul_f64 v[2:3], s[4:5], v[9:10]
	v_fma_f64 v[0:1], s[4:5], v[7:8], -v[0:1]
	s_delay_alu instid0(VALU_DEP_2)
	v_fma_f64 v[2:3], s[6:7], v[7:8], v[2:3]
.LBB63_7:
	s_mov_b32 s13, exec_lo
	s_or_b32 exec_lo, exec_lo, s19
	s_delay_alu instid0(SALU_CYCLE_1)
	s_and_b32 vcc_lo, exec_lo, s17
	s_cbranch_vccnz .LBB63_10
	s_branch .LBB63_20
.LBB63_8:
                                        ; implicit-def: $vgpr2_vgpr3
                                        ; implicit-def: $vgpr5_vgpr6
	s_cbranch_execnz .LBB63_10
	s_branch .LBB63_20
.LBB63_9:
	s_or_b32 exec_lo, exec_lo, s19
	s_delay_alu instid0(SALU_CYCLE_1)
	s_and_b32 vcc_lo, exec_lo, s17
	s_cbranch_vccz .LBB63_20
.LBB63_10:
	s_mov_b32 s2, exec_lo
                                        ; implicit-def: $vgpr2_vgpr3
                                        ; implicit-def: $vgpr5_vgpr6
	v_cmpx_gt_i32_e64 s16, v4
	s_cbranch_execz .LBB63_19
; %bb.11:
	s_load_b32 s19, s[0:1], 0x68
	v_mov_b32_e32 v0, 0
	v_mov_b32_e32 v1, 0
	s_delay_alu instid0(VALU_DEP_1)
	v_dual_mov_b32 v3, v1 :: v_dual_mov_b32 v2, v0
	s_waitcnt lgkmcnt(0)
	s_cmp_ge_i32 s14, s19
	s_cbranch_scc1 .LBB63_14
; %bb.12:
	s_load_b64 s[0:1], s[0:1], 0x58
	v_mad_u64_u32 v[0:1], null, s14, s16, v[4:5]
	s_ashr_i32 s17, s16, 31
	s_mul_hi_u32 s20, s16, s12
	s_mul_i32 s21, s17, s12
	s_mul_i32 s12, s16, s12
	s_add_i32 s20, s20, s21
	s_mul_hi_u32 s21, s12, s19
	s_delay_alu instid0(VALU_DEP_1) | instskip(SKIP_3) | instid1(VALU_DEP_1)
	v_ashrrev_i32_e32 v1, 31, v0
	s_mul_i32 s22, s20, s19
	s_mul_i32 s20, s12, s19
	s_add_i32 s21, s21, s22
	v_lshlrev_b64 v[2:3], 4, v[0:1]
	s_lshl_b64 s[20:21], s[20:21], 4
	v_mov_b32_e32 v0, 0
	v_mov_b32_e32 v1, 0
	s_waitcnt lgkmcnt(0)
	s_add_u32 s0, s0, s20
	s_addc_u32 s1, s1, s21
	v_add_co_u32 v2, vcc_lo, s0, v2
	v_add_co_ci_u32_e32 v3, vcc_lo, s1, v3, vcc_lo
	s_lshl_b64 s[0:1], s[16:17], 4
	s_delay_alu instid0(VALU_DEP_2) | instskip(NEXT) | instid1(VALU_DEP_2)
	v_add_co_u32 v5, vcc_lo, v2, 8
	v_add_co_ci_u32_e32 v6, vcc_lo, 0, v3, vcc_lo
	v_dual_mov_b32 v3, v1 :: v_dual_mov_b32 v2, v0
.LBB63_13:                              ; =>This Inner Loop Header: Depth=1
	global_load_b128 v[7:10], v[5:6], off offset:-8
	v_add_co_u32 v5, vcc_lo, v5, s0
	v_add_co_ci_u32_e32 v6, vcc_lo, s1, v6, vcc_lo
	s_add_i32 s14, s14, 1
	s_delay_alu instid0(SALU_CYCLE_1)
	s_cmp_ge_i32 s14, s19
	s_waitcnt vmcnt(0)
	v_add_f64 v[2:3], v[2:3], v[7:8]
	v_add_f64 v[0:1], v[0:1], v[9:10]
	s_cbranch_scc0 .LBB63_13
.LBB63_14:
	s_delay_alu instid0(VALU_DEP_1) | instskip(SKIP_3) | instid1(VALU_DEP_4)
	v_mul_f64 v[5:6], s[10:11], v[0:1]
	v_mul_f64 v[7:8], s[8:9], v[0:1]
	v_cmp_neq_f64_e64 s0, s[4:5], 0
	v_cmp_neq_f64_e64 s1, s[6:7], 0
	v_fma_f64 v[0:1], s[8:9], v[2:3], -v[5:6]
	s_delay_alu instid0(VALU_DEP_4) | instskip(SKIP_1) | instid1(VALU_DEP_4)
	v_fma_f64 v[2:3], s[10:11], v[2:3], v[7:8]
	v_mul_lo_u32 v5, v4, s18
	s_or_b32 s0, s0, s1
	s_delay_alu instid0(SALU_CYCLE_1) | instskip(NEXT) | instid1(VALU_DEP_1)
	s_and_not1_b32 vcc_lo, exec_lo, s0
	v_ashrrev_i32_e32 v6, 31, v5
	s_cbranch_vccz .LBB63_16
; %bb.15:
	s_cbranch_execz .LBB63_17
	s_branch .LBB63_18
.LBB63_16:
.LBB63_17:
	s_delay_alu instid0(VALU_DEP_1) | instskip(NEXT) | instid1(VALU_DEP_1)
	v_lshlrev_b64 v[7:8], 4, v[5:6]
	v_add_co_u32 v7, vcc_lo, s3, v7
	s_delay_alu instid0(VALU_DEP_2) | instskip(SKIP_4) | instid1(VALU_DEP_2)
	v_add_co_ci_u32_e32 v8, vcc_lo, s15, v8, vcc_lo
	global_load_b128 v[7:10], v[7:8], off
	s_waitcnt vmcnt(0)
	v_mul_f64 v[11:12], s[6:7], v[9:10]
	v_mul_f64 v[9:10], s[4:5], v[9:10]
	v_fma_f64 v[11:12], s[4:5], v[7:8], -v[11:12]
	s_delay_alu instid0(VALU_DEP_2) | instskip(NEXT) | instid1(VALU_DEP_2)
	v_fma_f64 v[7:8], s[6:7], v[7:8], v[9:10]
	v_add_f64 v[0:1], v[0:1], v[11:12]
	s_delay_alu instid0(VALU_DEP_2)
	v_add_f64 v[2:3], v[2:3], v[7:8]
.LBB63_18:
	s_or_b32 s13, s13, exec_lo
.LBB63_19:
	s_or_b32 exec_lo, exec_lo, s2
.LBB63_20:
	s_and_saveexec_b32 s0, s13
	s_cbranch_execz .LBB63_22
; %bb.21:
	v_lshlrev_b64 v[4:5], 4, v[5:6]
	s_delay_alu instid0(VALU_DEP_1) | instskip(NEXT) | instid1(VALU_DEP_2)
	v_add_co_u32 v4, vcc_lo, s3, v4
	v_add_co_ci_u32_e32 v5, vcc_lo, s15, v5, vcc_lo
	global_store_b128 v[4:5], v[0:3], off
.LBB63_22:
	s_nop 0
	s_sendmsg sendmsg(MSG_DEALLOC_VGPRS)
	s_endpgm
	.section	.rodata,"a",@progbits
	.p2align	6, 0x0
	.amdhsa_kernel _ZL36rocblas_hemvn_kernel_lower_block_sumILi64Ei19rocblas_complex_numIdEPKPS1_S1_EviT1_lS5_lT2_lT0_lPT3_i
		.amdhsa_group_segment_fixed_size 0
		.amdhsa_private_segment_fixed_size 0
		.amdhsa_kernarg_size 360
		.amdhsa_user_sgpr_count 14
		.amdhsa_user_sgpr_dispatch_ptr 0
		.amdhsa_user_sgpr_queue_ptr 0
		.amdhsa_user_sgpr_kernarg_segment_ptr 1
		.amdhsa_user_sgpr_dispatch_id 0
		.amdhsa_user_sgpr_private_segment_size 0
		.amdhsa_wavefront_size32 1
		.amdhsa_uses_dynamic_stack 0
		.amdhsa_enable_private_segment 0
		.amdhsa_system_sgpr_workgroup_id_x 1
		.amdhsa_system_sgpr_workgroup_id_y 0
		.amdhsa_system_sgpr_workgroup_id_z 1
		.amdhsa_system_sgpr_workgroup_info 0
		.amdhsa_system_vgpr_workitem_id 0
		.amdhsa_next_free_vgpr 13
		.amdhsa_next_free_sgpr 26
		.amdhsa_reserve_vcc 1
		.amdhsa_float_round_mode_32 0
		.amdhsa_float_round_mode_16_64 0
		.amdhsa_float_denorm_mode_32 3
		.amdhsa_float_denorm_mode_16_64 3
		.amdhsa_dx10_clamp 1
		.amdhsa_ieee_mode 1
		.amdhsa_fp16_overflow 0
		.amdhsa_workgroup_processor_mode 1
		.amdhsa_memory_ordered 1
		.amdhsa_forward_progress 0
		.amdhsa_shared_vgpr_count 0
		.amdhsa_exception_fp_ieee_invalid_op 0
		.amdhsa_exception_fp_denorm_src 0
		.amdhsa_exception_fp_ieee_div_zero 0
		.amdhsa_exception_fp_ieee_overflow 0
		.amdhsa_exception_fp_ieee_underflow 0
		.amdhsa_exception_fp_ieee_inexact 0
		.amdhsa_exception_int_div_zero 0
	.end_amdhsa_kernel
	.section	.text._ZL36rocblas_hemvn_kernel_lower_block_sumILi64Ei19rocblas_complex_numIdEPKPS1_S1_EviT1_lS5_lT2_lT0_lPT3_i,"axG",@progbits,_ZL36rocblas_hemvn_kernel_lower_block_sumILi64Ei19rocblas_complex_numIdEPKPS1_S1_EviT1_lS5_lT2_lT0_lPT3_i,comdat
.Lfunc_end63:
	.size	_ZL36rocblas_hemvn_kernel_lower_block_sumILi64Ei19rocblas_complex_numIdEPKPS1_S1_EviT1_lS5_lT2_lT0_lPT3_i, .Lfunc_end63-_ZL36rocblas_hemvn_kernel_lower_block_sumILi64Ei19rocblas_complex_numIdEPKPS1_S1_EviT1_lS5_lT2_lT0_lPT3_i
                                        ; -- End function
	.section	.AMDGPU.csdata,"",@progbits
; Kernel info:
; codeLenInByte = 892
; NumSgprs: 28
; NumVgprs: 13
; ScratchSize: 0
; MemoryBound: 0
; FloatMode: 240
; IeeeMode: 1
; LDSByteSize: 0 bytes/workgroup (compile time only)
; SGPRBlocks: 3
; VGPRBlocks: 1
; NumSGPRsForWavesPerEU: 28
; NumVGPRsForWavesPerEU: 13
; Occupancy: 16
; WaveLimiterHint : 1
; COMPUTE_PGM_RSRC2:SCRATCH_EN: 0
; COMPUTE_PGM_RSRC2:USER_SGPR: 14
; COMPUTE_PGM_RSRC2:TRAP_HANDLER: 0
; COMPUTE_PGM_RSRC2:TGID_X_EN: 1
; COMPUTE_PGM_RSRC2:TGID_Y_EN: 0
; COMPUTE_PGM_RSRC2:TGID_Z_EN: 1
; COMPUTE_PGM_RSRC2:TIDIG_COMP_CNT: 0
	.section	.text._ZL50rocblas_symv_kernel_upper_double_buffered_diagonalILi32ELi4E24rocblas_internal_val_ptrIfEPKfPfEvbiT1_lT2_lllS6_lllS5_lT3_llli,"axG",@progbits,_ZL50rocblas_symv_kernel_upper_double_buffered_diagonalILi32ELi4E24rocblas_internal_val_ptrIfEPKfPfEvbiT1_lT2_lllS6_lllS5_lT3_llli,comdat
	.globl	_ZL50rocblas_symv_kernel_upper_double_buffered_diagonalILi32ELi4E24rocblas_internal_val_ptrIfEPKfPfEvbiT1_lT2_lllS6_lllS5_lT3_llli ; -- Begin function _ZL50rocblas_symv_kernel_upper_double_buffered_diagonalILi32ELi4E24rocblas_internal_val_ptrIfEPKfPfEvbiT1_lT2_lllS6_lllS5_lT3_llli
	.p2align	8
	.type	_ZL50rocblas_symv_kernel_upper_double_buffered_diagonalILi32ELi4E24rocblas_internal_val_ptrIfEPKfPfEvbiT1_lT2_lllS6_lllS5_lT3_llli,@function
_ZL50rocblas_symv_kernel_upper_double_buffered_diagonalILi32ELi4E24rocblas_internal_val_ptrIfEPKfPfEvbiT1_lT2_lllS6_lllS5_lT3_llli: ; @_ZL50rocblas_symv_kernel_upper_double_buffered_diagonalILi32ELi4E24rocblas_internal_val_ptrIfEPKfPfEvbiT1_lT2_lllS6_lllS5_lT3_llli
; %bb.0:
	s_clause 0x1
	s_load_b32 s2, s[0:1], 0x0
	s_load_b512 s[16:31], s[0:1], 0x8
	s_mov_b32 s3, -1
                                        ; implicit-def: $sgpr12
	s_waitcnt lgkmcnt(0)
	s_bitcmp1_b32 s2, 0
	s_cselect_b32 s2, -1, 0
	s_delay_alu instid0(SALU_CYCLE_1) | instskip(NEXT) | instid1(SALU_CYCLE_1)
	s_xor_b32 s2, s2, -1
	s_and_b32 vcc_lo, exec_lo, s2
	s_cbranch_vccnz .LBB64_10
; %bb.1:
	s_load_b256 s[4:11], s[0:1], 0x48
	s_and_not1_b32 vcc_lo, exec_lo, s3
	s_cbranch_vccz .LBB64_11
.LBB64_2:
	s_and_not1_b32 vcc_lo, exec_lo, s2
	s_cbranch_vccnz .LBB64_4
.LBB64_3:
	s_waitcnt lgkmcnt(0)
	s_mul_i32 s2, s15, s11
	s_mul_hi_u32 s3, s15, s10
	s_delay_alu instid0(SALU_CYCLE_1) | instskip(SKIP_1) | instid1(SALU_CYCLE_1)
	s_add_i32 s3, s3, s2
	s_mul_i32 s2, s15, s10
	s_lshl_b64 s[2:3], s[2:3], 2
	s_delay_alu instid0(SALU_CYCLE_1)
	s_add_u32 s2, s8, s2
	s_addc_u32 s3, s9, s3
	s_load_b32 s8, s[2:3], 0x0
.LBB64_4:
	s_waitcnt lgkmcnt(0)
	v_cmp_eq_f32_e64 s2, s12, 0
	v_cmp_eq_f32_e64 s3, s8, 1.0
	s_delay_alu instid0(VALU_DEP_1) | instskip(NEXT) | instid1(SALU_CYCLE_1)
	s_and_b32 s2, s2, s3
	s_and_b32 vcc_lo, exec_lo, s2
	s_cbranch_vccnz .LBB64_9
; %bb.5:
	s_clause 0x2
	s_load_b64 s[10:11], s[0:1], 0x80
	s_load_b64 s[16:17], s[0:1], 0x68
	s_load_b128 s[0:3], s[0:1], 0x70
	v_bfe_u32 v9, v0, 10, 10
	v_and_b32_e32 v8, 0x3ff, v0
	s_waitcnt lgkmcnt(0)
	s_mul_i32 s9, s15, s11
	s_mul_hi_u32 s11, s15, s10
	s_mul_i32 s10, s15, s10
	s_add_i32 s11, s11, s9
	s_delay_alu instid0(SALU_CYCLE_1) | instskip(NEXT) | instid1(SALU_CYCLE_1)
	s_lshl_b64 s[10:11], s[10:11], 2
	s_add_u32 s9, s16, s10
	s_addc_u32 s10, s17, s11
	s_lshl_b64 s[0:1], s[0:1], 2
	s_delay_alu instid0(SALU_CYCLE_1) | instskip(SKIP_2) | instid1(SALU_CYCLE_1)
	s_add_u32 s9, s9, s0
	s_addc_u32 s13, s10, s1
	s_lshl_b32 s10, s14, 5
	s_mul_i32 s0, s10, s3
	s_mul_hi_u32 s1, s10, s2
	s_ashr_i32 s11, s10, 31
	s_add_i32 s1, s1, s0
	s_mul_i32 s14, s11, s2
	s_mul_i32 s0, s10, s2
	s_add_i32 s1, s1, s14
	v_cmp_neq_f32_e64 s14, s12, 0
	s_lshl_b64 s[16:17], s[0:1], 2
	v_cmp_eq_u32_e64 s0, 0, v9
	s_add_u32 s1, s9, s16
	s_addc_u32 s9, s13, s17
	s_and_b32 vcc_lo, exec_lo, s14
	s_cbranch_vccnz .LBB64_12
; %bb.6:
	s_mov_b32 s13, 0
	s_and_saveexec_b32 s14, s0
	s_cbranch_execz .LBB64_8
; %bb.7:
	v_mad_u64_u32 v[0:1], null, v8, s2, 0
	s_delay_alu instid0(VALU_DEP_1) | instskip(NEXT) | instid1(VALU_DEP_1)
	v_mad_u64_u32 v[2:3], null, v8, s3, v[1:2]
	v_mov_b32_e32 v1, v2
	s_delay_alu instid0(VALU_DEP_1) | instskip(NEXT) | instid1(VALU_DEP_1)
	v_lshlrev_b64 v[0:1], 2, v[0:1]
	v_add_co_u32 v0, vcc_lo, s1, v0
	s_delay_alu instid0(VALU_DEP_2)
	v_add_co_ci_u32_e32 v1, vcc_lo, s9, v1, vcc_lo
	global_load_b32 v2, v[0:1], off
	s_waitcnt vmcnt(0)
	v_mul_f32_e32 v2, s8, v2
	global_store_b32 v[0:1], v2, off
.LBB64_8:
	s_or_b32 exec_lo, exec_lo, s14
	s_delay_alu instid0(SALU_CYCLE_1)
	s_and_not1_b32 vcc_lo, exec_lo, s13
	s_cbranch_vccz .LBB64_13
.LBB64_9:
	s_nop 0
	s_sendmsg sendmsg(MSG_DEALLOC_VGPRS)
	s_endpgm
.LBB64_10:
	s_mul_i32 s3, s15, s19
	s_mul_hi_u32 s4, s15, s18
	s_delay_alu instid0(SALU_CYCLE_1) | instskip(SKIP_1) | instid1(SALU_CYCLE_1)
	s_add_i32 s5, s4, s3
	s_mul_i32 s4, s15, s18
	s_lshl_b64 s[4:5], s[4:5], 2
	s_delay_alu instid0(SALU_CYCLE_1)
	s_add_u32 s4, s16, s4
	s_addc_u32 s5, s17, s5
	s_load_b32 s12, s[4:5], 0x0
	s_load_b256 s[4:11], s[0:1], 0x48
	s_cbranch_execnz .LBB64_2
.LBB64_11:
	s_waitcnt lgkmcnt(0)
	s_mov_b32 s12, s16
	s_and_not1_b32 vcc_lo, exec_lo, s2
	s_cbranch_vccz .LBB64_3
	s_branch .LBB64_4
.LBB64_12:
.LBB64_13:
	v_mov_b32_e32 v10, 0
	v_cmp_eq_u32_e64 s0, 0, v9
	s_delay_alu instid0(VALU_DEP_1)
	s_and_saveexec_b32 s13, s0
	s_cbranch_execz .LBB64_17
; %bb.14:
	v_cmp_eq_f32_e64 s14, s8, 0
	v_mov_b32_e32 v10, 0
	s_delay_alu instid0(VALU_DEP_2)
	s_and_b32 vcc_lo, exec_lo, s14
	s_cbranch_vccnz .LBB64_16
; %bb.15:
	v_mad_u64_u32 v[0:1], null, v8, s2, 0
	s_delay_alu instid0(VALU_DEP_1) | instskip(NEXT) | instid1(VALU_DEP_1)
	v_mad_u64_u32 v[2:3], null, v8, s3, v[1:2]
	v_mov_b32_e32 v1, v2
	s_delay_alu instid0(VALU_DEP_1) | instskip(NEXT) | instid1(VALU_DEP_1)
	v_lshlrev_b64 v[0:1], 2, v[0:1]
	v_add_co_u32 v0, vcc_lo, s1, v0
	s_delay_alu instid0(VALU_DEP_2)
	v_add_co_ci_u32_e32 v1, vcc_lo, s9, v1, vcc_lo
	global_load_b32 v0, v[0:1], off
	s_waitcnt vmcnt(0)
	v_mul_f32_e32 v10, s8, v0
.LBB64_16:
	v_mad_u64_u32 v[0:1], null, v8, s4, 0
	s_mul_i32 s7, s15, s7
	s_mul_hi_u32 s14, s15, s6
	s_mul_i32 s6, s15, s6
	s_add_i32 s7, s14, s7
	s_mul_i32 s16, s10, s5
	s_lshl_b64 s[6:7], s[6:7], 2
	s_delay_alu instid0(VALU_DEP_1)
	v_mad_u64_u32 v[2:3], null, v8, s5, v[1:2]
	s_add_u32 s14, s28, s6
	s_addc_u32 s17, s29, s7
	s_lshl_b64 s[6:7], s[30:31], 2
	s_mul_hi_u32 s5, s10, s4
	s_add_u32 s6, s14, s6
	s_mul_i32 s18, s11, s4
	s_delay_alu instid0(VALU_DEP_1)
	v_mov_b32_e32 v1, v2
	s_addc_u32 s7, s17, s7
	s_add_i32 s5, s5, s16
	s_mul_i32 s4, s10, s4
	s_add_i32 s5, s5, s18
	v_lshlrev_b64 v[0:1], 2, v[0:1]
	s_lshl_b64 s[4:5], s[4:5], 2
	s_delay_alu instid0(SALU_CYCLE_1) | instskip(SKIP_1) | instid1(VALU_DEP_1)
	s_add_u32 s4, s6, s4
	s_addc_u32 s5, s7, s5
	v_add_co_u32 v0, vcc_lo, s4, v0
	s_delay_alu instid0(VALU_DEP_2)
	v_add_co_ci_u32_e32 v1, vcc_lo, s5, v1, vcc_lo
	global_load_b32 v0, v[0:1], off
	v_lshlrev_b32_e32 v1, 2, v8
	s_waitcnt vmcnt(0)
	ds_store_b32 v1, v0 offset:5120
.LBB64_17:
	s_or_b32 exec_lo, exec_lo, s13
	v_mad_u64_u32 v[0:1], null, v9, s24, 0
	s_mul_i32 s5, s15, s27
	s_mul_hi_u32 s6, s15, s26
	s_mul_i32 s4, s15, s26
	s_add_i32 s5, s6, s5
	v_lshlrev_b32_e32 v11, 2, v8
	s_lshl_b64 s[4:5], s[4:5], 2
	s_delay_alu instid0(VALU_DEP_2)
	v_mad_u64_u32 v[2:3], null, v9, s25, v[1:2]
	s_add_u32 s6, s20, s4
	s_addc_u32 s7, s21, s5
	s_lshl_b64 s[4:5], s[22:23], 2
	s_mul_hi_u32 s14, s24, 12
	s_add_u32 s6, s6, s4
	s_addc_u32 s7, s7, s5
	s_add_u32 s4, s24, 1
	v_mov_b32_e32 v1, v2
	s_addc_u32 s5, s25, 0
	s_mul_i32 s11, s4, s11
	s_mul_hi_u32 s13, s4, s10
	s_mul_i32 s5, s5, s10
	s_add_i32 s11, s13, s11
	s_mul_i32 s4, s4, s10
	s_add_i32 s5, s11, s5
	v_lshlrev_b64 v[0:1], 2, v[0:1]
	s_lshl_b64 s[4:5], s[4:5], 2
	s_mul_i32 s13, s25, 12
	s_add_u32 s4, s6, s4
	s_addc_u32 s5, s7, s5
                                        ; implicit-def: $sgpr6_sgpr7
                                        ; implicit-def: $sgpr10_sgpr11
	s_delay_alu instid0(VALU_DEP_1) | instskip(SKIP_2) | instid1(VALU_DEP_2)
	v_add_co_u32 v0, vcc_lo, s4, v0
	v_add_co_ci_u32_e32 v1, vcc_lo, s5, v1, vcc_lo
	s_mul_i32 s4, s24, 12
	v_add_co_u32 v0, vcc_lo, v0, v11
	s_delay_alu instid0(VALU_DEP_2)
	v_add_co_ci_u32_e32 v1, vcc_lo, 0, v1, vcc_lo
	s_mov_b32 s5, exec_lo
	v_cmpx_lt_u32_e32 15, v8
	s_xor_b32 s15, exec_lo, s5
; %bb.18:
	s_lshl_b64 s[6:7], s[24:25], 2
	s_lshl_b64 s[10:11], s[24:25], 3
	s_add_i32 s5, s14, s13
; %bb.19:
	s_or_saveexec_b32 s15, s15
	v_mov_b32_e32 v2, s4
	v_mov_b32_e32 v4, s10
	v_dual_mov_b32 v6, s6 :: v_dual_mov_b32 v7, s7
	v_dual_mov_b32 v3, s5 :: v_dual_lshlrev_b32 v12, 5, v9
	v_mov_b32_e32 v5, s11
	s_xor_b32 exec_lo, exec_lo, s15
	s_cbranch_execz .LBB64_21
; %bb.20:
	s_lshl_b64 s[6:7], s[24:25], 4
	s_add_i32 s5, s14, s13
	v_add_co_u32 v2, vcc_lo, v0, s6
	v_add_co_ci_u32_e32 v3, vcc_lo, s7, v1, vcc_lo
	s_lshl_b64 s[10:11], s[24:25], 3
	s_delay_alu instid0(VALU_DEP_2) | instskip(NEXT) | instid1(VALU_DEP_2)
	v_add_co_u32 v4, vcc_lo, v2, s6
	v_add_co_ci_u32_e32 v5, vcc_lo, s7, v3, vcc_lo
	s_delay_alu instid0(VALU_DEP_2) | instskip(NEXT) | instid1(VALU_DEP_2)
	v_add_co_u32 v6, vcc_lo, v4, s6
	v_add_co_ci_u32_e32 v7, vcc_lo, s7, v5, vcc_lo
	s_clause 0x1
	global_load_b32 v13, v[0:1], off
	global_load_b32 v14, v[2:3], off
	;; [unrolled: 1-line block ×4, first 2 shown]
	v_or_b32_e32 v2, v12, v8
	s_lshl_b64 s[6:7], s[24:25], 2
	v_dual_mov_b32 v4, s10 :: v_dual_mov_b32 v5, s11
	s_delay_alu instid0(VALU_DEP_2)
	v_dual_mov_b32 v6, s6 :: v_dual_lshlrev_b32 v17, 2, v2
	v_dual_mov_b32 v2, s4 :: v_dual_mov_b32 v3, s5
	v_mov_b32_e32 v7, s7
	s_waitcnt vmcnt(2)
	ds_store_2addr_stride64_b32 v17, v13, v14 offset1:2
	s_waitcnt vmcnt(0)
	ds_store_2addr_stride64_b32 v17, v15, v16 offset0:4 offset1:6
.LBB64_21:
	s_or_b32 exec_lo, exec_lo, s15
	s_lshl_b64 s[4:5], s[24:25], 6
	v_lshlrev_b64 v[6:7], 2, v[6:7]
	v_add_co_u32 v0, vcc_lo, v0, s4
	v_add_co_ci_u32_e32 v1, vcc_lo, s5, v1, vcc_lo
	v_lshlrev_b64 v[4:5], 2, v[4:5]
	s_delay_alu instid0(VALU_DEP_3) | instskip(SKIP_1) | instid1(VALU_DEP_4)
	v_add_co_u32 v6, vcc_lo, v0, v6
	v_lshlrev_b64 v[2:3], 2, v[2:3]
	v_add_co_ci_u32_e32 v7, vcc_lo, v1, v7, vcc_lo
	s_delay_alu instid0(VALU_DEP_4) | instskip(SKIP_1) | instid1(VALU_DEP_4)
	v_add_co_u32 v4, vcc_lo, v0, v4
	v_add_co_ci_u32_e32 v5, vcc_lo, v1, v5, vcc_lo
	v_add_co_u32 v2, vcc_lo, v0, v2
	v_add_co_ci_u32_e32 v3, vcc_lo, v1, v3, vcc_lo
	global_load_b32 v13, v[0:1], off
	s_clause 0x2
	global_load_b32 v7, v[6:7], off
	global_load_b32 v4, v[4:5], off
	;; [unrolled: 1-line block ×3, first 2 shown]
	v_sub_nc_u32_e32 v0, v8, v9
	v_add_lshl_u32 v1, v12, v8, 2
	v_lshlrev_b32_e32 v5, 5, v8
	s_mov_b32 s4, exec_lo
	s_waitcnt vmcnt(2)
	ds_store_2addr_stride64_b32 v1, v13, v7 offset0:8 offset1:10
	s_waitcnt vmcnt(0)
	ds_store_2addr_stride64_b32 v1, v4, v2 offset0:12 offset1:14
	v_sub_nc_u32_e32 v3, 0, v0
	v_add_lshl_u32 v5, v9, v5, 2
	s_waitcnt lgkmcnt(0)
	s_waitcnt_vscnt null, 0x0
	s_barrier
	buffer_gl0_inv
	v_max_i32_e32 v6, v0, v3
	v_add_nc_u32_e32 v0, 0x800, v1
	s_delay_alu instid0(VALU_DEP_2)
	v_cmpx_lt_u32_e32 16, v6
	s_cbranch_execz .LBB64_23
; %bb.22:
	ds_load_b32 v2, v5 offset:64
	s_waitcnt lgkmcnt(0)
	ds_store_b32 v0, v2
.LBB64_23:
	s_or_b32 exec_lo, exec_lo, s4
	v_add_nc_u32_e32 v2, 0xa00, v1
	s_mov_b32 s4, exec_lo
	v_cmpx_lt_u32_e32 20, v6
	s_cbranch_execz .LBB64_25
; %bb.24:
	ds_load_b32 v3, v5 offset:80
	s_waitcnt lgkmcnt(0)
	ds_store_b32 v2, v3
.LBB64_25:
	s_or_b32 exec_lo, exec_lo, s4
	v_add_nc_u32_e32 v3, 0xc00, v1
	s_mov_b32 s4, exec_lo
	;; [unrolled: 10-line block ×4, first 2 shown]
	s_delay_alu instid0(VALU_DEP_1)
	v_lshlrev_b32_e32 v7, 2, v7
	v_cmpx_ge_u32_e64 v8, v9
	s_cbranch_execz .LBB64_31
; %bb.30:
	ds_load_b32 v13, v5
	s_waitcnt lgkmcnt(0)
	ds_store_b32 v7, v13
.LBB64_31:
	s_or_b32 exec_lo, exec_lo, s4
	s_delay_alu instid0(SALU_CYCLE_1)
	s_mov_b32 s4, exec_lo
	v_cmpx_lt_u32_e32 4, v6
	s_cbranch_execz .LBB64_33
; %bb.32:
	ds_load_b32 v13, v5 offset:16
	s_waitcnt lgkmcnt(0)
	ds_store_b32 v1, v13 offset:512
.LBB64_33:
	s_or_b32 exec_lo, exec_lo, s4
	s_delay_alu instid0(SALU_CYCLE_1)
	s_mov_b32 s4, exec_lo
	v_cmpx_lt_u32_e32 8, v6
	s_cbranch_execz .LBB64_35
; %bb.34:
	ds_load_b32 v13, v5 offset:32
	s_waitcnt lgkmcnt(0)
	ds_store_b32 v1, v13 offset:1024
.LBB64_35:
	s_or_b32 exec_lo, exec_lo, s4
	v_add3_u32 v12, v12, v8, 0x180
	v_cmp_lt_u32_e32 vcc_lo, 12, v6
	s_delay_alu instid0(VALU_DEP_2)
	v_lshlrev_b32_e32 v6, 2, v12
	s_and_saveexec_b32 s4, vcc_lo
	s_cbranch_execz .LBB64_37
; %bb.36:
	ds_load_b32 v5, v5 offset:48
	s_waitcnt lgkmcnt(0)
	ds_store_b32 v6, v5
.LBB64_37:
	s_or_b32 exec_lo, exec_lo, s4
	v_lshlrev_b32_e32 v5, 2, v9
	s_waitcnt lgkmcnt(0)
	s_barrier
	buffer_gl0_inv
	v_add_nc_u32_e32 v9, 0x1400, v5
	ds_load_2addr_b32 v[12:13], v9 offset1:4
	ds_load_b32 v18, v7
	ds_load_2addr_stride64_b32 v[14:15], v1 offset0:2 offset1:4
	ds_load_2addr_b32 v[16:17], v9 offset0:8 offset1:12
	ds_load_b32 v19, v6
	ds_load_2addr_b32 v[5:6], v9 offset0:16 offset1:20
	s_waitcnt lgkmcnt(4)
	v_fma_f32 v12, v18, v12, 0
	ds_load_b32 v18, v0
	ds_load_b32 v2, v2
	;; [unrolled: 1-line block ×3, first 2 shown]
	ds_load_2addr_b32 v[0:1], v9 offset0:24 offset1:28
	ds_load_b32 v4, v4
	s_waitcnt lgkmcnt(8)
	v_fmac_f32_e32 v12, v14, v13
	s_waitcnt lgkmcnt(7)
	s_delay_alu instid0(VALU_DEP_1) | instskip(SKIP_1) | instid1(VALU_DEP_1)
	v_fmac_f32_e32 v12, v15, v16
	s_waitcnt lgkmcnt(6)
	v_fmac_f32_e32 v12, v19, v17
	s_waitcnt lgkmcnt(4)
	s_delay_alu instid0(VALU_DEP_1) | instskip(SKIP_1) | instid1(VALU_DEP_1)
	v_fmac_f32_e32 v12, v18, v5
	;; [unrolled: 5-line block ×3, first 2 shown]
	s_waitcnt lgkmcnt(0)
	v_fmac_f32_e32 v12, v4, v1
	ds_store_b32 v7, v12 offset:4096
	s_waitcnt lgkmcnt(0)
	s_barrier
	buffer_gl0_inv
	s_and_saveexec_b32 s4, s0
	s_cbranch_execz .LBB64_9
; %bb.38:
	v_add_nc_u32_e32 v2, 0x1000, v11
	v_mad_u64_u32 v[4:5], null, v8, s2, 0
	v_cmp_neq_f32_e64 vcc_lo, s8, 0
	ds_load_2addr_b32 v[0:1], v2 offset1:32
	ds_load_2addr_b32 v[2:3], v2 offset0:64 offset1:96
	s_waitcnt lgkmcnt(1)
	v_add_f32_e32 v6, 0, v0
	s_delay_alu instid0(VALU_DEP_1) | instskip(NEXT) | instid1(VALU_DEP_1)
	v_dual_mov_b32 v0, v5 :: v_dual_add_f32 v1, v6, v1
	v_mad_u64_u32 v[5:6], null, v8, s3, v[0:1]
	s_waitcnt lgkmcnt(0)
	v_add_f32_e32 v0, v1, v2
	s_delay_alu instid0(VALU_DEP_1) | instskip(NEXT) | instid1(VALU_DEP_1)
	v_add_f32_e32 v0, v0, v3
	v_mul_f32_e32 v2, s12, v0
	v_fmac_f32_e32 v10, s12, v0
	v_lshlrev_b64 v[0:1], 2, v[4:5]
	s_delay_alu instid0(VALU_DEP_2) | instskip(NEXT) | instid1(VALU_DEP_2)
	v_cndmask_b32_e32 v2, v2, v10, vcc_lo
	v_add_co_u32 v0, vcc_lo, s1, v0
	s_delay_alu instid0(VALU_DEP_3)
	v_add_co_ci_u32_e32 v1, vcc_lo, s9, v1, vcc_lo
	global_store_b32 v[0:1], v2, off
	s_nop 0
	s_sendmsg sendmsg(MSG_DEALLOC_VGPRS)
	s_endpgm
	.section	.rodata,"a",@progbits
	.p2align	6, 0x0
	.amdhsa_kernel _ZL50rocblas_symv_kernel_upper_double_buffered_diagonalILi32ELi4E24rocblas_internal_val_ptrIfEPKfPfEvbiT1_lT2_lllS6_lllS5_lT3_llli
		.amdhsa_group_segment_fixed_size 5248
		.amdhsa_private_segment_fixed_size 0
		.amdhsa_kernarg_size 140
		.amdhsa_user_sgpr_count 14
		.amdhsa_user_sgpr_dispatch_ptr 0
		.amdhsa_user_sgpr_queue_ptr 0
		.amdhsa_user_sgpr_kernarg_segment_ptr 1
		.amdhsa_user_sgpr_dispatch_id 0
		.amdhsa_user_sgpr_private_segment_size 0
		.amdhsa_wavefront_size32 1
		.amdhsa_uses_dynamic_stack 0
		.amdhsa_enable_private_segment 0
		.amdhsa_system_sgpr_workgroup_id_x 1
		.amdhsa_system_sgpr_workgroup_id_y 0
		.amdhsa_system_sgpr_workgroup_id_z 1
		.amdhsa_system_sgpr_workgroup_info 0
		.amdhsa_system_vgpr_workitem_id 1
		.amdhsa_next_free_vgpr 20
		.amdhsa_next_free_sgpr 32
		.amdhsa_reserve_vcc 1
		.amdhsa_float_round_mode_32 0
		.amdhsa_float_round_mode_16_64 0
		.amdhsa_float_denorm_mode_32 3
		.amdhsa_float_denorm_mode_16_64 3
		.amdhsa_dx10_clamp 1
		.amdhsa_ieee_mode 1
		.amdhsa_fp16_overflow 0
		.amdhsa_workgroup_processor_mode 1
		.amdhsa_memory_ordered 1
		.amdhsa_forward_progress 0
		.amdhsa_shared_vgpr_count 0
		.amdhsa_exception_fp_ieee_invalid_op 0
		.amdhsa_exception_fp_denorm_src 0
		.amdhsa_exception_fp_ieee_div_zero 0
		.amdhsa_exception_fp_ieee_overflow 0
		.amdhsa_exception_fp_ieee_underflow 0
		.amdhsa_exception_fp_ieee_inexact 0
		.amdhsa_exception_int_div_zero 0
	.end_amdhsa_kernel
	.section	.text._ZL50rocblas_symv_kernel_upper_double_buffered_diagonalILi32ELi4E24rocblas_internal_val_ptrIfEPKfPfEvbiT1_lT2_lllS6_lllS5_lT3_llli,"axG",@progbits,_ZL50rocblas_symv_kernel_upper_double_buffered_diagonalILi32ELi4E24rocblas_internal_val_ptrIfEPKfPfEvbiT1_lT2_lllS6_lllS5_lT3_llli,comdat
.Lfunc_end64:
	.size	_ZL50rocblas_symv_kernel_upper_double_buffered_diagonalILi32ELi4E24rocblas_internal_val_ptrIfEPKfPfEvbiT1_lT2_lllS6_lllS5_lT3_llli, .Lfunc_end64-_ZL50rocblas_symv_kernel_upper_double_buffered_diagonalILi32ELi4E24rocblas_internal_val_ptrIfEPKfPfEvbiT1_lT2_lllS6_lllS5_lT3_llli
                                        ; -- End function
	.section	.AMDGPU.csdata,"",@progbits
; Kernel info:
; codeLenInByte = 2116
; NumSgprs: 34
; NumVgprs: 20
; ScratchSize: 0
; MemoryBound: 0
; FloatMode: 240
; IeeeMode: 1
; LDSByteSize: 5248 bytes/workgroup (compile time only)
; SGPRBlocks: 4
; VGPRBlocks: 2
; NumSGPRsForWavesPerEU: 34
; NumVGPRsForWavesPerEU: 20
; Occupancy: 16
; WaveLimiterHint : 0
; COMPUTE_PGM_RSRC2:SCRATCH_EN: 0
; COMPUTE_PGM_RSRC2:USER_SGPR: 14
; COMPUTE_PGM_RSRC2:TRAP_HANDLER: 0
; COMPUTE_PGM_RSRC2:TGID_X_EN: 1
; COMPUTE_PGM_RSRC2:TGID_Y_EN: 0
; COMPUTE_PGM_RSRC2:TGID_Z_EN: 1
; COMPUTE_PGM_RSRC2:TIDIG_COMP_CNT: 1
	.section	.text._ZL54rocblas_symv_kernel_upper_double_buffered_non_diagonalILi32ELi4ELi4E24rocblas_internal_val_ptrIfEPKfPfEvbiT2_lT3_lllS6_lllT4_llli,"axG",@progbits,_ZL54rocblas_symv_kernel_upper_double_buffered_non_diagonalILi32ELi4ELi4E24rocblas_internal_val_ptrIfEPKfPfEvbiT2_lT3_lllS6_lllT4_llli,comdat
	.globl	_ZL54rocblas_symv_kernel_upper_double_buffered_non_diagonalILi32ELi4ELi4E24rocblas_internal_val_ptrIfEPKfPfEvbiT2_lT3_lllS6_lllT4_llli ; -- Begin function _ZL54rocblas_symv_kernel_upper_double_buffered_non_diagonalILi32ELi4ELi4E24rocblas_internal_val_ptrIfEPKfPfEvbiT2_lT3_lllS6_lllT4_llli
	.p2align	8
	.type	_ZL54rocblas_symv_kernel_upper_double_buffered_non_diagonalILi32ELi4ELi4E24rocblas_internal_val_ptrIfEPKfPfEvbiT2_lT3_lllS6_lllT4_llli,@function
_ZL54rocblas_symv_kernel_upper_double_buffered_non_diagonalILi32ELi4ELi4E24rocblas_internal_val_ptrIfEPKfPfEvbiT2_lT3_lllS6_lllT4_llli: ; @_ZL54rocblas_symv_kernel_upper_double_buffered_non_diagonalILi32ELi4ELi4E24rocblas_internal_val_ptrIfEPKfPfEvbiT2_lT3_lllS6_lllT4_llli
; %bb.0:
	s_clause 0x1
	s_load_b32 s2, s[0:1], 0x0
	s_load_b512 s[16:31], s[0:1], 0x8
	s_waitcnt lgkmcnt(0)
	s_bitcmp0_b32 s2, 0
	s_mov_b32 s2, 0
	s_cbranch_scc0 .LBB65_2
; %bb.1:
	s_mul_i32 s3, s15, s19
	s_mul_hi_u32 s4, s15, s18
	s_delay_alu instid0(SALU_CYCLE_1) | instskip(SKIP_1) | instid1(SALU_CYCLE_1)
	s_add_i32 s5, s4, s3
	s_mul_i32 s4, s15, s18
	s_lshl_b64 s[4:5], s[4:5], 2
	s_delay_alu instid0(SALU_CYCLE_1)
	s_add_u32 s4, s16, s4
	s_addc_u32 s5, s17, s5
	s_load_b32 s10, s[4:5], 0x0
	s_and_not1_b32 vcc_lo, exec_lo, s2
	s_cbranch_vccz .LBB65_3
	s_branch .LBB65_4
.LBB65_2:
                                        ; implicit-def: $sgpr10
.LBB65_3:
	s_waitcnt lgkmcnt(0)
	s_mov_b32 s10, s16
.LBB65_4:
	s_waitcnt lgkmcnt(0)
	v_cmp_eq_f32_e64 s2, s10, 0
	s_delay_alu instid0(VALU_DEP_1)
	s_and_b32 vcc_lo, exec_lo, s2
	s_cbranch_vccnz .LBB65_24
; %bb.5:
	s_load_b32 s3, s[0:1], 0x84
	s_cmp_eq_u32 s13, 0
	s_waitcnt lgkmcnt(0)
	v_cvt_f32_u32_e32 v1, s3
	s_delay_alu instid0(VALU_DEP_1) | instskip(SKIP_2) | instid1(VALU_DEP_1)
	v_rcp_iflag_f32_e32 v1, v1
	s_waitcnt_depctr 0xfff
	v_mul_f32_e32 v1, 0x4f7ffffe, v1
	v_cvt_u32_f32_e32 v1, v1
	s_delay_alu instid0(VALU_DEP_1)
	v_readfirstlane_b32 s2, v1
	s_cbranch_scc1 .LBB65_24
; %bb.6:
	s_load_b128 s[4:7], s[0:1], 0x48
	s_sub_i32 s8, 0, s3
	v_and_b32_e32 v24, 0x3ff, v0
	s_mul_i32 s8, s8, s2
	v_bfe_u32 v0, v0, 10, 10
	s_mul_hi_u32 s8, s2, s8
	s_delay_alu instid0(SALU_CYCLE_1) | instskip(NEXT) | instid1(VALU_DEP_1)
	s_add_i32 s2, s2, s8
	v_cmp_eq_u32_e32 vcc_lo, 0, v0
	s_waitcnt lgkmcnt(0)
	s_mul_i32 s7, s15, s7
	s_mul_hi_u32 s9, s15, s6
	s_mul_i32 s6, s15, s6
	s_add_i32 s7, s9, s7
	s_delay_alu instid0(SALU_CYCLE_1) | instskip(NEXT) | instid1(SALU_CYCLE_1)
	s_lshl_b64 s[6:7], s[6:7], 2
	s_add_u32 s8, s28, s6
	s_addc_u32 s9, s29, s7
	s_lshl_b64 s[6:7], s[30:31], 2
	s_delay_alu instid0(SALU_CYCLE_1)
	s_add_u32 s6, s8, s6
	s_addc_u32 s7, s9, s7
	s_lshl_b32 s11, s13, 5
	s_mul_hi_u32 s8, s13, s2
	s_ashr_i32 s12, s11, 31
	s_and_saveexec_b32 s9, vcc_lo
	s_cbranch_execz .LBB65_8
; %bb.7:
	v_mad_u64_u32 v[1:2], null, v24, s4, 0
	s_mul_i32 s2, s11, s5
	s_mul_hi_u32 s16, s11, s4
	s_mul_i32 s17, s12, s4
	s_add_i32 s2, s16, s2
	s_mul_i32 s16, s11, s4
	s_add_i32 s17, s2, s17
	s_delay_alu instid0(VALU_DEP_1) | instskip(SKIP_1) | instid1(SALU_CYCLE_1)
	v_mad_u64_u32 v[3:4], null, v24, s5, v[2:3]
	s_lshl_b64 s[16:17], s[16:17], 2
	s_add_u32 s2, s6, s16
	s_addc_u32 s16, s7, s17
	s_delay_alu instid0(VALU_DEP_1) | instskip(NEXT) | instid1(VALU_DEP_1)
	v_mov_b32_e32 v2, v3
	v_lshlrev_b64 v[1:2], 2, v[1:2]
	s_delay_alu instid0(VALU_DEP_1) | instskip(NEXT) | instid1(VALU_DEP_1)
	v_add_co_u32 v1, s2, s2, v1
	v_add_co_ci_u32_e64 v2, s2, s16, v2, s2
	global_load_b32 v1, v[1:2], off
	v_lshlrev_b32_e32 v2, 2, v24
	s_waitcnt vmcnt(0)
	ds_store_b32 v2, v1 offset:3072
.LBB65_8:
	s_or_b32 exec_lo, exec_lo, s9
	s_mul_i32 s2, s8, s3
	s_add_i32 s9, s8, 1
	s_sub_i32 s2, s13, s2
	s_delay_alu instid0(SALU_CYCLE_1)
	s_sub_i32 s16, s2, s3
	s_cmp_ge_u32 s2, s3
	s_cselect_b32 s8, s9, s8
	s_cselect_b32 s2, s16, s2
	s_add_i32 s9, s8, 1
	s_cmp_ge_u32 s2, s3
	s_cselect_b32 s8, s9, s8
	s_add_i32 s2, s3, -1
	s_mov_b32 s16, s8
	s_cmp_lg_u32 s14, s2
	s_cbranch_scc1 .LBB65_10
; %bb.9:
	s_mul_i32 s2, s8, s3
	s_delay_alu instid0(SALU_CYCLE_1) | instskip(NEXT) | instid1(SALU_CYCLE_1)
	s_sub_i32 s2, s13, s2
	s_add_i32 s16, s2, s8
.LBB65_10:
	s_delay_alu instid0(SALU_CYCLE_1)
	s_cmp_eq_u32 s16, 0
	s_cbranch_scc1 .LBB65_24
; %bb.11:
	s_clause 0x2
	s_load_b64 s[18:19], s[0:1], 0x70
	s_load_b64 s[28:29], s[0:1], 0x58
	s_load_b128 s[0:3], s[0:1], 0x60
	v_lshl_add_u32 v0, v0, 5, v24
	v_dual_mov_b32 v27, 0 :: v_dual_and_b32 v4, 15, v24
	v_dual_mov_b32 v28, 0 :: v_dual_mov_b32 v29, 0
	s_delay_alu instid0(VALU_DEP_2) | instskip(NEXT) | instid1(VALU_DEP_4)
	v_dual_mov_b32 v5, 0 :: v_dual_lshlrev_b32 v26, 2, v4
	v_lshrrev_b32_e32 v25, 4, v0
	s_mov_b32 s17, 0
	s_waitcnt lgkmcnt(0)
	s_barrier
	buffer_gl0_inv
	s_mul_i32 s9, s15, s19
	s_mul_hi_u32 s13, s15, s18
	s_mul_i32 s18, s15, s18
	s_add_i32 s19, s13, s9
	s_delay_alu instid0(SALU_CYCLE_1) | instskip(NEXT) | instid1(SALU_CYCLE_1)
	s_lshl_b64 s[18:19], s[18:19], 2
	s_add_u32 s9, s28, s18
	s_addc_u32 s13, s29, s19
	s_lshl_b64 s[18:19], s[0:1], 2
	s_delay_alu instid0(SALU_CYCLE_1)
	s_add_u32 s1, s9, s18
	s_addc_u32 s13, s13, s19
	s_cmp_lt_i32 s16, 1
	s_cbranch_scc1 .LBB65_21
; %bb.12:
	s_mul_i32 s14, s14, s8
	v_dual_mov_b32 v5, 0 :: v_dual_lshlrev_b32 v6, 2, v25
	s_lshl_b32 s18, s14, 5
	s_mul_hi_u32 s14, s15, s26
	s_mul_i32 s0, s18, s3
	s_mul_hi_u32 s8, s18, s2
	s_ashr_i32 s19, s18, 31
	s_add_i32 s0, s8, s0
	s_mul_i32 s8, s19, s2
	v_mad_u64_u32 v[0:1], null, v6, s24, v[4:5]
	s_add_i32 s9, s0, s8
	s_mul_i32 s8, s18, s2
	s_mul_i32 s0, s15, s27
	s_lshl_b64 s[8:9], s[8:9], 2
	s_mul_i32 s26, s15, s26
	s_add_u32 s8, s1, s8
	s_addc_u32 s9, s13, s9
	s_add_i32 s27, s14, s0
	v_mad_u64_u32 v[2:3], null, v6, s25, v[1:2]
	s_lshl_b64 s[14:15], s[26:27], 2
	v_mad_u64_u32 v[8:9], null, v4, s4, 0
	s_add_u32 s0, s20, s14
	s_addc_u32 s20, s21, s15
	s_lshl_b64 s[14:15], s[22:23], 2
	s_mul_hi_u32 s21, s11, s24
	s_add_u32 s0, s0, s14
	s_mul_i32 s14, s11, s25
	s_addc_u32 s20, s20, s15
	s_add_i32 s14, s21, s14
	s_mul_i32 s15, s12, s24
	v_dual_mov_b32 v1, v2 :: v_dual_mov_b32 v2, v9
	s_add_i32 s15, s14, s15
	s_mul_i32 s14, s11, s24
	s_mul_hi_u32 s21, s18, s4
	s_lshl_b64 s[14:15], s[14:15], 2
	v_lshlrev_b64 v[6:7], 2, v[0:1]
	s_add_u32 s0, s0, s14
	s_addc_u32 s20, s20, s15
	s_lshl_b64 s[14:15], s[18:19], 2
	s_mul_i32 s19, s19, s4
	s_add_u32 s14, s0, s14
	s_mul_i32 s0, s18, s5
	s_addc_u32 s15, s20, s15
	s_add_i32 s0, s21, s0
	s_mul_i32 s18, s18, s4
	s_add_i32 s19, s0, s19
	v_mad_u64_u32 v[9:10], null, v4, s5, v[2:3]
	s_lshl_b64 s[18:19], s[18:19], 2
	v_add_co_u32 v0, s0, s14, v6
	s_add_u32 s18, s6, s18
	v_add_co_ci_u32_e64 v1, s0, s15, v7, s0
	s_addc_u32 s19, s7, s19
	s_lshl_b64 s[6:7], s[24:25], 2
	s_delay_alu instid0(VALU_DEP_3) | instskip(SKIP_1) | instid1(VALU_DEP_1)
	v_lshlrev_b64 v[8:9], 2, v[8:9]
	v_add_co_u32 v2, s0, v0, s6
	v_add_co_ci_u32_e64 v3, s0, s7, v1, s0
	v_lshl_add_u32 v32, v25, 4, 0xc00
	s_delay_alu instid0(VALU_DEP_3) | instskip(NEXT) | instid1(VALU_DEP_1)
	v_add_co_u32 v10, s0, v2, s6
	v_add_co_ci_u32_e64 v11, s0, s7, v3, s0
	v_add_co_u32 v12, s0, s18, v8
	s_delay_alu instid0(VALU_DEP_1) | instskip(NEXT) | instid1(VALU_DEP_4)
	v_add_co_ci_u32_e64 v13, s0, s19, v9, s0
	v_add_co_u32 v14, s0, v10, s6
	s_delay_alu instid0(VALU_DEP_1)
	v_add_co_ci_u32_e64 v15, s0, s7, v11, s0
	global_load_b32 v31, v[12:13], off
	s_clause 0x1
	global_load_b32 v34, v[0:1], off
	global_load_b32 v35, v[2:3], off
	;; [unrolled: 1-line block ×4, first 2 shown]
	v_or_b32_e32 v12, 16, v4
	v_mad_u64_u32 v[2:3], null, v24, s2, 0
	v_lshl_add_u32 v33, v24, 2, 0x800
	v_mov_b32_e32 v29, v5
	s_delay_alu instid0(VALU_DEP_4) | instskip(SKIP_3) | instid1(VALU_DEP_3)
	v_mad_u64_u32 v[0:1], null, v12, s4, 0
	v_mov_b32_e32 v28, v5
	v_mov_b32_e32 v27, v5
	s_add_i32 s20, s16, -1
	v_mad_u64_u32 v[10:11], null, v12, s5, v[1:2]
	v_mad_u64_u32 v[11:12], null, v24, s3, v[3:4]
	v_lshl_or_b32 v3, v25, 7, v26
	s_lshl_b64 s[4:5], s[4:5], 7
	s_delay_alu instid0(VALU_DEP_1) | instskip(NEXT) | instid1(VALU_DEP_3)
	v_dual_mov_b32 v1, v10 :: v_dual_add_nc_u32 v30, 0x800, v3
	v_mov_b32_e32 v3, v11
	v_dual_mov_b32 v11, s9 :: v_dual_mov_b32 v10, s8
	s_delay_alu instid0(VALU_DEP_3) | instskip(SKIP_1) | instid1(VALU_DEP_3)
	v_lshlrev_b64 v[12:13], 2, v[0:1]
	s_lshl_b64 s[8:9], s[2:3], 7
	v_lshlrev_b64 v[14:15], 2, v[2:3]
	s_waitcnt vmcnt(3)
	v_dual_mov_b32 v41, v31 :: v_dual_mov_b32 v38, v34
	s_waitcnt vmcnt(1)
	v_dual_mov_b32 v39, v35 :: v_dual_mov_b32 v40, v36
	s_waitcnt vmcnt(0)
	v_mov_b32_e32 v42, v37
.LBB65_13:                              ; =>This Loop Header: Depth=1
                                        ;     Child Loop BB65_17 Depth 2
	v_add_co_u32 v16, s0, s14, v6
	s_delay_alu instid0(VALU_DEP_1) | instskip(NEXT) | instid1(VALU_DEP_2)
	v_add_co_ci_u32_e64 v17, s0, s15, v7, s0
	v_add_co_u32 v18, s0, v16, s6
	s_delay_alu instid0(VALU_DEP_1) | instskip(NEXT) | instid1(VALU_DEP_2)
	v_add_co_ci_u32_e64 v19, s0, s7, v17, s0
	v_add_co_u32 v20, s0, v18, s6
	s_delay_alu instid0(VALU_DEP_1) | instskip(SKIP_1) | instid1(VALU_DEP_1)
	v_add_co_ci_u32_e64 v21, s0, s7, v19, s0
	v_add_co_u32 v0, s0, s18, v12
	v_add_co_ci_u32_e64 v1, s0, s19, v13, s0
	s_delay_alu instid0(VALU_DEP_4) | instskip(NEXT) | instid1(VALU_DEP_1)
	v_add_co_u32 v22, s0, v20, s6
	v_add_co_ci_u32_e64 v23, s0, s7, v21, s0
	global_load_b32 v43, v[0:1], off
	s_clause 0x3
	global_load_b32 v47, v[16:17], off offset:64
	global_load_b32 v45, v[18:19], off offset:64
	;; [unrolled: 1-line block ×4, first 2 shown]
	ds_load_b128 v[0:3], v32
	s_add_u32 s18, s18, s4
	s_addc_u32 s19, s19, s5
	s_cmp_eq_u32 s17, s20
	s_cbranch_scc1 .LBB65_15
; %bb.14:                               ;   in Loop: Header=BB65_13 Depth=1
	v_add_co_u32 v48, s0, s18, v8
	s_delay_alu instid0(VALU_DEP_1)
	v_add_co_ci_u32_e64 v49, s0, s19, v9, s0
	s_clause 0x3
	global_load_b32 v38, v[16:17], off offset:128
	global_load_b32 v39, v[18:19], off offset:128
	;; [unrolled: 1-line block ×4, first 2 shown]
	global_load_b32 v41, v[48:49], off
.LBB65_15:                              ;   in Loop: Header=BB65_13 Depth=1
	s_waitcnt lgkmcnt(0)
	v_fma_f32 v16, v34, v0, 0
	s_waitcnt vmcnt(3)
	v_fma_f32 v0, v47, v0, 0
	s_waitcnt vmcnt(0)
	s_barrier
	buffer_gl0_inv
	v_fmac_f32_e32 v16, v35, v1
	v_fmac_f32_e32 v0, v45, v1
	s_delay_alu instid0(VALU_DEP_2) | instskip(NEXT) | instid1(VALU_DEP_2)
	v_fmac_f32_e32 v16, v36, v2
	v_fmac_f32_e32 v0, v44, v2
	s_delay_alu instid0(VALU_DEP_2) | instskip(NEXT) | instid1(VALU_DEP_2)
	v_fmac_f32_e32 v16, v37, v3
	v_fmac_f32_e32 v0, v46, v3
	ds_store_2addr_b32 v30, v16, v0 offset1:16
	s_waitcnt lgkmcnt(0)
	s_barrier
	buffer_gl0_inv
	s_and_saveexec_b32 s21, vcc_lo
	s_cbranch_execz .LBB65_19
; %bb.16:                               ;   in Loop: Header=BB65_13 Depth=1
	v_add_co_u32 v0, s0, v10, v14
	s_delay_alu instid0(VALU_DEP_1)
	v_add_co_ci_u32_e64 v1, s0, v11, v15, s0
	s_mov_b32 s22, 0
	global_load_b32 v3, v[0:1], off
	ds_load_2addr_b32 v[16:17], v33 offset1:32
	ds_load_2addr_b32 v[18:19], v33 offset0:64 offset1:96
	ds_load_2addr_b32 v[20:21], v33 offset0:128 offset1:160
	s_waitcnt lgkmcnt(2)
	v_add_f32_e32 v2, 0, v16
	s_delay_alu instid0(VALU_DEP_1) | instskip(SKIP_3) | instid1(VALU_DEP_1)
	v_add_f32_e32 v2, v2, v17
	ds_load_2addr_b32 v[16:17], v33 offset0:192 offset1:224
	s_waitcnt lgkmcnt(2)
	v_add_f32_e32 v2, v2, v18
	v_add_f32_e32 v2, v2, v19
	s_waitcnt lgkmcnt(1)
	s_delay_alu instid0(VALU_DEP_1) | instskip(NEXT) | instid1(VALU_DEP_1)
	v_add_f32_e32 v2, v2, v20
	v_add_f32_e32 v2, v2, v21
	s_waitcnt lgkmcnt(0)
	s_delay_alu instid0(VALU_DEP_1) | instskip(NEXT) | instid1(VALU_DEP_1)
	v_add_f32_e32 v2, v2, v16
	v_add_f32_e32 v2, v2, v17
	s_delay_alu instid0(VALU_DEP_1)
	v_mul_f32_e32 v16, s10, v2
.LBB65_17:                              ;   Parent Loop BB65_13 Depth=1
                                        ; =>  This Inner Loop Header: Depth=2
	s_waitcnt vmcnt(0)
	s_delay_alu instid0(VALU_DEP_1) | instskip(SKIP_4) | instid1(VALU_DEP_2)
	v_add_f32_e32 v2, v3, v16
	global_atomic_cmpswap_b32 v2, v[0:1], v[2:3], off glc
	s_waitcnt vmcnt(0)
	v_cmp_eq_u32_e64 s0, v2, v3
	v_mov_b32_e32 v3, v2
	s_or_b32 s22, s0, s22
	s_delay_alu instid0(SALU_CYCLE_1)
	s_and_not1_b32 exec_lo, exec_lo, s22
	s_cbranch_execnz .LBB65_17
; %bb.18:                               ;   in Loop: Header=BB65_13 Depth=1
	s_or_b32 exec_lo, exec_lo, s22
	v_add_co_u32 v10, s0, v10, s8
	s_delay_alu instid0(VALU_DEP_1)
	v_add_co_ci_u32_e64 v11, s0, s9, v11, s0
.LBB65_19:                              ;   in Loop: Header=BB65_13 Depth=1
	s_or_b32 exec_lo, exec_lo, s21
	v_fmac_f32_e32 v5, v31, v34
	v_fmac_f32_e32 v29, v31, v35
	;; [unrolled: 1-line block ×4, first 2 shown]
	s_add_u32 s14, s14, 0x80
	v_fmac_f32_e32 v5, v43, v47
	v_fmac_f32_e32 v29, v43, v45
	;; [unrolled: 1-line block ×4, first 2 shown]
	s_addc_u32 s15, s15, 0
	s_add_i32 s17, s17, 1
	s_delay_alu instid0(SALU_CYCLE_1)
	s_cmp_eq_u32 s17, s16
	s_cbranch_scc1 .LBB65_21
; %bb.20:                               ;   in Loop: Header=BB65_13 Depth=1
	v_dual_mov_b32 v31, v41 :: v_dual_mov_b32 v34, v38
	v_dual_mov_b32 v35, v39 :: v_dual_mov_b32 v36, v40
	v_mov_b32_e32 v37, v42
	s_branch .LBB65_13
.LBB65_21:
	v_lshl_or_b32 v0, v25, 8, v26
	ds_store_2addr_b32 v0, v5, v29 offset1:16
	ds_store_2addr_b32 v0, v28, v27 offset0:32 offset1:48
	s_waitcnt lgkmcnt(0)
	s_barrier
	buffer_gl0_inv
	s_and_saveexec_b32 s0, vcc_lo
	s_cbranch_execz .LBB65_24
; %bb.22:
	v_mad_u64_u32 v[0:1], null, v24, s2, 0
	s_mul_i32 s0, s11, s3
	s_mul_i32 s12, s12, s2
	v_add_nc_u32_e32 v5, 1, v24
	v_add_nc_u32_e32 v7, 3, v24
	v_add_nc_u32_e32 v9, 4, v24
	v_add_nc_u32_e32 v10, 5, v24
	v_mad_u64_u32 v[2:3], null, v24, s3, v[1:2]
	s_mul_hi_u32 s3, s11, s2
	s_mul_i32 s2, s11, s2
	s_add_i32 s0, s3, s0
	v_add_nc_u32_e32 v11, 6, v24
	s_add_i32 s3, s0, s12
	s_delay_alu instid0(VALU_DEP_2) | instskip(SKIP_2) | instid1(SALU_CYCLE_1)
	v_dual_mov_b32 v1, v2 :: v_dual_add_nc_u32 v12, 7, v24
	v_lshlrev_b32_e32 v2, 4, v24
	s_lshl_b64 s[2:3], s[2:3], 2
	s_add_u32 s0, s1, s2
	s_delay_alu instid0(VALU_DEP_2)
	v_lshlrev_b64 v[0:1], 2, v[0:1]
	s_addc_u32 s1, s13, s3
	v_or_b32_e32 v4, v4, v2
	v_and_or_b32 v5, v5, 15, v2
	v_and_or_b32 v7, v7, 15, v2
	;; [unrolled: 1-line block ×3, first 2 shown]
	v_add_co_u32 v0, vcc_lo, s0, v0
	v_add_co_ci_u32_e32 v1, vcc_lo, s1, v1, vcc_lo
	v_lshlrev_b32_e32 v8, 2, v4
	v_and_or_b32 v10, v10, 15, v2
	v_and_or_b32 v11, v11, 15, v2
	global_load_b32 v3, v[0:1], off
	v_and_or_b32 v12, v12, 15, v2
	ds_load_b32 v8, v8
	v_lshlrev_b32_e32 v5, 2, v5
	v_lshlrev_b32_e32 v7, 2, v7
	;; [unrolled: 1-line block ×5, first 2 shown]
	ds_load_b32 v5, v5
	v_add_nc_u32_e32 v6, 2, v24
	v_lshlrev_b32_e32 v12, 2, v12
	v_xor_b32_e32 v4, 8, v4
	s_mov_b32 s0, 0
	s_delay_alu instid0(VALU_DEP_3) | instskip(NEXT) | instid1(VALU_DEP_2)
	v_and_or_b32 v6, v6, 15, v2
	v_lshlrev_b32_e32 v4, 2, v4
	s_delay_alu instid0(VALU_DEP_2)
	v_lshlrev_b32_e32 v6, 2, v6
	ds_load_b32 v6, v6
	ds_load_b32 v7, v7
	;; [unrolled: 1-line block ×6, first 2 shown]
	s_waitcnt lgkmcnt(7)
	v_add_f32_e32 v8, 0, v8
	ds_load_b32 v4, v4
	s_waitcnt lgkmcnt(7)
	v_dual_add_f32 v5, v8, v5 :: v_dual_add_nc_u32 v8, 11, v24
	s_delay_alu instid0(VALU_DEP_1) | instskip(SKIP_1) | instid1(VALU_DEP_1)
	v_and_or_b32 v8, v8, 15, v2
	s_waitcnt lgkmcnt(6)
	v_dual_add_f32 v5, v5, v6 :: v_dual_lshlrev_b32 v8, 2, v8
	s_waitcnt lgkmcnt(5)
	s_delay_alu instid0(VALU_DEP_1) | instskip(SKIP_1) | instid1(VALU_DEP_2)
	v_dual_add_f32 v5, v5, v7 :: v_dual_add_nc_u32 v6, 9, v24
	v_add_nc_u32_e32 v7, 10, v24
	v_and_or_b32 v6, v6, 15, v2
	s_waitcnt lgkmcnt(4)
	s_delay_alu instid0(VALU_DEP_3) | instskip(NEXT) | instid1(VALU_DEP_3)
	v_add_f32_e32 v5, v5, v9
	v_and_or_b32 v7, v7, 15, v2
	v_add_nc_u32_e32 v9, 12, v24
	v_lshlrev_b32_e32 v6, 2, v6
	s_waitcnt lgkmcnt(3)
	v_add_f32_e32 v5, v5, v10
	v_lshlrev_b32_e32 v7, 2, v7
	v_add_nc_u32_e32 v10, 13, v24
	v_and_or_b32 v9, v9, 15, v2
	ds_load_b32 v6, v6
	s_waitcnt lgkmcnt(3)
	v_add_f32_e32 v5, v5, v11
	ds_load_b32 v7, v7
	v_add_nc_u32_e32 v11, 14, v24
	v_and_or_b32 v10, v10, 15, v2
	v_lshlrev_b32_e32 v9, 2, v9
	s_waitcnt lgkmcnt(3)
	v_add_f32_e32 v5, v5, v12
	v_add_nc_u32_e32 v12, -1, v24
	v_and_or_b32 v11, v11, 15, v2
	v_lshlrev_b32_e32 v10, 2, v10
	s_waitcnt lgkmcnt(2)
	v_add_f32_e32 v4, v5, v4
	v_and_or_b32 v2, v12, 15, v2
	v_lshlrev_b32_e32 v11, 2, v11
	s_delay_alu instid0(VALU_DEP_2)
	v_lshlrev_b32_e32 v2, 2, v2
	ds_load_b32 v8, v8
	ds_load_b32 v9, v9
	;; [unrolled: 1-line block ×5, first 2 shown]
	s_waitcnt lgkmcnt(6)
	v_add_f32_e32 v4, v4, v6
	s_waitcnt lgkmcnt(5)
	s_delay_alu instid0(VALU_DEP_1) | instskip(SKIP_1) | instid1(VALU_DEP_1)
	v_add_f32_e32 v4, v4, v7
	s_waitcnt lgkmcnt(4)
	v_add_f32_e32 v4, v4, v8
	s_waitcnt lgkmcnt(3)
	s_delay_alu instid0(VALU_DEP_1) | instskip(SKIP_1) | instid1(VALU_DEP_1)
	v_add_f32_e32 v4, v4, v9
	;; [unrolled: 5-line block ×3, first 2 shown]
	s_waitcnt lgkmcnt(0)
	v_add_f32_e32 v2, v4, v2
	s_delay_alu instid0(VALU_DEP_1)
	v_mul_f32_e32 v4, s10, v2
.LBB65_23:                              ; =>This Inner Loop Header: Depth=1
	s_waitcnt vmcnt(0)
	s_delay_alu instid0(VALU_DEP_1)
	v_add_f32_e32 v2, v3, v4
	global_atomic_cmpswap_b32 v2, v[0:1], v[2:3], off glc
	s_waitcnt vmcnt(0)
	v_cmp_eq_u32_e32 vcc_lo, v2, v3
	v_mov_b32_e32 v3, v2
	s_or_b32 s0, vcc_lo, s0
	s_delay_alu instid0(SALU_CYCLE_1)
	s_and_not1_b32 exec_lo, exec_lo, s0
	s_cbranch_execnz .LBB65_23
.LBB65_24:
	s_endpgm
	.section	.rodata,"a",@progbits
	.p2align	6, 0x0
	.amdhsa_kernel _ZL54rocblas_symv_kernel_upper_double_buffered_non_diagonalILi32ELi4ELi4E24rocblas_internal_val_ptrIfEPKfPfEvbiT2_lT3_lllS6_lllT4_llli
		.amdhsa_group_segment_fixed_size 3200
		.amdhsa_private_segment_fixed_size 0
		.amdhsa_kernarg_size 384
		.amdhsa_user_sgpr_count 13
		.amdhsa_user_sgpr_dispatch_ptr 0
		.amdhsa_user_sgpr_queue_ptr 0
		.amdhsa_user_sgpr_kernarg_segment_ptr 1
		.amdhsa_user_sgpr_dispatch_id 0
		.amdhsa_user_sgpr_private_segment_size 0
		.amdhsa_wavefront_size32 1
		.amdhsa_uses_dynamic_stack 0
		.amdhsa_enable_private_segment 0
		.amdhsa_system_sgpr_workgroup_id_x 1
		.amdhsa_system_sgpr_workgroup_id_y 1
		.amdhsa_system_sgpr_workgroup_id_z 1
		.amdhsa_system_sgpr_workgroup_info 0
		.amdhsa_system_vgpr_workitem_id 1
		.amdhsa_next_free_vgpr 50
		.amdhsa_next_free_sgpr 32
		.amdhsa_reserve_vcc 1
		.amdhsa_float_round_mode_32 0
		.amdhsa_float_round_mode_16_64 0
		.amdhsa_float_denorm_mode_32 3
		.amdhsa_float_denorm_mode_16_64 3
		.amdhsa_dx10_clamp 1
		.amdhsa_ieee_mode 1
		.amdhsa_fp16_overflow 0
		.amdhsa_workgroup_processor_mode 1
		.amdhsa_memory_ordered 1
		.amdhsa_forward_progress 0
		.amdhsa_shared_vgpr_count 0
		.amdhsa_exception_fp_ieee_invalid_op 0
		.amdhsa_exception_fp_denorm_src 0
		.amdhsa_exception_fp_ieee_div_zero 0
		.amdhsa_exception_fp_ieee_overflow 0
		.amdhsa_exception_fp_ieee_underflow 0
		.amdhsa_exception_fp_ieee_inexact 0
		.amdhsa_exception_int_div_zero 0
	.end_amdhsa_kernel
	.section	.text._ZL54rocblas_symv_kernel_upper_double_buffered_non_diagonalILi32ELi4ELi4E24rocblas_internal_val_ptrIfEPKfPfEvbiT2_lT3_lllS6_lllT4_llli,"axG",@progbits,_ZL54rocblas_symv_kernel_upper_double_buffered_non_diagonalILi32ELi4ELi4E24rocblas_internal_val_ptrIfEPKfPfEvbiT2_lT3_lllS6_lllT4_llli,comdat
.Lfunc_end65:
	.size	_ZL54rocblas_symv_kernel_upper_double_buffered_non_diagonalILi32ELi4ELi4E24rocblas_internal_val_ptrIfEPKfPfEvbiT2_lT3_lllS6_lllT4_llli, .Lfunc_end65-_ZL54rocblas_symv_kernel_upper_double_buffered_non_diagonalILi32ELi4ELi4E24rocblas_internal_val_ptrIfEPKfPfEvbiT2_lT3_lllS6_lllT4_llli
                                        ; -- End function
	.section	.AMDGPU.csdata,"",@progbits
; Kernel info:
; codeLenInByte = 2576
; NumSgprs: 34
; NumVgprs: 50
; ScratchSize: 0
; MemoryBound: 0
; FloatMode: 240
; IeeeMode: 1
; LDSByteSize: 3200 bytes/workgroup (compile time only)
; SGPRBlocks: 4
; VGPRBlocks: 6
; NumSGPRsForWavesPerEU: 34
; NumVGPRsForWavesPerEU: 50
; Occupancy: 16
; WaveLimiterHint : 0
; COMPUTE_PGM_RSRC2:SCRATCH_EN: 0
; COMPUTE_PGM_RSRC2:USER_SGPR: 13
; COMPUTE_PGM_RSRC2:TRAP_HANDLER: 0
; COMPUTE_PGM_RSRC2:TGID_X_EN: 1
; COMPUTE_PGM_RSRC2:TGID_Y_EN: 1
; COMPUTE_PGM_RSRC2:TGID_Z_EN: 1
; COMPUTE_PGM_RSRC2:TIDIG_COMP_CNT: 1
	.section	.text._ZL58rocblas_symv_kernel_upper_double_buffered_diagonal_genericILi32ELi8E24rocblas_internal_val_ptrIfEPKfPfEvbiT1_lT2_lllS6_lllS5_lT3_lllii,"axG",@progbits,_ZL58rocblas_symv_kernel_upper_double_buffered_diagonal_genericILi32ELi8E24rocblas_internal_val_ptrIfEPKfPfEvbiT1_lT2_lllS6_lllS5_lT3_lllii,comdat
	.globl	_ZL58rocblas_symv_kernel_upper_double_buffered_diagonal_genericILi32ELi8E24rocblas_internal_val_ptrIfEPKfPfEvbiT1_lT2_lllS6_lllS5_lT3_lllii ; -- Begin function _ZL58rocblas_symv_kernel_upper_double_buffered_diagonal_genericILi32ELi8E24rocblas_internal_val_ptrIfEPKfPfEvbiT1_lT2_lllS6_lllS5_lT3_lllii
	.p2align	8
	.type	_ZL58rocblas_symv_kernel_upper_double_buffered_diagonal_genericILi32ELi8E24rocblas_internal_val_ptrIfEPKfPfEvbiT1_lT2_lllS6_lllS5_lT3_lllii,@function
_ZL58rocblas_symv_kernel_upper_double_buffered_diagonal_genericILi32ELi8E24rocblas_internal_val_ptrIfEPKfPfEvbiT1_lT2_lllS6_lllS5_lT3_lllii: ; @_ZL58rocblas_symv_kernel_upper_double_buffered_diagonal_genericILi32ELi8E24rocblas_internal_val_ptrIfEPKfPfEvbiT1_lT2_lllS6_lllS5_lT3_lllii
; %bb.0:
	s_clause 0x1
	s_load_b32 s2, s[0:1], 0x0
	s_load_b512 s[16:31], s[0:1], 0x8
	s_mov_b32 s3, -1
                                        ; implicit-def: $sgpr12
	s_waitcnt lgkmcnt(0)
	s_bitcmp1_b32 s2, 0
	s_cselect_b32 s2, -1, 0
	s_delay_alu instid0(SALU_CYCLE_1) | instskip(NEXT) | instid1(SALU_CYCLE_1)
	s_xor_b32 s2, s2, -1
	s_and_b32 vcc_lo, exec_lo, s2
	s_cbranch_vccnz .LBB66_13
; %bb.1:
	s_load_b256 s[4:11], s[0:1], 0x48
	s_and_not1_b32 vcc_lo, exec_lo, s3
	s_cbranch_vccz .LBB66_14
.LBB66_2:
	s_and_not1_b32 vcc_lo, exec_lo, s2
	s_cbranch_vccnz .LBB66_4
.LBB66_3:
	s_waitcnt lgkmcnt(0)
	s_mul_i32 s2, s15, s11
	s_mul_hi_u32 s3, s15, s10
	s_delay_alu instid0(SALU_CYCLE_1) | instskip(SKIP_1) | instid1(SALU_CYCLE_1)
	s_add_i32 s3, s3, s2
	s_mul_i32 s2, s15, s10
	s_lshl_b64 s[2:3], s[2:3], 2
	s_delay_alu instid0(SALU_CYCLE_1)
	s_add_u32 s2, s8, s2
	s_addc_u32 s3, s9, s3
	s_load_b32 s8, s[2:3], 0x0
.LBB66_4:
	s_waitcnt lgkmcnt(0)
	v_cmp_eq_f32_e64 s2, s12, 0
	v_cmp_eq_f32_e64 s3, s8, 1.0
	s_delay_alu instid0(VALU_DEP_1) | instskip(NEXT) | instid1(SALU_CYCLE_1)
	s_and_b32 s2, s2, s3
	s_and_b32 vcc_lo, exec_lo, s2
	s_cbranch_vccnz .LBB66_12
; %bb.5:
	s_clause 0x3
	s_load_b64 s[2:3], s[0:1], 0x80
	s_load_b64 s[10:11], s[0:1], 0x68
	s_load_b128 s[16:19], s[0:1], 0x70
	s_load_b32 s33, s[0:1], 0x88
	v_bfe_u32 v9, v0, 10, 10
	v_and_b32_e32 v8, 0x3ff, v0
	s_waitcnt lgkmcnt(0)
	s_mul_i32 s3, s15, s3
	s_mul_hi_u32 s9, s15, s2
	s_mul_i32 s2, s15, s2
	s_add_i32 s3, s9, s3
	s_delay_alu instid0(SALU_CYCLE_1) | instskip(NEXT) | instid1(SALU_CYCLE_1)
	s_lshl_b64 s[2:3], s[2:3], 2
	s_add_u32 s9, s10, s2
	s_addc_u32 s10, s11, s3
	s_lshl_b64 s[2:3], s[16:17], 2
	s_delay_alu instid0(SALU_CYCLE_1) | instskip(SKIP_2) | instid1(SALU_CYCLE_1)
	s_add_u32 s9, s9, s2
	s_addc_u32 s13, s10, s3
	s_lshl_b32 s10, s14, 5
	s_mul_i32 s2, s10, s19
	s_mul_hi_u32 s3, s10, s18
	s_ashr_i32 s11, s10, 31
	s_add_i32 s3, s3, s2
	s_mul_i32 s16, s11, s18
	s_mul_i32 s2, s10, s18
	s_add_i32 s3, s3, s16
	v_cmp_neq_f32_e64 s16, s12, 0
	s_lshl_b64 s[2:3], s[2:3], 2
	s_delay_alu instid0(SALU_CYCLE_1)
	s_add_u32 s9, s9, s2
	v_cmp_eq_u32_e64 s2, 0, v9
	s_addc_u32 s13, s13, s3
	s_and_b32 vcc_lo, exec_lo, s16
	s_cbranch_vccnz .LBB66_15
; %bb.6:
	s_mov_b32 s3, 0
	s_and_saveexec_b32 s16, s2
	s_cbranch_execz .LBB66_11
; %bb.7:
	v_cmp_gt_i32_e64 s2, s33, v8
	s_mov_b32 s17, exec_lo
	v_cmpx_le_i32_e64 s33, v8
	s_cbranch_execz .LBB66_9
; %bb.8:
	s_load_b32 s34, s[0:1], 0x90
	s_waitcnt lgkmcnt(0)
	s_add_i32 s34, s34, -1
	s_delay_alu instid0(SALU_CYCLE_1) | instskip(SKIP_3) | instid1(SALU_CYCLE_1)
	s_cmp_lt_u32 s14, s34
	s_cselect_b32 s34, -1, 0
	s_and_not1_b32 s2, s2, exec_lo
	s_and_b32 s34, s34, exec_lo
	s_or_b32 s2, s2, s34
.LBB66_9:
	s_or_b32 exec_lo, exec_lo, s17
	s_delay_alu instid0(SALU_CYCLE_1)
	s_and_b32 exec_lo, exec_lo, s2
	s_cbranch_execz .LBB66_11
; %bb.10:
	v_mad_u64_u32 v[0:1], null, v8, s18, 0
	s_delay_alu instid0(VALU_DEP_1) | instskip(NEXT) | instid1(VALU_DEP_1)
	v_mad_u64_u32 v[2:3], null, v8, s19, v[1:2]
	v_mov_b32_e32 v1, v2
	s_delay_alu instid0(VALU_DEP_1) | instskip(NEXT) | instid1(VALU_DEP_1)
	v_lshlrev_b64 v[0:1], 2, v[0:1]
	v_add_co_u32 v0, vcc_lo, s9, v0
	s_delay_alu instid0(VALU_DEP_2)
	v_add_co_ci_u32_e32 v1, vcc_lo, s13, v1, vcc_lo
	global_load_b32 v2, v[0:1], off
	s_waitcnt vmcnt(0)
	v_mul_f32_e32 v2, s8, v2
	global_store_b32 v[0:1], v2, off
.LBB66_11:
	s_or_b32 exec_lo, exec_lo, s16
	s_delay_alu instid0(SALU_CYCLE_1)
	s_and_not1_b32 vcc_lo, exec_lo, s3
	s_cbranch_vccz .LBB66_16
.LBB66_12:
	s_nop 0
	s_sendmsg sendmsg(MSG_DEALLOC_VGPRS)
	s_endpgm
.LBB66_13:
	s_mul_i32 s3, s15, s19
	s_mul_hi_u32 s4, s15, s18
	s_delay_alu instid0(SALU_CYCLE_1) | instskip(SKIP_1) | instid1(SALU_CYCLE_1)
	s_add_i32 s5, s4, s3
	s_mul_i32 s4, s15, s18
	s_lshl_b64 s[4:5], s[4:5], 2
	s_delay_alu instid0(SALU_CYCLE_1)
	s_add_u32 s4, s16, s4
	s_addc_u32 s5, s17, s5
	s_load_b32 s12, s[4:5], 0x0
	s_load_b256 s[4:11], s[0:1], 0x48
	s_cbranch_execnz .LBB66_2
.LBB66_14:
	s_waitcnt lgkmcnt(0)
	s_mov_b32 s12, s16
	s_and_not1_b32 vcc_lo, exec_lo, s2
	s_cbranch_vccz .LBB66_3
	s_branch .LBB66_4
.LBB66_15:
.LBB66_16:
	v_mov_b32_e32 v10, 0
	v_cmp_ne_u32_e64 s3, 0, v9
	v_cmp_eq_u32_e64 s2, 0, v9
	s_mov_b32 s16, 0
	s_delay_alu instid0(VALU_DEP_1)
	s_and_saveexec_b32 s17, s2
	s_cbranch_execz .LBB66_23
; %bb.17:
	v_cmp_gt_i32_e64 s35, s33, v8
	s_mov_b32 s34, exec_lo
                                        ; implicit-def: $sgpr36
	v_cmpx_le_i32_e64 s33, v8
	s_cbranch_execz .LBB66_19
; %bb.18:
	s_load_b32 s36, s[0:1], 0x90
	s_waitcnt lgkmcnt(0)
	s_add_i32 s36, s36, -1
	s_delay_alu instid0(SALU_CYCLE_1)
	s_cmp_lt_u32 s14, s36
	s_cselect_b32 s36, -1, 0
	s_and_not1_b32 s35, s35, exec_lo
	s_and_b32 s37, s36, exec_lo
	s_mov_b32 s36, 0
	s_or_b32 s35, s35, s37
.LBB66_19:
	s_or_b32 exec_lo, exec_lo, s34
	v_mov_b32_e32 v10, s36
	s_and_saveexec_b32 s34, s35
	s_cbranch_execz .LBB66_22
; %bb.20:
	v_mad_u64_u32 v[0:1], null, v8, s4, 0
	s_mul_i32 s7, s15, s7
	s_mul_hi_u32 s35, s15, s6
	s_mul_i32 s6, s15, s6
	s_add_i32 s7, s35, s7
	s_mul_i32 s36, s10, s5
	s_lshl_b64 s[6:7], s[6:7], 2
	s_delay_alu instid0(VALU_DEP_1)
	v_mad_u64_u32 v[2:3], null, v8, s5, v[1:2]
	s_add_u32 s28, s28, s6
	s_addc_u32 s29, s29, s7
	s_lshl_b64 s[6:7], s[30:31], 2
	s_mul_hi_u32 s5, s10, s4
	s_add_u32 s6, s28, s6
	s_mul_i32 s30, s11, s4
	s_delay_alu instid0(VALU_DEP_1)
	v_dual_mov_b32 v1, v2 :: v_dual_mov_b32 v10, 0
	s_addc_u32 s7, s29, s7
	s_add_i32 s5, s5, s36
	s_mul_i32 s4, s10, s4
	s_add_i32 s5, s5, s30
	v_lshlrev_b64 v[0:1], 2, v[0:1]
	s_lshl_b64 s[4:5], s[4:5], 2
	s_delay_alu instid0(SALU_CYCLE_1) | instskip(SKIP_1) | instid1(VALU_DEP_1)
	s_add_u32 s4, s6, s4
	s_addc_u32 s5, s7, s5
	v_add_co_u32 v0, vcc_lo, s4, v0
	s_delay_alu instid0(VALU_DEP_2)
	v_add_co_ci_u32_e32 v1, vcc_lo, s5, v1, vcc_lo
	v_cmp_eq_f32_e64 s4, s8, 0
	global_load_b32 v0, v[0:1], off
	v_lshlrev_b32_e32 v1, 2, v8
	s_and_b32 vcc_lo, exec_lo, s4
	s_waitcnt vmcnt(0)
	ds_store_b32 v1, v0 offset:6144
	s_cbranch_vccnz .LBB66_22
; %bb.21:
	v_mad_u64_u32 v[0:1], null, v8, s18, 0
	s_delay_alu instid0(VALU_DEP_1) | instskip(NEXT) | instid1(VALU_DEP_1)
	v_mad_u64_u32 v[2:3], null, v8, s19, v[1:2]
	v_mov_b32_e32 v1, v2
	s_delay_alu instid0(VALU_DEP_1) | instskip(NEXT) | instid1(VALU_DEP_1)
	v_lshlrev_b64 v[0:1], 2, v[0:1]
	v_add_co_u32 v0, vcc_lo, s9, v0
	s_delay_alu instid0(VALU_DEP_2)
	v_add_co_ci_u32_e32 v1, vcc_lo, s13, v1, vcc_lo
	global_load_b32 v0, v[0:1], off
	s_waitcnt vmcnt(0)
	v_mul_f32_e32 v10, s8, v0
.LBB66_22:
	s_or_b32 exec_lo, exec_lo, s34
.LBB66_23:
	s_delay_alu instid0(SALU_CYCLE_1)
	s_or_b32 exec_lo, exec_lo, s17
	v_mad_u64_u32 v[0:1], null, v9, s24, 0
	s_mul_i32 s5, s15, s27
	s_mul_hi_u32 s6, s15, s26
	s_mul_i32 s4, s15, s26
	s_add_i32 s5, s6, s5
	v_lshl_add_u32 v14, v9, 5, v8
	s_lshl_b64 s[6:7], s[4:5], 2
	s_delay_alu instid0(VALU_DEP_2)
	v_mad_u64_u32 v[2:3], null, v9, s25, v[1:2]
	s_add_u32 s15, s20, s6
	s_addc_u32 s17, s21, s7
	s_lshl_b64 s[4:5], s[22:23], 2
	s_load_b32 s22, s[0:1], 0x90
	s_add_u32 s15, s15, s4
	s_addc_u32 s17, s17, s5
	s_add_u32 s0, s24, 1
	v_dual_mov_b32 v1, v2 :: v_dual_lshlrev_b32 v12, 2, v14
	s_addc_u32 s1, s25, 0
	s_mul_i32 s11, s0, s11
	s_mul_hi_u32 s23, s0, s10
	s_mul_i32 s1, s1, s10
	s_add_i32 s11, s23, s11
	s_mul_i32 s0, s0, s10
	s_add_i32 s1, s11, s1
	v_lshlrev_b64 v[0:1], 2, v[0:1]
	s_lshl_b64 s[0:1], s[0:1], 2
	v_lshlrev_b32_e32 v11, 2, v8
	s_add_u32 s10, s15, s0
	s_addc_u32 s11, s17, s1
	v_add_nc_u32_e32 v13, 16, v9
	v_add_co_u32 v15, vcc_lo, s10, v0
	v_add_co_ci_u32_e32 v16, vcc_lo, s11, v1, vcc_lo
	s_waitcnt lgkmcnt(0)
	s_add_i32 s15, s22, -1
	s_delay_alu instid0(VALU_DEP_2) | instskip(NEXT) | instid1(VALU_DEP_2)
	v_add_co_u32 v0, vcc_lo, v15, v11
	v_add_co_ci_u32_e32 v1, vcc_lo, 0, v16, vcc_lo
	s_cmp_eq_u32 s14, s15
	s_mov_b32 s10, -1
	s_cbranch_scc1 .LBB66_26
; %bb.24:
	s_lshl_b64 s[10:11], s[24:25], 5
	s_mov_b32 s16, -1
	v_add_co_u32 v2, vcc_lo, v0, s10
	v_add_co_ci_u32_e32 v3, vcc_lo, s11, v1, vcc_lo
	s_delay_alu instid0(VALU_DEP_2) | instskip(NEXT) | instid1(VALU_DEP_2)
	v_add_co_u32 v4, vcc_lo, v2, s10
	v_add_co_ci_u32_e32 v5, vcc_lo, s11, v3, vcc_lo
	s_clause 0x1
	global_load_b32 v17, v[0:1], off
	global_load_b32 v18, v[2:3], off
	;; [unrolled: 1-line block ×3, first 2 shown]
	v_mad_u64_u32 v[2:3], null, 0x60, s24, v[0:1]
	v_add_nc_u32_e32 v5, 16, v9
	s_delay_alu instid0(VALU_DEP_2) | instskip(NEXT) | instid1(VALU_DEP_2)
	v_mad_u64_u32 v[6:7], null, 0x60, s25, v[3:4]
	v_lshlrev_b32_e32 v3, 5, v5
	v_lshlrev_b32_e32 v7, 2, v14
	v_add_nc_u32_e32 v4, 0x300, v14
	s_delay_alu instid0(VALU_DEP_3)
	v_add_lshl_u32 v20, v3, v8, 2
	v_mov_b32_e32 v3, v6
	s_waitcnt vmcnt(1)
	ds_store_2addr_stride64_b32 v7, v17, v18 offset1:4
	s_waitcnt vmcnt(0)
	ds_store_b32 v20, v19
	s_cbranch_execz .LBB66_27
.LBB66_25:
                                        ; implicit-def: $vgpr13
	s_and_saveexec_b32 s0, s16
	s_cbranch_execnz .LBB66_41
	s_branch .LBB66_42
.LBB66_26:
                                        ; implicit-def: $vgpr5
                                        ; implicit-def: $vgpr2_vgpr3
                                        ; implicit-def: $vgpr4
	s_and_not1_b32 vcc_lo, exec_lo, s10
	s_cbranch_vccnz .LBB66_25
.LBB66_27:
	v_dual_mov_b32 v2, 0 :: v_dual_lshlrev_b32 v3, 5, v13
	v_cmp_gt_i32_e32 vcc_lo, s33, v8
	s_delay_alu instid0(VALU_DEP_2)
	v_add_lshl_u32 v3, v3, v8, 2
	ds_store_2addr_stride64_b32 v12, v2, v2 offset1:4
	s_or_b32 s3, s3, vcc_lo
	ds_store_b32 v3, v2
	ds_store_b32 v12, v2 offset:3072
	s_xor_b32 s10, s3, -1
	s_delay_alu instid0(SALU_CYCLE_1)
	s_and_saveexec_b32 s3, s10
	s_cbranch_execz .LBB66_29
; %bb.28:
	ds_store_b32 v11, v2 offset:6144
.LBB66_29:
	s_or_b32 exec_lo, exec_lo, s3
                                        ; implicit-def: $vgpr5
                                        ; implicit-def: $vgpr2_vgpr3
                                        ; implicit-def: $vgpr4
	s_and_saveexec_b32 s3, vcc_lo
	s_cbranch_execz .LBB66_40
; %bb.30:
	s_cmp_lt_u32 s33, 8
	s_mov_b32 s17, 0
	s_cbranch_scc1 .LBB66_37
; %bb.31:
	s_lshr_b32 s17, s33, 3
	s_mov_b32 s22, 0
	s_add_i32 s10, s17, -1
	s_delay_alu instid0(SALU_CYCLE_1)
	s_cmp_lt_u32 s10, 3
	s_cbranch_scc1 .LBB66_34
; %bb.32:
	v_lshlrev_b32_e32 v2, 2, v9
	s_and_b32 s22, s17, 0x1ffffffc
	s_add_u32 s10, s0, s6
	s_addc_u32 s11, s1, s7
	s_add_u32 s23, s20, s4
	v_add_nc_u32_e32 v19, 0x60, v2
	v_add_nc_u32_e32 v20, 64, v2
	s_addc_u32 s26, s21, s5
	v_add_nc_u32_e32 v21, 32, v2
	s_add_u32 s10, s23, s10
	s_addc_u32 s11, s26, s11
	s_mov_b32 s23, 0
	v_mad_u64_u32 v[2:3], null, s24, v19, s[10:11]
	v_mad_u64_u32 v[4:5], null, s24, v20, s[10:11]
	;; [unrolled: 1-line block ×3, first 2 shown]
	s_lshl_b64 s[10:11], s[24:25], 7
	s_delay_alu instid0(VALU_DEP_2) | instskip(NEXT) | instid1(VALU_DEP_2)
	v_mad_u64_u32 v[17:18], null, s25, v19, v[3:4]
	v_mad_u64_u32 v[18:19], null, s25, v20, v[5:6]
	s_delay_alu instid0(VALU_DEP_3) | instskip(NEXT) | instid1(VALU_DEP_3)
	v_mad_u64_u32 v[19:20], null, s25, v21, v[7:8]
	v_mov_b32_e32 v3, v17
	v_mov_b32_e32 v17, v12
	s_delay_alu instid0(VALU_DEP_4) | instskip(NEXT) | instid1(VALU_DEP_4)
	v_mov_b32_e32 v5, v18
	v_mov_b32_e32 v7, v19
	s_set_inst_prefetch_distance 0x1
	.p2align	6
.LBB66_33:                              ; =>This Inner Loop Header: Depth=1
	v_add_co_u32 v18, vcc_lo, v15, v11
	v_add_co_ci_u32_e32 v19, vcc_lo, 0, v16, vcc_lo
	v_add_co_u32 v20, vcc_lo, v6, v11
	v_add_co_ci_u32_e32 v21, vcc_lo, 0, v7, vcc_lo
	;; [unrolled: 2-line block ×4, first 2 shown]
	global_load_b32 v18, v[18:19], off
	global_load_b32 v19, v[20:21], off
	;; [unrolled: 1-line block ×4, first 2 shown]
	v_add_co_u32 v2, vcc_lo, v2, s10
	v_add_co_ci_u32_e32 v3, vcc_lo, s11, v3, vcc_lo
	v_add_co_u32 v4, vcc_lo, v4, s10
	v_add_co_ci_u32_e32 v5, vcc_lo, s11, v5, vcc_lo
	;; [unrolled: 2-line block ×4, first 2 shown]
	s_add_i32 s23, s23, 4
	s_waitcnt vmcnt(2)
	ds_store_2addr_stride64_b32 v17, v18, v19 offset1:4
	s_waitcnt vmcnt(0)
	ds_store_2addr_stride64_b32 v17, v20, v21 offset0:8 offset1:12
	v_add_nc_u32_e32 v17, 0x1000, v17
	s_cmp_lg_u32 s22, s23
	s_cbranch_scc1 .LBB66_33
.LBB66_34:
	s_set_inst_prefetch_distance 0x2
	s_bfe_u32 s23, s33, 0x20003
	s_mov_b32 s11, 0
	s_cmp_eq_u32 s23, 0
	s_cbranch_scc1 .LBB66_37
; %bb.35:
	s_lshl_b32 s26, s22, 10
	s_add_u32 s6, s0, s6
	v_lshlrev_b32_e32 v2, 2, v9
	s_addc_u32 s7, s1, s7
	s_lshl_b32 s10, s22, 3
	s_delay_alu instid0(SALU_CYCLE_1)
	s_lshl_b64 s[0:1], s[10:11], 2
	s_delay_alu instid0(VALU_DEP_1) | instid1(SALU_CYCLE_1)
	v_add_co_u32 v4, s0, v2, s0
	s_delay_alu instid0(VALU_DEP_1)
	v_add_co_ci_u32_e64 v5, null, 0, s1, s0
	s_add_u32 s0, s4, s6
	s_addc_u32 s1, s5, s7
	s_delay_alu instid0(VALU_DEP_2) | instid1(SALU_CYCLE_1)
	v_mad_u64_u32 v[2:3], null, s24, v4, s[0:1]
	s_delay_alu instid0(VALU_DEP_2) | instskip(SKIP_2) | instid1(VALU_DEP_3)
	v_mul_lo_u32 v5, s24, v5
	v_mul_lo_u32 v4, s25, v4
	s_lshl_b64 s[0:1], s[24:25], 5
	v_add_co_u32 v2, vcc_lo, v2, v11
	s_delay_alu instid0(VALU_DEP_2) | instskip(SKIP_1) | instid1(VALU_DEP_2)
	v_add3_u32 v3, v4, v3, v5
	v_lshlrev_b32_e32 v4, 7, v9
	v_add_co_ci_u32_e32 v3, vcc_lo, 0, v3, vcc_lo
	s_delay_alu instid0(VALU_DEP_4) | instskip(NEXT) | instid1(VALU_DEP_3)
	v_add_co_u32 v2, vcc_lo, s20, v2
	v_add3_u32 v4, s26, v4, v11
	s_delay_alu instid0(VALU_DEP_3)
	v_add_co_ci_u32_e32 v3, vcc_lo, s21, v3, vcc_lo
.LBB66_36:                              ; =>This Inner Loop Header: Depth=1
	global_load_b32 v5, v[2:3], off
	v_add_co_u32 v2, vcc_lo, v2, s0
	v_add_co_ci_u32_e32 v3, vcc_lo, s1, v3, vcc_lo
	s_add_i32 s23, s23, -1
	s_delay_alu instid0(SALU_CYCLE_1)
	s_cmp_lg_u32 s23, 0
	s_waitcnt vmcnt(0)
	ds_store_b32 v4, v5
	v_add_nc_u32_e32 v4, 0x400, v4
	s_cbranch_scc1 .LBB66_36
.LBB66_37:
	s_and_b32 s0, s33, 7
                                        ; implicit-def: $vgpr2_vgpr3
                                        ; implicit-def: $vgpr4
	s_delay_alu instid0(SALU_CYCLE_1)
	v_cmp_gt_u32_e32 vcc_lo, s0, v9
	s_mov_b32 s0, s16
	s_and_saveexec_b32 s1, vcc_lo
; %bb.38:
	s_lshl_b32 s0, s17, 3
	v_lshl_add_u32 v4, s17, 8, v14
	s_mul_i32 s5, s0, s25
	s_mul_hi_u32 s6, s0, s24
	s_mul_i32 s4, s0, s24
	s_add_i32 s5, s6, s5
	s_or_b32 s0, s16, exec_lo
	s_lshl_b64 s[4:5], s[4:5], 2
	s_delay_alu instid0(SALU_CYCLE_1)
	v_add_co_u32 v2, vcc_lo, v0, s4
	v_add_co_ci_u32_e32 v3, vcc_lo, s5, v1, vcc_lo
; %bb.39:
	s_or_b32 exec_lo, exec_lo, s1
	v_mov_b32_e32 v5, v13
	s_and_not1_b32 s1, s16, exec_lo
	s_and_b32 s0, s0, exec_lo
	s_delay_alu instid0(SALU_CYCLE_1)
	s_or_b32 s16, s1, s0
.LBB66_40:
	s_or_b32 exec_lo, exec_lo, s3
	s_and_saveexec_b32 s0, s16
	s_cbranch_execz .LBB66_42
.LBB66_41:
	global_load_b32 v0, v[2:3], off
	v_lshlrev_b32_e32 v1, 2, v4
	v_mov_b32_e32 v13, v5
	s_waitcnt vmcnt(0)
	ds_store_b32 v1, v0
.LBB66_42:
	s_or_b32 exec_lo, exec_lo, s0
	v_sub_nc_u32_e32 v0, v8, v9
	v_lshlrev_b32_e32 v1, 5, v8
	s_mov_b32 s0, exec_lo
	s_waitcnt lgkmcnt(0)
	s_waitcnt_vscnt null, 0x0
	s_barrier
	v_sub_nc_u32_e32 v2, 0, v0
	v_add_nc_u32_e32 v3, v13, v1
	buffer_gl0_inv
	v_max_i32_e32 v2, v0, v2
	v_lshlrev_b32_e32 v0, 5, v13
	v_lshlrev_b32_e32 v3, 2, v3
	s_delay_alu instid0(VALU_DEP_3)
	v_cmpx_lt_u32_e32 16, v2
	s_cbranch_execz .LBB66_44
; %bb.43:
	ds_load_b32 v4, v3
	v_add_lshl_u32 v5, v0, v8, 2
	s_waitcnt lgkmcnt(0)
	ds_store_b32 v5, v4
.LBB66_44:
	s_or_b32 exec_lo, exec_lo, s0
	s_delay_alu instid0(SALU_CYCLE_1)
	s_mov_b32 s0, exec_lo
	v_cmpx_lt_u32_e32 24, v2
	s_cbranch_execz .LBB66_46
; %bb.45:
	ds_load_b32 v3, v3 offset:32
	s_waitcnt lgkmcnt(0)
	ds_store_b32 v12, v3 offset:3072
.LBB66_46:
	s_or_b32 exec_lo, exec_lo, s0
	s_delay_alu instid0(SALU_CYCLE_1)
	s_mov_b32 s0, exec_lo
	v_cmpx_ge_u32_e64 v8, v9
	s_cbranch_execz .LBB66_48
; %bb.47:
	v_add_lshl_u32 v3, v1, v9, 2
	ds_load_b32 v3, v3
	s_waitcnt lgkmcnt(0)
	ds_store_b32 v12, v3
.LBB66_48:
	s_or_b32 exec_lo, exec_lo, s0
	v_lshlrev_b32_e32 v3, 5, v9
	v_cmp_lt_u32_e32 vcc_lo, 8, v2
	s_delay_alu instid0(VALU_DEP_2) | instskip(NEXT) | instid1(VALU_DEP_1)
	v_add3_u32 v4, v3, v8, 0x100
	v_lshlrev_b32_e32 v2, 2, v4
	s_and_saveexec_b32 s0, vcc_lo
	s_cbranch_execz .LBB66_50
; %bb.49:
	v_add_lshl_u32 v1, v9, v1, 2
	ds_load_b32 v1, v1 offset:32
	s_waitcnt lgkmcnt(0)
	ds_store_b32 v2, v1
.LBB66_50:
	s_or_b32 exec_lo, exec_lo, s0
	v_lshlrev_b32_e32 v1, 2, v9
	s_waitcnt lgkmcnt(0)
	s_barrier
	buffer_gl0_inv
	v_add_lshl_u32 v0, v0, v8, 2
	v_add_nc_u32_e32 v4, 0x1800, v1
	v_lshlrev_b32_e32 v7, 2, v13
	v_add_lshl_u32 v3, v3, v8, 2
	ds_load_2addr_b32 v[4:5], v4 offset1:8
	ds_load_b32 v6, v12
	ds_load_b32 v2, v2
	;; [unrolled: 1-line block ×3, first 2 shown]
	ds_load_b32 v7, v7 offset:6144
	ds_load_b32 v3, v3 offset:3072
	;; [unrolled: 1-line block ×3, first 2 shown]
	s_waitcnt lgkmcnt(5)
	v_fma_f32 v4, v6, v4, 0
	s_waitcnt lgkmcnt(4)
	s_delay_alu instid0(VALU_DEP_1) | instskip(SKIP_1) | instid1(VALU_DEP_1)
	v_fmac_f32_e32 v4, v2, v5
	s_waitcnt lgkmcnt(2)
	v_fmac_f32_e32 v4, v0, v7
	s_waitcnt lgkmcnt(0)
	s_delay_alu instid0(VALU_DEP_1)
	v_fmac_f32_e32 v4, v3, v1
	ds_store_b32 v12, v4 offset:4096
	s_waitcnt lgkmcnt(0)
	s_barrier
	buffer_gl0_inv
	s_and_saveexec_b32 s0, s2
	s_cbranch_execz .LBB66_12
; %bb.51:
	v_cmp_gt_i32_e32 vcc_lo, s33, v8
	s_cmp_lt_u32 s14, s15
	s_cselect_b32 s0, -1, 0
	s_delay_alu instid0(SALU_CYCLE_1) | instskip(NEXT) | instid1(SALU_CYCLE_1)
	s_or_b32 s0, vcc_lo, s0
	s_and_b32 exec_lo, exec_lo, s0
	s_cbranch_execz .LBB66_12
; %bb.52:
	v_add_nc_u32_e32 v6, 0x1000, v11
	v_cmp_neq_f32_e64 vcc_lo, s8, 0
	ds_load_2addr_b32 v[0:1], v6 offset1:32
	ds_load_2addr_b32 v[2:3], v6 offset0:64 offset1:96
	ds_load_2addr_b32 v[4:5], v6 offset0:128 offset1:160
	s_waitcnt lgkmcnt(2)
	v_add_f32_e32 v0, 0, v0
	s_delay_alu instid0(VALU_DEP_1) | instskip(SKIP_1) | instid1(VALU_DEP_1)
	v_add_f32_e32 v0, v0, v1
	s_waitcnt lgkmcnt(1)
	v_add_f32_e32 v2, v0, v2
	ds_load_2addr_b32 v[0:1], v6 offset0:192 offset1:224
	v_add_f32_e32 v6, v2, v3
	v_mad_u64_u32 v[2:3], null, v8, s18, 0
	s_waitcnt lgkmcnt(1)
	s_delay_alu instid0(VALU_DEP_2) | instskip(NEXT) | instid1(VALU_DEP_1)
	v_add_f32_e32 v4, v6, v4
	v_add_f32_e32 v6, v4, v5
	s_delay_alu instid0(VALU_DEP_3) | instskip(SKIP_1) | instid1(VALU_DEP_1)
	v_mad_u64_u32 v[4:5], null, v8, s19, v[3:4]
	s_waitcnt lgkmcnt(0)
	v_dual_add_f32 v0, v6, v0 :: v_dual_mov_b32 v3, v4
	s_delay_alu instid0(VALU_DEP_1) | instskip(NEXT) | instid1(VALU_DEP_1)
	v_add_f32_e32 v0, v0, v1
	v_mul_f32_e32 v4, s12, v0
	v_fmac_f32_e32 v10, s12, v0
	s_delay_alu instid0(VALU_DEP_4) | instskip(NEXT) | instid1(VALU_DEP_2)
	v_lshlrev_b64 v[0:1], 2, v[2:3]
	v_cndmask_b32_e32 v2, v4, v10, vcc_lo
	s_delay_alu instid0(VALU_DEP_2) | instskip(NEXT) | instid1(VALU_DEP_3)
	v_add_co_u32 v0, vcc_lo, s9, v0
	v_add_co_ci_u32_e32 v1, vcc_lo, s13, v1, vcc_lo
	global_store_b32 v[0:1], v2, off
	s_nop 0
	s_sendmsg sendmsg(MSG_DEALLOC_VGPRS)
	s_endpgm
	.section	.rodata,"a",@progbits
	.p2align	6, 0x0
	.amdhsa_kernel _ZL58rocblas_symv_kernel_upper_double_buffered_diagonal_genericILi32ELi8E24rocblas_internal_val_ptrIfEPKfPfEvbiT1_lT2_lllS6_lllS5_lT3_lllii
		.amdhsa_group_segment_fixed_size 6272
		.amdhsa_private_segment_fixed_size 0
		.amdhsa_kernarg_size 400
		.amdhsa_user_sgpr_count 14
		.amdhsa_user_sgpr_dispatch_ptr 0
		.amdhsa_user_sgpr_queue_ptr 0
		.amdhsa_user_sgpr_kernarg_segment_ptr 1
		.amdhsa_user_sgpr_dispatch_id 0
		.amdhsa_user_sgpr_private_segment_size 0
		.amdhsa_wavefront_size32 1
		.amdhsa_uses_dynamic_stack 0
		.amdhsa_enable_private_segment 0
		.amdhsa_system_sgpr_workgroup_id_x 1
		.amdhsa_system_sgpr_workgroup_id_y 0
		.amdhsa_system_sgpr_workgroup_id_z 1
		.amdhsa_system_sgpr_workgroup_info 0
		.amdhsa_system_vgpr_workitem_id 1
		.amdhsa_next_free_vgpr 26
		.amdhsa_next_free_sgpr 38
		.amdhsa_reserve_vcc 1
		.amdhsa_float_round_mode_32 0
		.amdhsa_float_round_mode_16_64 0
		.amdhsa_float_denorm_mode_32 3
		.amdhsa_float_denorm_mode_16_64 3
		.amdhsa_dx10_clamp 1
		.amdhsa_ieee_mode 1
		.amdhsa_fp16_overflow 0
		.amdhsa_workgroup_processor_mode 1
		.amdhsa_memory_ordered 1
		.amdhsa_forward_progress 0
		.amdhsa_shared_vgpr_count 0
		.amdhsa_exception_fp_ieee_invalid_op 0
		.amdhsa_exception_fp_denorm_src 0
		.amdhsa_exception_fp_ieee_div_zero 0
		.amdhsa_exception_fp_ieee_overflow 0
		.amdhsa_exception_fp_ieee_underflow 0
		.amdhsa_exception_fp_ieee_inexact 0
		.amdhsa_exception_int_div_zero 0
	.end_amdhsa_kernel
	.section	.text._ZL58rocblas_symv_kernel_upper_double_buffered_diagonal_genericILi32ELi8E24rocblas_internal_val_ptrIfEPKfPfEvbiT1_lT2_lllS6_lllS5_lT3_lllii,"axG",@progbits,_ZL58rocblas_symv_kernel_upper_double_buffered_diagonal_genericILi32ELi8E24rocblas_internal_val_ptrIfEPKfPfEvbiT1_lT2_lllS6_lllS5_lT3_lllii,comdat
.Lfunc_end66:
	.size	_ZL58rocblas_symv_kernel_upper_double_buffered_diagonal_genericILi32ELi8E24rocblas_internal_val_ptrIfEPKfPfEvbiT1_lT2_lllS6_lllS5_lT3_lllii, .Lfunc_end66-_ZL58rocblas_symv_kernel_upper_double_buffered_diagonal_genericILi32ELi8E24rocblas_internal_val_ptrIfEPKfPfEvbiT1_lT2_lllS6_lllS5_lT3_lllii
                                        ; -- End function
	.section	.AMDGPU.csdata,"",@progbits
; Kernel info:
; codeLenInByte = 2816
; NumSgprs: 40
; NumVgprs: 26
; ScratchSize: 0
; MemoryBound: 0
; FloatMode: 240
; IeeeMode: 1
; LDSByteSize: 6272 bytes/workgroup (compile time only)
; SGPRBlocks: 4
; VGPRBlocks: 3
; NumSGPRsForWavesPerEU: 40
; NumVGPRsForWavesPerEU: 26
; Occupancy: 16
; WaveLimiterHint : 0
; COMPUTE_PGM_RSRC2:SCRATCH_EN: 0
; COMPUTE_PGM_RSRC2:USER_SGPR: 14
; COMPUTE_PGM_RSRC2:TRAP_HANDLER: 0
; COMPUTE_PGM_RSRC2:TGID_X_EN: 1
; COMPUTE_PGM_RSRC2:TGID_Y_EN: 0
; COMPUTE_PGM_RSRC2:TGID_Z_EN: 1
; COMPUTE_PGM_RSRC2:TIDIG_COMP_CNT: 1
	.section	.text._ZL62rocblas_symv_kernel_upper_double_buffered_non_diagonal_genericILi32ELi8ELi2ELi0E24rocblas_internal_val_ptrIfEPKfPfEvbiT3_lT4_lllS6_lllT5_lllii,"axG",@progbits,_ZL62rocblas_symv_kernel_upper_double_buffered_non_diagonal_genericILi32ELi8ELi2ELi0E24rocblas_internal_val_ptrIfEPKfPfEvbiT3_lT4_lllS6_lllT5_lllii,comdat
	.globl	_ZL62rocblas_symv_kernel_upper_double_buffered_non_diagonal_genericILi32ELi8ELi2ELi0E24rocblas_internal_val_ptrIfEPKfPfEvbiT3_lT4_lllS6_lllT5_lllii ; -- Begin function _ZL62rocblas_symv_kernel_upper_double_buffered_non_diagonal_genericILi32ELi8ELi2ELi0E24rocblas_internal_val_ptrIfEPKfPfEvbiT3_lT4_lllS6_lllT5_lllii
	.p2align	8
	.type	_ZL62rocblas_symv_kernel_upper_double_buffered_non_diagonal_genericILi32ELi8ELi2ELi0E24rocblas_internal_val_ptrIfEPKfPfEvbiT3_lT4_lllS6_lllT5_lllii,@function
_ZL62rocblas_symv_kernel_upper_double_buffered_non_diagonal_genericILi32ELi8ELi2ELi0E24rocblas_internal_val_ptrIfEPKfPfEvbiT3_lT4_lllS6_lllT5_lllii: ; @_ZL62rocblas_symv_kernel_upper_double_buffered_non_diagonal_genericILi32ELi8ELi2ELi0E24rocblas_internal_val_ptrIfEPKfPfEvbiT3_lT4_lllS6_lllT5_lllii
; %bb.0:
	s_clause 0x1
	s_load_b32 s2, s[0:1], 0x0
	s_load_b512 s[16:31], s[0:1], 0x8
	s_waitcnt lgkmcnt(0)
	s_bitcmp0_b32 s2, 0
	s_mov_b32 s2, 0
	s_cbranch_scc0 .LBB67_2
; %bb.1:
	s_mul_i32 s3, s15, s19
	s_mul_hi_u32 s4, s15, s18
	s_delay_alu instid0(SALU_CYCLE_1) | instskip(SKIP_1) | instid1(SALU_CYCLE_1)
	s_add_i32 s5, s4, s3
	s_mul_i32 s4, s15, s18
	s_lshl_b64 s[4:5], s[4:5], 2
	s_delay_alu instid0(SALU_CYCLE_1)
	s_add_u32 s4, s16, s4
	s_addc_u32 s5, s17, s5
	s_load_b32 s12, s[4:5], 0x0
	s_and_not1_b32 vcc_lo, exec_lo, s2
	s_cbranch_vccz .LBB67_3
	s_branch .LBB67_4
.LBB67_2:
                                        ; implicit-def: $sgpr12
.LBB67_3:
	s_waitcnt lgkmcnt(0)
	s_mov_b32 s12, s16
.LBB67_4:
	s_waitcnt lgkmcnt(0)
	v_cmp_eq_f32_e64 s2, s12, 0
	s_delay_alu instid0(VALU_DEP_1)
	s_and_b32 vcc_lo, exec_lo, s2
	s_cbranch_vccnz .LBB67_42
; %bb.5:
	s_load_b32 s5, s[0:1], 0x84
	s_add_u32 s2, s0, 0x80
	s_addc_u32 s3, s1, 0
	s_cmp_eq_u32 s13, 0
	s_waitcnt lgkmcnt(0)
	v_cvt_f32_u32_e32 v1, s5
	s_delay_alu instid0(VALU_DEP_1) | instskip(SKIP_2) | instid1(VALU_DEP_1)
	v_rcp_iflag_f32_e32 v1, v1
	s_waitcnt_depctr 0xfff
	v_mul_f32_e32 v1, 0x4f7ffffe, v1
	v_cvt_u32_f32_e32 v1, v1
	s_delay_alu instid0(VALU_DEP_1)
	v_readfirstlane_b32 s4, v1
	s_cbranch_scc1 .LBB67_42
; %bb.6:
	s_sub_i32 s6, 0, s5
	s_delay_alu instid0(VALU_DEP_1) | instid1(SALU_CYCLE_1)
	s_mul_i32 s6, s6, s4
	s_delay_alu instid0(SALU_CYCLE_1) | instskip(NEXT) | instid1(SALU_CYCLE_1)
	s_mul_hi_u32 s6, s4, s6
	s_add_i32 s4, s4, s6
	s_delay_alu instid0(SALU_CYCLE_1) | instskip(NEXT) | instid1(SALU_CYCLE_1)
	s_mul_hi_u32 s4, s13, s4
	s_mul_i32 s6, s4, s5
	s_add_i32 s7, s4, 1
	s_sub_i32 s6, s13, s6
	s_delay_alu instid0(SALU_CYCLE_1)
	s_sub_i32 s8, s6, s5
	s_cmp_ge_u32 s6, s5
	s_cselect_b32 s4, s7, s4
	s_cselect_b32 s6, s8, s6
	s_add_i32 s7, s4, 1
	s_cmp_ge_u32 s6, s5
	s_cselect_b32 s4, s7, s4
	s_add_i32 s6, s5, -1
	s_mov_b32 s33, s4
	s_cmp_lg_u32 s14, s6
	s_cbranch_scc1 .LBB67_8
; %bb.7:
	s_mul_i32 s5, s4, s5
	s_delay_alu instid0(SALU_CYCLE_1) | instskip(NEXT) | instid1(SALU_CYCLE_1)
	s_sub_i32 s5, s13, s5
	s_add_i32 s33, s5, s4
.LBB67_8:
	s_delay_alu instid0(SALU_CYCLE_1)
	s_cmp_eq_u32 s33, 0
	s_cbranch_scc1 .LBB67_42
; %bb.9:
	s_clause 0x1
	s_load_b128 s[8:11], s[0:1], 0x48
	s_load_b32 s19, s[0:1], 0x78
	v_and_b32_e32 v21, 0x3ff, v0
	v_bfe_u32 v1, v0, 10, 10
	s_delay_alu instid0(VALU_DEP_2) | instskip(NEXT) | instid1(VALU_DEP_2)
	v_and_b32_e32 v0, 15, v21
	v_lshl_add_u32 v2, v1, 5, v21
	s_delay_alu instid0(VALU_DEP_1)
	v_lshrrev_b32_e32 v5, 4, v2
	s_waitcnt lgkmcnt(0)
	s_mul_i32 s5, s15, s11
	s_mul_hi_u32 s7, s15, s10
	s_mul_i32 s6, s15, s10
	s_add_i32 s7, s7, s5
	s_load_b32 s5, s[2:3], 0x0
	s_lshl_b64 s[6:7], s[6:7], 2
	s_mov_b32 s10, -1
	s_add_u32 s6, s28, s6
	s_addc_u32 s7, s29, s7
	s_lshl_b64 s[2:3], s[30:31], 2
	s_delay_alu instid0(SALU_CYCLE_1) | instskip(SKIP_2) | instid1(SALU_CYCLE_1)
	s_add_u32 s29, s6, s2
	s_addc_u32 s30, s7, s3
	s_lshl_b32 s3, s13, 5
	s_mul_i32 s2, s3, s9
	s_mul_hi_u32 s6, s3, s8
	s_ashr_i32 s18, s3, 31
	s_add_i32 s2, s6, s2
	s_mul_i32 s7, s18, s8
	s_mul_i32 s6, s3, s8
	s_add_i32 s7, s2, s7
	v_cmp_eq_u32_e64 s2, 0, v1
	s_lshl_b64 s[6:7], s[6:7], 2
	s_delay_alu instid0(SALU_CYCLE_1) | instskip(SKIP_3) | instid1(SALU_CYCLE_1)
	s_add_u32 s6, s29, s6
	s_addc_u32 s7, s30, s7
	s_waitcnt lgkmcnt(0)
	s_add_i32 s28, s5, -1
	s_cmp_lg_u32 s13, s28
	s_cselect_b32 s5, -1, 0
	s_delay_alu instid0(SALU_CYCLE_1)
	s_and_b32 vcc_lo, exec_lo, s5
	s_cbranch_vccnz .LBB67_15
; %bb.10:
	s_and_saveexec_b32 s10, s2
	s_cbranch_execz .LBB67_14
; %bb.11:
	v_mov_b32_e32 v1, 0
	s_mov_b32 s11, exec_lo
	v_cmpx_gt_i32_e64 s19, v21
	s_cbranch_execz .LBB67_13
; %bb.12:
	v_mad_u64_u32 v[1:2], null, v21, s8, 0
	s_delay_alu instid0(VALU_DEP_1) | instskip(NEXT) | instid1(VALU_DEP_1)
	v_mad_u64_u32 v[3:4], null, v21, s9, v[2:3]
	v_mov_b32_e32 v2, v3
	s_delay_alu instid0(VALU_DEP_1) | instskip(NEXT) | instid1(VALU_DEP_1)
	v_lshlrev_b64 v[1:2], 2, v[1:2]
	v_add_co_u32 v1, vcc_lo, s6, v1
	s_delay_alu instid0(VALU_DEP_2)
	v_add_co_ci_u32_e32 v2, vcc_lo, s7, v2, vcc_lo
	global_load_b32 v1, v[1:2], off
.LBB67_13:
	s_or_b32 exec_lo, exec_lo, s11
	v_lshlrev_b32_e32 v2, 2, v21
	s_waitcnt vmcnt(0)
	ds_store_b32 v2, v1 offset:4096
.LBB67_14:
	s_or_b32 exec_lo, exec_lo, s10
	v_dual_mov_b32 v2, 0 :: v_dual_lshlrev_b32 v1, 2, v0
	s_mov_b32 s10, 0
	s_delay_alu instid0(VALU_DEP_1) | instskip(NEXT) | instid1(VALU_DEP_1)
	v_lshl_or_b32 v1, v5, 7, v1
	v_add_nc_u32_e32 v3, 0x800, v1
	ds_store_2addr_b32 v1, v2, v2 offset1:16
	ds_store_2addr_b32 v3, v2, v2 offset1:16
.LBB67_15:
	s_load_b64 s[16:17], s[0:1], 0x58
	s_and_b32 vcc_lo, exec_lo, s10
	s_cbranch_vccz .LBB67_19
; %bb.16:
	s_and_saveexec_b32 s10, s2
	s_cbranch_execz .LBB67_18
; %bb.17:
	v_mad_u64_u32 v[1:2], null, v21, s8, 0
	s_delay_alu instid0(VALU_DEP_1) | instskip(NEXT) | instid1(VALU_DEP_1)
	v_mad_u64_u32 v[3:4], null, v21, s9, v[2:3]
	v_mov_b32_e32 v2, v3
	s_delay_alu instid0(VALU_DEP_1) | instskip(NEXT) | instid1(VALU_DEP_1)
	v_lshlrev_b64 v[1:2], 2, v[1:2]
	v_add_co_u32 v1, vcc_lo, s6, v1
	s_delay_alu instid0(VALU_DEP_2)
	v_add_co_ci_u32_e32 v2, vcc_lo, s7, v2, vcc_lo
	global_load_b32 v1, v[1:2], off
	v_lshlrev_b32_e32 v2, 2, v21
	s_waitcnt vmcnt(0)
	ds_store_b32 v2, v1 offset:4096
.LBB67_18:
	s_or_b32 exec_lo, exec_lo, s10
.LBB67_19:
	s_mul_i32 s6, s15, s27
	s_mul_hi_u32 s7, s15, s26
	s_lshr_b32 s10, s19, 31
	s_add_i32 s7, s7, s6
	s_mul_i32 s6, s15, s26
	s_add_i32 s10, s19, s10
	s_lshl_b64 s[6:7], s[6:7], 2
	s_ashr_i32 s26, s10, 1
	s_add_u32 s10, s20, s6
	s_addc_u32 s11, s21, s7
	s_lshl_b64 s[6:7], s[22:23], 2
	s_mul_i32 s14, s14, s4
	s_add_u32 s10, s10, s6
	s_addc_u32 s11, s11, s7
	s_mul_i32 s6, s3, s25
	s_mul_hi_u32 s7, s3, s24
	v_lshlrev_b32_e32 v9, 1, v5
	s_add_i32 s6, s7, s6
	s_mul_i32 s7, s18, s24
	v_cmp_gt_i32_e32 vcc_lo, s26, v5
	s_add_i32 s7, s6, s7
	s_mul_i32 s6, s3, s24
	s_waitcnt lgkmcnt(0)
	s_lshl_b64 s[6:7], s[6:7], 2
	s_barrier
	s_add_u32 s20, s10, s6
	s_addc_u32 s21, s11, s7
	s_lshl_b32 s10, s14, 5
	buffer_gl0_inv
	s_ashr_i32 s11, s10, 31
	s_delay_alu instid0(SALU_CYCLE_1) | instskip(NEXT) | instid1(SALU_CYCLE_1)
	s_lshl_b64 s[6:7], s[10:11], 2
	s_add_u32 s20, s20, s6
	s_mov_b32 s6, 0
	s_addc_u32 s21, s21, s7
	s_mov_b32 s7, s6
	v_mov_b32_e32 v1, 0
	s_or_b32 s22, s5, vcc_lo
	s_delay_alu instid0(VALU_DEP_1) | instskip(NEXT) | instid1(VALU_DEP_1)
	v_mad_u64_u32 v[7:8], null, v9, s24, v[0:1]
	v_mov_b32_e32 v1, v8
	s_delay_alu instid0(VALU_DEP_1) | instskip(SKIP_1) | instid1(VALU_DEP_2)
	v_mad_u64_u32 v[2:3], null, v9, s25, v[1:2]
	v_dual_mov_b32 v3, s6 :: v_dual_mov_b32 v4, s7
	v_mov_b32_e32 v8, v2
	s_delay_alu instid0(VALU_DEP_1)
	v_lshlrev_b64 v[1:2], 2, v[7:8]
	s_and_saveexec_b32 s4, s22
; %bb.20:
	s_delay_alu instid0(VALU_DEP_1) | instskip(NEXT) | instid1(VALU_DEP_2)
	v_add_co_u32 v3, vcc_lo, s20, v1
	v_add_co_ci_u32_e32 v4, vcc_lo, s21, v2, vcc_lo
	s_lshl_b64 s[6:7], s[24:25], 2
	s_delay_alu instid0(VALU_DEP_2) | instid1(SALU_CYCLE_1)
	v_add_co_u32 v10, vcc_lo, v3, s6
	s_delay_alu instid0(VALU_DEP_2)
	v_add_co_ci_u32_e32 v11, vcc_lo, s7, v4, vcc_lo
	s_clause 0x1
	global_load_b32 v3, v[3:4], off
	global_load_b32 v4, v[10:11], off
; %bb.21:
	s_or_b32 exec_lo, exec_lo, s4
	s_clause 0x1
	s_load_b64 s[26:27], s[0:1], 0x70
	s_load_b128 s[4:7], s[0:1], 0x60
	v_lshl_or_b32 v22, v5, 5, v0
	s_waitcnt lgkmcnt(0)
	s_mul_i32 s1, s15, s27
	s_mul_hi_u32 s14, s15, s26
	s_mul_i32 s0, s15, s26
	s_add_i32 s1, s14, s1
	s_delay_alu instid0(SALU_CYCLE_1) | instskip(NEXT) | instid1(SALU_CYCLE_1)
	s_lshl_b64 s[0:1], s[0:1], 2
	s_add_u32 s14, s16, s0
	s_addc_u32 s15, s17, s1
	s_lshl_b64 s[0:1], s[4:5], 2
	s_delay_alu instid0(SALU_CYCLE_1)
	s_add_u32 s14, s14, s0
	s_addc_u32 s15, s15, s1
	s_cmp_gt_i32 s33, 0
	s_cbranch_scc1 .LBB67_23
; %bb.22:
	v_lshl_or_b32 v5, v5, 5, v0
	s_mov_b32 s1, 0
	s_delay_alu instid0(VALU_DEP_1)
	v_or_b32_e32 v23, 16, v5
	v_mov_b32_e32 v27, s1
	v_mov_b32_e32 v25, s1
	s_cbranch_execz .LBB67_24
	s_branch .LBB67_38
.LBB67_23:
                                        ; implicit-def: $sgpr1
                                        ; implicit-def: $vgpr5
                                        ; implicit-def: $vgpr23
	v_mov_b32_e32 v27, s1
	v_mov_b32_e32 v25, s1
.LBB67_24:
	v_mad_u64_u32 v[5:6], null, v0, s8, 0
	s_mul_i32 s0, s10, s9
	s_mul_hi_u32 s1, s10, s8
	s_mul_i32 s4, s11, s8
	s_add_i32 s1, s1, s0
	s_mul_i32 s0, s10, s8
	s_add_i32 s1, s1, s4
	s_delay_alu instid0(VALU_DEP_1)
	v_mad_u64_u32 v[10:11], null, v0, s9, v[6:7]
	s_lshl_b64 s[0:1], s[0:1], 2
	v_or_b32_e32 v12, 16, v0
	s_add_u32 s16, s29, s0
	s_addc_u32 s17, s30, s1
	v_mad_u64_u32 v[13:14], null, v21, s6, 0
	s_delay_alu instid0(VALU_DEP_3)
	v_mov_b32_e32 v6, v10
	s_mul_i32 s0, s10, s7
	s_mul_hi_u32 s1, s10, s6
	v_lshl_add_u32 v28, v9, 2, 0x1000
	s_add_i32 s0, s1, s0
	v_lshlrev_b64 v[5:6], 2, v[5:6]
	s_mul_i32 s1, s11, s6
	v_or_b32_e32 v23, 16, v22
	s_add_i32 s1, s0, s1
	s_mul_i32 s0, s10, s6
	v_dual_mov_b32 v27, 0 :: v_dual_mov_b32 v32, 0
	v_add_co_u32 v10, vcc_lo, s16, v5
	v_add_co_ci_u32_e32 v11, vcc_lo, s17, v6, vcc_lo
	s_lshl_b64 s[0:1], s[0:1], 2
	v_mov_b32_e32 v31, 0
	s_add_u32 s4, s14, s0
	global_load_b32 v24, v[10:11], off
	v_mad_u64_u32 v[10:11], null, v12, s8, 0
	s_addc_u32 s5, s15, s1
	s_lshl_b64 s[0:1], s[8:9], 7
	s_add_i32 s10, s33, -1
	s_mov_b32 s11, 0
	v_lshlrev_b32_e32 v26, 2, v22
	v_lshlrev_b32_e32 v29, 2, v21
	s_delay_alu instid0(VALU_DEP_3) | instskip(SKIP_1) | instid1(VALU_DEP_3)
	v_mad_u64_u32 v[15:16], null, v12, s9, v[11:12]
	v_mov_b32_e32 v11, v14
	v_dual_mov_b32 v25, 0 :: v_dual_add_nc_u32 v30, 0x400, v29
	s_lshl_b64 s[8:9], s[24:25], 2
	s_delay_alu instid0(VALU_DEP_2) | instskip(NEXT) | instid1(VALU_DEP_4)
	v_mad_u64_u32 v[16:17], null, v21, s7, v[11:12]
	v_mov_b32_e32 v11, v15
	v_add_co_u32 v15, vcc_lo, v7, s24
	s_delay_alu instid0(VALU_DEP_2) | instskip(NEXT) | instid1(VALU_DEP_4)
	v_lshlrev_b64 v[9:10], 2, v[10:11]
	v_mov_b32_e32 v14, v16
	v_add_co_ci_u32_e32 v16, vcc_lo, s25, v8, vcc_lo
	v_dual_mov_b32 v8, s5 :: v_dual_mov_b32 v7, s4
	s_delay_alu instid0(VALU_DEP_3) | instskip(NEXT) | instid1(VALU_DEP_3)
	v_lshlrev_b64 v[13:14], 2, v[13:14]
	v_lshlrev_b64 v[11:12], 2, v[15:16]
	s_lshl_b64 s[4:5], s[6:7], 7
.LBB67_25:                              ; =>This Loop Header: Depth=1
                                        ;     Child Loop BB67_33 Depth 2
	v_add_co_u32 v15, vcc_lo, s16, v9
	v_add_co_ci_u32_e32 v16, vcc_lo, s17, v10, vcc_lo
	global_load_b32 v33, v[15:16], off
	s_and_saveexec_b32 s23, s22
; %bb.26:                               ;   in Loop: Header=BB67_25 Depth=1
	v_add_co_u32 v15, vcc_lo, s20, v1
	v_add_co_ci_u32_e32 v16, vcc_lo, s21, v2, vcc_lo
	v_add_co_u32 v17, vcc_lo, s20, v11
	v_add_co_ci_u32_e32 v18, vcc_lo, s21, v12, vcc_lo
	s_clause 0x1
	global_load_b32 v31, v[15:16], off offset:64
	global_load_b32 v32, v[17:18], off offset:64
; %bb.27:                               ;   in Loop: Header=BB67_25 Depth=1
	s_or_b32 exec_lo, exec_lo, s23
	ds_load_b64 v[17:18], v28
	s_waitcnt vmcnt(2)
	v_mov_b32_e32 v16, v4
	s_waitcnt vmcnt(1)
	v_dual_mov_b32 v34, v24 :: v_dual_mov_b32 v15, v3
	s_add_u32 s16, s16, s0
	s_addc_u32 s17, s17, s1
	s_cmp_eq_u32 s11, s10
	s_cbranch_scc1 .LBB67_31
; %bb.28:                               ;   in Loop: Header=BB67_25 Depth=1
	v_dual_mov_b32 v16, v4 :: v_dual_mov_b32 v15, v3
	s_and_saveexec_b32 s23, s22
; %bb.29:                               ;   in Loop: Header=BB67_25 Depth=1
	v_add_co_u32 v15, vcc_lo, s20, v1
	v_add_co_ci_u32_e32 v16, vcc_lo, s21, v2, vcc_lo
	s_delay_alu instid0(VALU_DEP_2) | instskip(NEXT) | instid1(VALU_DEP_2)
	v_add_co_u32 v19, vcc_lo, v15, s8
	v_add_co_ci_u32_e32 v20, vcc_lo, s9, v16, vcc_lo
	s_clause 0x1
	global_load_b32 v15, v[15:16], off offset:128
	global_load_b32 v16, v[19:20], off offset:128
; %bb.30:                               ;   in Loop: Header=BB67_25 Depth=1
	s_or_b32 exec_lo, exec_lo, s23
	v_add_co_u32 v19, vcc_lo, s16, v5
	v_add_co_ci_u32_e32 v20, vcc_lo, s17, v6, vcc_lo
	global_load_b32 v34, v[19:20], off
.LBB67_31:                              ;   in Loop: Header=BB67_25 Depth=1
	s_waitcnt lgkmcnt(0)
	v_fma_f32 v19, v3, v17, 0
	v_fma_f32 v17, v31, v17, 0
	s_waitcnt vmcnt(0)
	s_barrier
	buffer_gl0_inv
	v_fmac_f32_e32 v19, v4, v18
	v_fmac_f32_e32 v17, v32, v18
	ds_store_2addr_b32 v26, v19, v17 offset1:16
	s_waitcnt lgkmcnt(0)
	s_barrier
	buffer_gl0_inv
	s_and_saveexec_b32 s23, s2
	s_cbranch_execz .LBB67_35
; %bb.32:                               ;   in Loop: Header=BB67_25 Depth=1
	v_add_co_u32 v17, vcc_lo, v7, v13
	v_add_co_ci_u32_e32 v18, vcc_lo, v8, v14, vcc_lo
	s_mov_b32 s24, 0
	global_load_b32 v20, v[17:18], off
	ds_load_2addr_b32 v[35:36], v29 offset1:32
	ds_load_2addr_b32 v[37:38], v29 offset0:64 offset1:96
	ds_load_2addr_b32 v[39:40], v29 offset0:128 offset1:160
	s_waitcnt lgkmcnt(2)
	v_add_f32_e32 v19, 0, v35
	s_delay_alu instid0(VALU_DEP_1) | instskip(SKIP_3) | instid1(VALU_DEP_1)
	v_add_f32_e32 v19, v19, v36
	ds_load_2addr_b32 v[35:36], v29 offset0:192 offset1:224
	s_waitcnt lgkmcnt(2)
	v_add_f32_e32 v19, v19, v37
	v_add_f32_e32 v19, v19, v38
	ds_load_2addr_b32 v[37:38], v30 offset1:32
	s_waitcnt lgkmcnt(2)
	v_add_f32_e32 v19, v19, v39
	s_delay_alu instid0(VALU_DEP_1) | instskip(SKIP_3) | instid1(VALU_DEP_1)
	v_add_f32_e32 v19, v19, v40
	ds_load_2addr_b32 v[39:40], v30 offset0:64 offset1:96
	s_waitcnt lgkmcnt(2)
	v_add_f32_e32 v19, v19, v35
	v_add_f32_e32 v19, v19, v36
	ds_load_2addr_b32 v[35:36], v30 offset0:128 offset1:160
	s_waitcnt lgkmcnt(2)
	v_add_f32_e32 v19, v19, v37
	s_delay_alu instid0(VALU_DEP_1) | instskip(SKIP_3) | instid1(VALU_DEP_1)
	v_add_f32_e32 v19, v19, v38
	ds_load_2addr_b32 v[37:38], v30 offset0:192 offset1:224
	s_waitcnt lgkmcnt(2)
	v_add_f32_e32 v19, v19, v39
	v_add_f32_e32 v19, v19, v40
	s_waitcnt lgkmcnt(1)
	s_delay_alu instid0(VALU_DEP_1) | instskip(NEXT) | instid1(VALU_DEP_1)
	v_add_f32_e32 v19, v19, v35
	v_add_f32_e32 v19, v19, v36
	s_waitcnt lgkmcnt(0)
	s_delay_alu instid0(VALU_DEP_1) | instskip(NEXT) | instid1(VALU_DEP_1)
	v_add_f32_e32 v19, v19, v37
	v_add_f32_e32 v19, v19, v38
	s_delay_alu instid0(VALU_DEP_1)
	v_mul_f32_e32 v35, s12, v19
.LBB67_33:                              ;   Parent Loop BB67_25 Depth=1
                                        ; =>  This Inner Loop Header: Depth=2
	s_waitcnt vmcnt(0)
	s_delay_alu instid0(VALU_DEP_1)
	v_add_f32_e32 v19, v20, v35
	global_atomic_cmpswap_b32 v19, v[17:18], v[19:20], off glc
	s_waitcnt vmcnt(0)
	v_cmp_eq_u32_e32 vcc_lo, v19, v20
	v_mov_b32_e32 v20, v19
	s_or_b32 s24, vcc_lo, s24
	s_delay_alu instid0(SALU_CYCLE_1)
	s_and_not1_b32 exec_lo, exec_lo, s24
	s_cbranch_execnz .LBB67_33
; %bb.34:                               ;   in Loop: Header=BB67_25 Depth=1
	s_or_b32 exec_lo, exec_lo, s24
	v_add_co_u32 v7, vcc_lo, v7, s4
	v_add_co_ci_u32_e32 v8, vcc_lo, s5, v8, vcc_lo
.LBB67_35:                              ;   in Loop: Header=BB67_25 Depth=1
	s_or_b32 exec_lo, exec_lo, s23
	v_fmac_f32_e32 v25, v24, v3
	v_fmac_f32_e32 v27, v24, v4
	s_add_u32 s20, s20, 0x80
	s_addc_u32 s21, s21, 0
	s_add_i32 s11, s11, 1
	v_fmac_f32_e32 v25, v33, v31
	v_fmac_f32_e32 v27, v33, v32
	s_cmp_eq_u32 s11, s33
	s_cbranch_scc1 .LBB67_37
; %bb.36:                               ;   in Loop: Header=BB67_25 Depth=1
	v_dual_mov_b32 v24, v34 :: v_dual_mov_b32 v3, v15
	v_mov_b32_e32 v4, v16
	s_branch .LBB67_25
.LBB67_37:
	v_mov_b32_e32 v5, v22
.LBB67_38:
	s_delay_alu instid0(VALU_DEP_1)
	v_lshlrev_b32_e32 v1, 2, v5
	v_lshlrev_b32_e32 v2, 2, v23
	ds_store_b32 v1, v25 offset:2048
	ds_store_b32 v2, v27 offset:2048
	s_waitcnt vmcnt(0) lgkmcnt(0)
	s_barrier
	buffer_gl0_inv
	s_and_saveexec_b32 s0, s2
	s_cbranch_execz .LBB67_42
; %bb.39:
	v_cmp_gt_i32_e32 vcc_lo, s19, v21
	s_cmp_lt_u32 s13, s28
	s_cselect_b32 s0, -1, 0
	s_delay_alu instid0(SALU_CYCLE_1) | instskip(NEXT) | instid1(SALU_CYCLE_1)
	s_or_b32 s0, vcc_lo, s0
	s_and_b32 exec_lo, exec_lo, s0
	s_cbranch_execz .LBB67_42
; %bb.40:
	v_mad_u64_u32 v[1:2], null, v21, s6, 0
	s_mul_i32 s0, s3, s7
	s_mul_hi_u32 s1, s3, s6
	s_mul_i32 s2, s18, s6
	s_add_i32 s1, s1, s0
	s_mul_i32 s0, s3, s6
	s_add_i32 s1, s1, s2
	s_delay_alu instid0(VALU_DEP_1)
	v_mad_u64_u32 v[3:4], null, v21, s7, v[2:3]
	s_lshl_b64 s[0:1], s[0:1], 2
	v_add_nc_u32_e32 v6, 2, v21
	s_add_u32 s0, s14, s0
	s_addc_u32 s1, s15, s1
	v_add_nc_u32_e32 v7, 3, v21
	s_delay_alu instid0(VALU_DEP_3)
	v_dual_mov_b32 v2, v3 :: v_dual_add_nc_u32 v9, 4, v21
	v_lshlrev_b32_e32 v3, 4, v21
	v_add_nc_u32_e32 v10, 5, v21
	v_add_nc_u32_e32 v11, 6, v21
	;; [unrolled: 1-line block ×3, first 2 shown]
	v_lshlrev_b64 v[1:2], 2, v[1:2]
	v_or_b32_e32 v0, v0, v3
	v_and_or_b32 v6, v6, 15, v3
	v_and_or_b32 v7, v7, 15, v3
	v_and_or_b32 v9, v9, 15, v3
	v_and_or_b32 v10, v10, 15, v3
	v_add_co_u32 v1, vcc_lo, s0, v1
	v_add_co_ci_u32_e32 v2, vcc_lo, s1, v2, vcc_lo
	v_lshlrev_b32_e32 v8, 2, v0
	v_and_or_b32 v11, v11, 15, v3
	v_and_or_b32 v12, v12, 15, v3
	global_load_b32 v4, v[1:2], off
	v_lshlrev_b32_e32 v7, 2, v7
	ds_load_b32 v8, v8 offset:2048
	v_add_nc_u32_e32 v5, 1, v21
	v_lshlrev_b32_e32 v9, 2, v9
	v_lshlrev_b32_e32 v10, 2, v10
	;; [unrolled: 1-line block ×4, first 2 shown]
	v_and_or_b32 v5, v5, 15, v3
	v_xor_b32_e32 v0, 8, v0
	s_mov_b32 s0, 0
	s_delay_alu instid0(VALU_DEP_2) | instskip(NEXT) | instid1(VALU_DEP_2)
	v_lshlrev_b32_e32 v5, 2, v5
	v_lshlrev_b32_e32 v0, 2, v0
	ds_load_b32 v5, v5 offset:2048
	v_lshlrev_b32_e32 v6, 2, v6
	ds_load_b32 v6, v6 offset:2048
	ds_load_b32 v7, v7 offset:2048
	;; [unrolled: 1-line block ×6, first 2 shown]
	s_waitcnt lgkmcnt(7)
	v_add_f32_e32 v8, 0, v8
	ds_load_b32 v0, v0 offset:2048
	s_waitcnt lgkmcnt(7)
	v_add_f32_e32 v5, v8, v5
	s_waitcnt lgkmcnt(6)
	s_delay_alu instid0(VALU_DEP_1) | instskip(NEXT) | instid1(VALU_DEP_1)
	v_dual_add_f32 v5, v5, v6 :: v_dual_add_nc_u32 v8, 11, v21
	v_and_or_b32 v8, v8, 15, v3
	s_waitcnt lgkmcnt(5)
	s_delay_alu instid0(VALU_DEP_2) | instskip(SKIP_2) | instid1(VALU_DEP_2)
	v_add_f32_e32 v5, v5, v7
	v_add_nc_u32_e32 v7, 10, v21
	s_waitcnt lgkmcnt(4)
	v_dual_add_f32 v5, v5, v9 :: v_dual_lshlrev_b32 v8, 2, v8
	s_delay_alu instid0(VALU_DEP_2) | instskip(SKIP_2) | instid1(VALU_DEP_3)
	v_and_or_b32 v7, v7, 15, v3
	v_add_nc_u32_e32 v9, 12, v21
	s_waitcnt lgkmcnt(3)
	v_add_f32_e32 v5, v5, v10
	s_delay_alu instid0(VALU_DEP_3)
	v_lshlrev_b32_e32 v7, 2, v7
	v_add_nc_u32_e32 v10, 13, v21
	v_and_or_b32 v9, v9, 15, v3
	s_waitcnt lgkmcnt(2)
	v_dual_add_f32 v5, v5, v11 :: v_dual_add_nc_u32 v6, 9, v21
	v_add_nc_u32_e32 v11, 14, v21
	v_and_or_b32 v10, v10, 15, v3
	v_lshlrev_b32_e32 v9, 2, v9
	s_waitcnt lgkmcnt(1)
	v_add_f32_e32 v5, v5, v12
	v_and_or_b32 v6, v6, 15, v3
	v_add_nc_u32_e32 v12, -1, v21
	ds_load_b32 v7, v7 offset:2048
	v_and_or_b32 v11, v11, 15, v3
	v_lshlrev_b32_e32 v10, 2, v10
	v_lshlrev_b32_e32 v6, 2, v6
	v_and_or_b32 v3, v12, 15, v3
	s_delay_alu instid0(VALU_DEP_4)
	v_lshlrev_b32_e32 v11, 2, v11
	ds_load_b32 v6, v6 offset:2048
	v_lshlrev_b32_e32 v3, 2, v3
	ds_load_b32 v8, v8 offset:2048
	ds_load_b32 v9, v9 offset:2048
	;; [unrolled: 1-line block ×5, first 2 shown]
	s_waitcnt lgkmcnt(7)
	v_add_f32_e32 v0, v5, v0
	s_waitcnt lgkmcnt(5)
	s_delay_alu instid0(VALU_DEP_1) | instskip(NEXT) | instid1(VALU_DEP_1)
	v_add_f32_e32 v0, v0, v6
	v_add_f32_e32 v0, v0, v7
	s_waitcnt lgkmcnt(4)
	s_delay_alu instid0(VALU_DEP_1) | instskip(SKIP_1) | instid1(VALU_DEP_1)
	v_add_f32_e32 v0, v0, v8
	s_waitcnt lgkmcnt(3)
	v_add_f32_e32 v0, v0, v9
	s_waitcnt lgkmcnt(2)
	s_delay_alu instid0(VALU_DEP_1) | instskip(SKIP_1) | instid1(VALU_DEP_1)
	v_add_f32_e32 v0, v0, v10
	s_waitcnt lgkmcnt(1)
	v_add_f32_e32 v0, v0, v11
	s_waitcnt lgkmcnt(0)
	s_delay_alu instid0(VALU_DEP_1) | instskip(NEXT) | instid1(VALU_DEP_1)
	v_add_f32_e32 v0, v0, v3
	v_mul_f32_e32 v0, s12, v0
.LBB67_41:                              ; =>This Inner Loop Header: Depth=1
	s_waitcnt vmcnt(0)
	s_delay_alu instid0(VALU_DEP_1)
	v_add_f32_e32 v3, v4, v0
	global_atomic_cmpswap_b32 v3, v[1:2], v[3:4], off glc
	s_waitcnt vmcnt(0)
	v_cmp_eq_u32_e32 vcc_lo, v3, v4
	v_mov_b32_e32 v4, v3
	s_or_b32 s0, vcc_lo, s0
	s_delay_alu instid0(SALU_CYCLE_1)
	s_and_not1_b32 exec_lo, exec_lo, s0
	s_cbranch_execnz .LBB67_41
.LBB67_42:
	s_endpgm
	.section	.rodata,"a",@progbits
	.p2align	6, 0x0
	.amdhsa_kernel _ZL62rocblas_symv_kernel_upper_double_buffered_non_diagonal_genericILi32ELi8ELi2ELi0E24rocblas_internal_val_ptrIfEPKfPfEvbiT3_lT4_lllS6_lllT5_lllii
		.amdhsa_group_segment_fixed_size 4224
		.amdhsa_private_segment_fixed_size 0
		.amdhsa_kernarg_size 384
		.amdhsa_user_sgpr_count 13
		.amdhsa_user_sgpr_dispatch_ptr 0
		.amdhsa_user_sgpr_queue_ptr 0
		.amdhsa_user_sgpr_kernarg_segment_ptr 1
		.amdhsa_user_sgpr_dispatch_id 0
		.amdhsa_user_sgpr_private_segment_size 0
		.amdhsa_wavefront_size32 1
		.amdhsa_uses_dynamic_stack 0
		.amdhsa_enable_private_segment 0
		.amdhsa_system_sgpr_workgroup_id_x 1
		.amdhsa_system_sgpr_workgroup_id_y 1
		.amdhsa_system_sgpr_workgroup_id_z 1
		.amdhsa_system_sgpr_workgroup_info 0
		.amdhsa_system_vgpr_workitem_id 1
		.amdhsa_next_free_vgpr 41
		.amdhsa_next_free_sgpr 34
		.amdhsa_reserve_vcc 1
		.amdhsa_float_round_mode_32 0
		.amdhsa_float_round_mode_16_64 0
		.amdhsa_float_denorm_mode_32 3
		.amdhsa_float_denorm_mode_16_64 3
		.amdhsa_dx10_clamp 1
		.amdhsa_ieee_mode 1
		.amdhsa_fp16_overflow 0
		.amdhsa_workgroup_processor_mode 1
		.amdhsa_memory_ordered 1
		.amdhsa_forward_progress 0
		.amdhsa_shared_vgpr_count 0
		.amdhsa_exception_fp_ieee_invalid_op 0
		.amdhsa_exception_fp_denorm_src 0
		.amdhsa_exception_fp_ieee_div_zero 0
		.amdhsa_exception_fp_ieee_overflow 0
		.amdhsa_exception_fp_ieee_underflow 0
		.amdhsa_exception_fp_ieee_inexact 0
		.amdhsa_exception_int_div_zero 0
	.end_amdhsa_kernel
	.section	.text._ZL62rocblas_symv_kernel_upper_double_buffered_non_diagonal_genericILi32ELi8ELi2ELi0E24rocblas_internal_val_ptrIfEPKfPfEvbiT3_lT4_lllS6_lllT5_lllii,"axG",@progbits,_ZL62rocblas_symv_kernel_upper_double_buffered_non_diagonal_genericILi32ELi8ELi2ELi0E24rocblas_internal_val_ptrIfEPKfPfEvbiT3_lT4_lllS6_lllT5_lllii,comdat
.Lfunc_end67:
	.size	_ZL62rocblas_symv_kernel_upper_double_buffered_non_diagonal_genericILi32ELi8ELi2ELi0E24rocblas_internal_val_ptrIfEPKfPfEvbiT3_lT4_lllS6_lllT5_lllii, .Lfunc_end67-_ZL62rocblas_symv_kernel_upper_double_buffered_non_diagonal_genericILi32ELi8ELi2ELi0E24rocblas_internal_val_ptrIfEPKfPfEvbiT3_lT4_lllS6_lllT5_lllii
                                        ; -- End function
	.section	.AMDGPU.csdata,"",@progbits
; Kernel info:
; codeLenInByte = 2876
; NumSgprs: 36
; NumVgprs: 41
; ScratchSize: 0
; MemoryBound: 0
; FloatMode: 240
; IeeeMode: 1
; LDSByteSize: 4224 bytes/workgroup (compile time only)
; SGPRBlocks: 4
; VGPRBlocks: 5
; NumSGPRsForWavesPerEU: 36
; NumVGPRsForWavesPerEU: 41
; Occupancy: 16
; WaveLimiterHint : 0
; COMPUTE_PGM_RSRC2:SCRATCH_EN: 0
; COMPUTE_PGM_RSRC2:USER_SGPR: 13
; COMPUTE_PGM_RSRC2:TRAP_HANDLER: 0
; COMPUTE_PGM_RSRC2:TGID_X_EN: 1
; COMPUTE_PGM_RSRC2:TGID_Y_EN: 1
; COMPUTE_PGM_RSRC2:TGID_Z_EN: 1
; COMPUTE_PGM_RSRC2:TIDIG_COMP_CNT: 1
	.section	.text._ZL62rocblas_symv_kernel_upper_double_buffered_non_diagonal_genericILi32ELi8ELi2ELi1E24rocblas_internal_val_ptrIfEPKfPfEvbiT3_lT4_lllS6_lllT5_lllii,"axG",@progbits,_ZL62rocblas_symv_kernel_upper_double_buffered_non_diagonal_genericILi32ELi8ELi2ELi1E24rocblas_internal_val_ptrIfEPKfPfEvbiT3_lT4_lllS6_lllT5_lllii,comdat
	.globl	_ZL62rocblas_symv_kernel_upper_double_buffered_non_diagonal_genericILi32ELi8ELi2ELi1E24rocblas_internal_val_ptrIfEPKfPfEvbiT3_lT4_lllS6_lllT5_lllii ; -- Begin function _ZL62rocblas_symv_kernel_upper_double_buffered_non_diagonal_genericILi32ELi8ELi2ELi1E24rocblas_internal_val_ptrIfEPKfPfEvbiT3_lT4_lllS6_lllT5_lllii
	.p2align	8
	.type	_ZL62rocblas_symv_kernel_upper_double_buffered_non_diagonal_genericILi32ELi8ELi2ELi1E24rocblas_internal_val_ptrIfEPKfPfEvbiT3_lT4_lllS6_lllT5_lllii,@function
_ZL62rocblas_symv_kernel_upper_double_buffered_non_diagonal_genericILi32ELi8ELi2ELi1E24rocblas_internal_val_ptrIfEPKfPfEvbiT3_lT4_lllS6_lllT5_lllii: ; @_ZL62rocblas_symv_kernel_upper_double_buffered_non_diagonal_genericILi32ELi8ELi2ELi1E24rocblas_internal_val_ptrIfEPKfPfEvbiT3_lT4_lllS6_lllT5_lllii
; %bb.0:
	s_clause 0x1
	s_load_b32 s2, s[0:1], 0x0
	s_load_b512 s[16:31], s[0:1], 0x8
	s_waitcnt lgkmcnt(0)
	s_bitcmp0_b32 s2, 0
	s_mov_b32 s2, 0
	s_cbranch_scc0 .LBB68_2
; %bb.1:
	s_mul_i32 s3, s15, s19
	s_mul_hi_u32 s4, s15, s18
	s_delay_alu instid0(SALU_CYCLE_1) | instskip(SKIP_1) | instid1(SALU_CYCLE_1)
	s_add_i32 s5, s4, s3
	s_mul_i32 s4, s15, s18
	s_lshl_b64 s[4:5], s[4:5], 2
	s_delay_alu instid0(SALU_CYCLE_1)
	s_add_u32 s4, s16, s4
	s_addc_u32 s5, s17, s5
	s_load_b32 s12, s[4:5], 0x0
	s_and_not1_b32 vcc_lo, exec_lo, s2
	s_cbranch_vccz .LBB68_3
	s_branch .LBB68_4
.LBB68_2:
                                        ; implicit-def: $sgpr12
.LBB68_3:
	s_waitcnt lgkmcnt(0)
	s_mov_b32 s12, s16
.LBB68_4:
	s_waitcnt lgkmcnt(0)
	v_cmp_eq_f32_e64 s2, s12, 0
	s_delay_alu instid0(VALU_DEP_1)
	s_and_b32 vcc_lo, exec_lo, s2
	s_cbranch_vccnz .LBB68_66
; %bb.5:
	s_load_b32 s5, s[0:1], 0x84
	s_add_u32 s2, s0, 0x80
	s_addc_u32 s3, s1, 0
	s_cmp_eq_u32 s13, 0
	s_waitcnt lgkmcnt(0)
	v_cvt_f32_u32_e32 v1, s5
	s_delay_alu instid0(VALU_DEP_1) | instskip(SKIP_2) | instid1(VALU_DEP_1)
	v_rcp_iflag_f32_e32 v1, v1
	s_waitcnt_depctr 0xfff
	v_mul_f32_e32 v1, 0x4f7ffffe, v1
	v_cvt_u32_f32_e32 v1, v1
	s_delay_alu instid0(VALU_DEP_1)
	v_readfirstlane_b32 s4, v1
	s_cbranch_scc1 .LBB68_66
; %bb.6:
	s_sub_i32 s6, 0, s5
	s_delay_alu instid0(VALU_DEP_1) | instid1(SALU_CYCLE_1)
	s_mul_i32 s6, s6, s4
	s_delay_alu instid0(SALU_CYCLE_1) | instskip(NEXT) | instid1(SALU_CYCLE_1)
	s_mul_hi_u32 s6, s4, s6
	s_add_i32 s4, s4, s6
	s_delay_alu instid0(SALU_CYCLE_1) | instskip(NEXT) | instid1(SALU_CYCLE_1)
	s_mul_hi_u32 s4, s13, s4
	s_mul_i32 s6, s4, s5
	s_add_i32 s7, s4, 1
	s_sub_i32 s6, s13, s6
	s_delay_alu instid0(SALU_CYCLE_1)
	s_sub_i32 s8, s6, s5
	s_cmp_ge_u32 s6, s5
	s_cselect_b32 s4, s7, s4
	s_cselect_b32 s6, s8, s6
	s_add_i32 s7, s4, 1
	s_cmp_ge_u32 s6, s5
	s_cselect_b32 s4, s7, s4
	s_add_i32 s6, s5, -1
	s_mov_b32 s33, s4
	s_cmp_lg_u32 s14, s6
	s_cbranch_scc1 .LBB68_8
; %bb.7:
	s_mul_i32 s5, s4, s5
	s_delay_alu instid0(SALU_CYCLE_1) | instskip(NEXT) | instid1(SALU_CYCLE_1)
	s_sub_i32 s5, s13, s5
	s_add_i32 s33, s5, s4
.LBB68_8:
	s_delay_alu instid0(SALU_CYCLE_1)
	s_cmp_eq_u32 s33, 0
	s_cbranch_scc1 .LBB68_66
; %bb.9:
	s_load_b128 s[8:11], s[0:1], 0x48
	v_and_b32_e32 v19, 0x3ff, v0
	v_bfe_u32 v0, v0, 10, 10
	s_delay_alu instid0(VALU_DEP_1)
	v_lshl_add_u32 v1, v0, 5, v19
	s_waitcnt lgkmcnt(0)
	s_mul_i32 s5, s15, s11
	s_mul_hi_u32 s7, s15, s10
	s_mul_i32 s6, s15, s10
	s_load_b32 s10, s[2:3], 0x0
	s_add_i32 s7, s7, s5
	s_delay_alu instid0(SALU_CYCLE_1) | instskip(NEXT) | instid1(SALU_CYCLE_1)
	s_lshl_b64 s[6:7], s[6:7], 2
	s_add_u32 s5, s28, s6
	s_addc_u32 s6, s29, s7
	s_lshl_b64 s[2:3], s[30:31], 2
	s_mov_b32 s7, -1
	s_add_u32 s30, s5, s2
	s_addc_u32 s31, s6, s3
	s_lshl_b32 s18, s13, 5
	s_delay_alu instid0(SALU_CYCLE_1)
	s_mul_i32 s2, s18, s9
	s_mul_hi_u32 s3, s18, s8
	s_ashr_i32 s19, s18, 31
	s_add_i32 s3, s3, s2
	s_mul_i32 s5, s19, s8
	s_mul_i32 s2, s18, s8
	s_add_i32 s3, s3, s5
	s_delay_alu instid0(SALU_CYCLE_1) | instskip(NEXT) | instid1(SALU_CYCLE_1)
	s_lshl_b64 s[2:3], s[2:3], 2
	s_add_u32 s5, s30, s2
	s_addc_u32 s6, s31, s3
	s_waitcnt lgkmcnt(0)
	s_add_i32 s28, s10, -1
	v_cmp_eq_u32_e64 s2, 0, v0
	s_cmp_lg_u32 s13, s28
	s_cselect_b32 s3, -1, 0
	s_delay_alu instid0(SALU_CYCLE_1)
	s_and_b32 vcc_lo, exec_lo, s3
	s_cbranch_vccz .LBB68_13
; %bb.10:
	s_and_saveexec_b32 s7, s2
	s_cbranch_execz .LBB68_12
; %bb.11:
	v_mad_u64_u32 v[2:3], null, v19, s8, 0
	s_delay_alu instid0(VALU_DEP_1) | instskip(NEXT) | instid1(VALU_DEP_1)
	v_mov_b32_e32 v0, v3
	v_mad_u64_u32 v[3:4], null, v19, s9, v[0:1]
	s_delay_alu instid0(VALU_DEP_1) | instskip(NEXT) | instid1(VALU_DEP_1)
	v_lshlrev_b64 v[2:3], 2, v[2:3]
	v_add_co_u32 v2, vcc_lo, s5, v2
	s_delay_alu instid0(VALU_DEP_2)
	v_add_co_ci_u32_e32 v3, vcc_lo, s6, v3, vcc_lo
	global_load_b32 v0, v[2:3], off
	v_lshlrev_b32_e32 v2, 2, v19
	s_waitcnt vmcnt(0)
	ds_store_b32 v2, v0 offset:4096
.LBB68_12:
	s_or_b32 exec_lo, exec_lo, s7
	s_mov_b32 s7, 0
.LBB68_13:
	s_load_b32 s29, s[0:1], 0x78
	v_and_b32_e32 v0, 15, v19
	v_lshrrev_b32_e32 v7, 4, v1
	s_and_not1_b32 vcc_lo, exec_lo, s7
	s_cbranch_vccnz .LBB68_19
; %bb.14:
	s_and_saveexec_b32 s7, s2
	s_cbranch_execz .LBB68_18
; %bb.15:
	v_mov_b32_e32 v1, 0
	s_mov_b32 s10, exec_lo
	s_waitcnt lgkmcnt(0)
	v_cmpx_gt_i32_e64 s29, v19
	s_cbranch_execz .LBB68_17
; %bb.16:
	v_mad_u64_u32 v[1:2], null, v19, s8, 0
	s_delay_alu instid0(VALU_DEP_1) | instskip(NEXT) | instid1(VALU_DEP_1)
	v_mad_u64_u32 v[3:4], null, v19, s9, v[2:3]
	v_mov_b32_e32 v2, v3
	s_delay_alu instid0(VALU_DEP_1) | instskip(NEXT) | instid1(VALU_DEP_1)
	v_lshlrev_b64 v[1:2], 2, v[1:2]
	v_add_co_u32 v1, vcc_lo, s5, v1
	s_delay_alu instid0(VALU_DEP_2)
	v_add_co_ci_u32_e32 v2, vcc_lo, s6, v2, vcc_lo
	global_load_b32 v1, v[1:2], off
.LBB68_17:
	s_or_b32 exec_lo, exec_lo, s10
	v_lshlrev_b32_e32 v2, 2, v19
	s_waitcnt vmcnt(0)
	ds_store_b32 v2, v1 offset:4096
.LBB68_18:
	s_or_b32 exec_lo, exec_lo, s7
	v_dual_mov_b32 v2, 0 :: v_dual_lshlrev_b32 v1, 2, v0
	s_delay_alu instid0(VALU_DEP_1) | instskip(NEXT) | instid1(VALU_DEP_1)
	v_lshl_or_b32 v1, v7, 7, v1
	v_add_nc_u32_e32 v3, 0x800, v1
	ds_store_2addr_b32 v1, v2, v2 offset1:16
	ds_store_2addr_b32 v3, v2, v2 offset1:16
.LBB68_19:
	s_delay_alu instid0(VALU_DEP_1)
	v_dual_mov_b32 v1, 0 :: v_dual_lshlrev_b32 v8, 1, v7
	s_mul_i32 s5, s15, s27
	s_mul_hi_u32 s6, s15, s26
	s_waitcnt lgkmcnt(0)
	s_lshr_b32 s10, s29, 31
	s_add_i32 s7, s6, s5
	v_mad_u64_u32 v[2:3], null, v8, s24, v[0:1]
	s_mul_i32 s6, s15, s26
	s_add_i32 s5, s29, s10
	s_lshl_b64 s[6:7], s[6:7], 2
	s_ashr_i32 s26, s5, 1
	s_add_u32 s5, s20, s6
	s_addc_u32 s10, s21, s7
	s_lshl_b64 s[6:7], s[22:23], 2
	s_load_b64 s[16:17], s[0:1], 0x58
	v_mov_b32_e32 v1, v3
	s_add_u32 s5, s5, s6
	s_mul_i32 s6, s18, s25
	s_mul_hi_u32 s11, s18, s24
	s_addc_u32 s10, s10, s7
	s_add_i32 s6, s11, s6
	s_mul_i32 s7, s19, s24
	v_mad_u64_u32 v[3:4], null, v8, s25, v[1:2]
	s_add_i32 s7, s6, s7
	s_mul_i32 s6, s18, s24
	s_mul_i32 s14, s14, s4
	s_lshl_b64 s[6:7], s[6:7], 2
	v_cndmask_b32_e64 v20, 0, 1, s3
	s_add_u32 s6, s5, s6
	s_addc_u32 s7, s10, s7
	s_lshl_b32 s10, s14, 5
	v_lshlrev_b64 v[1:2], 2, v[2:3]
	s_ashr_i32 s11, s10, 31
	s_waitcnt lgkmcnt(0)
	s_lshl_b64 s[4:5], s[10:11], 2
	s_barrier
	s_add_u32 s20, s6, s4
	s_addc_u32 s21, s7, s5
	s_and_not1_b32 vcc_lo, exec_lo, s3
	buffer_gl0_inv
	s_cbranch_vccnz .LBB68_21
; %bb.20:
	v_add_co_u32 v3, vcc_lo, s20, v1
	v_add_co_ci_u32_e32 v4, vcc_lo, s21, v2, vcc_lo
	s_lshl_b64 s[4:5], s[24:25], 2
	s_delay_alu instid0(VALU_DEP_2) | instid1(SALU_CYCLE_1)
	v_add_co_u32 v5, vcc_lo, v3, s4
	s_delay_alu instid0(VALU_DEP_2)
	v_add_co_ci_u32_e32 v6, vcc_lo, s5, v4, vcc_lo
	s_clause 0x1
	global_load_b32 v3, v[3:4], off
	global_load_b32 v4, v[5:6], off
	v_cmp_le_i32_e64 s3, s26, v7
	s_cbranch_execz .LBB68_22
	s_branch .LBB68_29
.LBB68_21:
                                        ; implicit-def: $vgpr3_vgpr4
	v_cmp_le_i32_e64 s3, s26, v7
.LBB68_22:
                                        ; implicit-def: $vgpr3_vgpr4
	s_delay_alu instid0(VALU_DEP_1) | instskip(NEXT) | instid1(SALU_CYCLE_1)
	s_and_saveexec_b32 s4, s3
	s_xor_b32 s3, exec_lo, s4
	s_cbranch_execz .LBB68_26
; %bb.23:
	s_mov_b32 s4, 0
	s_delay_alu instid0(SALU_CYCLE_1)
	s_mov_b32 s5, s4
	s_waitcnt vmcnt(0)
	v_dual_mov_b32 v3, s4 :: v_dual_mov_b32 v4, s5
	s_mov_b32 s4, exec_lo
	v_cmpx_eq_u32_e64 s26, v7
	s_cbranch_execz .LBB68_25
; %bb.24:
	v_add_co_u32 v3, vcc_lo, s20, v1
	v_add_co_ci_u32_e32 v4, vcc_lo, s21, v2, vcc_lo
	global_load_b32 v3, v[3:4], off
	v_mov_b32_e32 v4, 0
.LBB68_25:
	s_or_b32 exec_lo, exec_lo, s4
.LBB68_26:
	s_and_not1_saveexec_b32 s3, s3
	s_cbranch_execz .LBB68_28
; %bb.27:
	s_waitcnt vmcnt(0)
	v_add_co_u32 v3, vcc_lo, s20, v1
	v_add_co_ci_u32_e32 v4, vcc_lo, s21, v2, vcc_lo
	s_lshl_b64 s[4:5], s[24:25], 2
	s_delay_alu instid0(VALU_DEP_2) | instid1(SALU_CYCLE_1)
	v_add_co_u32 v5, vcc_lo, v3, s4
	s_delay_alu instid0(VALU_DEP_2)
	v_add_co_ci_u32_e32 v6, vcc_lo, s5, v4, vcc_lo
	s_clause 0x1
	global_load_b32 v3, v[3:4], off
	global_load_b32 v4, v[5:6], off
.LBB68_28:
	s_or_b32 exec_lo, exec_lo, s3
.LBB68_29:
	s_clause 0x1
	s_load_b64 s[22:23], s[0:1], 0x70
	s_load_b128 s[4:7], s[0:1], 0x60
	v_lshl_or_b32 v21, v7, 5, v0
	s_waitcnt lgkmcnt(0)
	s_mul_i32 s1, s15, s23
	s_mul_hi_u32 s3, s15, s22
	s_mul_i32 s0, s15, s22
	s_add_i32 s1, s3, s1
	s_delay_alu instid0(SALU_CYCLE_1) | instskip(NEXT) | instid1(SALU_CYCLE_1)
	s_lshl_b64 s[0:1], s[0:1], 2
	s_add_u32 s3, s16, s0
	s_addc_u32 s14, s17, s1
	s_lshl_b64 s[0:1], s[4:5], 2
	s_delay_alu instid0(SALU_CYCLE_1)
	s_add_u32 s3, s3, s0
	s_addc_u32 s14, s14, s1
	s_cmp_gt_i32 s33, 0
	s_mov_b32 s0, 0
	s_cbranch_scc1 .LBB68_31
; %bb.30:
	v_lshl_or_b32 v5, v7, 5, v0
	s_mov_b32 s1, 0
	s_delay_alu instid0(VALU_DEP_1)
	v_or_b32_e32 v22, 16, v5
	v_dual_mov_b32 v25, s1 :: v_dual_mov_b32 v24, s1
	s_and_not1_b32 vcc_lo, exec_lo, s0
	s_cbranch_vccz .LBB68_32
	s_branch .LBB68_62
.LBB68_31:
                                        ; implicit-def: $sgpr1
                                        ; implicit-def: $vgpr5
                                        ; implicit-def: $vgpr22
	v_dual_mov_b32 v25, s1 :: v_dual_mov_b32 v24, s1
.LBB68_32:
	s_mul_i32 s0, s10, s9
	s_mul_hi_u32 s1, s10, s8
	v_mad_u64_u32 v[5:6], null, v0, s8, 0
	s_mul_i32 s4, s11, s8
	s_add_i32 s1, s1, s0
	s_mul_i32 s0, s10, s8
	s_add_i32 s1, s1, s4
	v_lshl_add_u32 v27, v8, 2, 0x1000
	s_lshl_b64 s[0:1], s[0:1], 2
	s_delay_alu instid0(VALU_DEP_2)
	v_mad_u64_u32 v[9:10], null, v0, s9, v[6:7]
	s_add_u32 s15, s30, s0
	s_addc_u32 s16, s31, s1
	s_mul_i32 s0, s10, s7
	s_mul_hi_u32 s1, s10, s6
	v_or_b32_e32 v15, 16, v0
	s_add_i32 s0, s1, s0
	s_mul_i32 s1, s11, s6
	v_mad_u64_u32 v[11:12], null, v19, s6, 0
	s_add_i32 s1, s0, s1
	s_mul_i32 s0, s10, s6
	v_lshlrev_b32_e32 v26, 2, v21
	s_lshl_b64 s[0:1], s[0:1], 2
	v_or_b32_e32 v22, 16, v21
	s_add_u32 s10, s3, s0
	s_addc_u32 s11, s14, s1
	v_mov_b32_e32 v6, v9
	v_cmp_le_i32_e64 s0, s26, v7
	v_cmp_eq_u32_e64 s1, s26, v7
	v_dual_mov_b32 v7, s10 :: v_dual_lshlrev_b32 v28, 2, v19
	s_delay_alu instid0(VALU_DEP_4)
	v_lshlrev_b64 v[5:6], 2, v[5:6]
	v_mov_b32_e32 v8, s11
	v_mov_b32_e32 v24, 0
	s_lshl_b64 s[4:5], s[8:9], 7
	s_add_i32 s17, s33, -1
	s_mov_b32 s22, 0
	v_add_co_u32 v9, vcc_lo, s15, v5
	v_add_co_ci_u32_e32 v10, vcc_lo, s16, v6, vcc_lo
	s_lshl_b64 s[10:11], s[24:25], 2
	v_mov_b32_e32 v25, 0
	global_load_b32 v23, v[9:10], off
	v_mad_u64_u32 v[9:10], null, v15, s8, 0
	s_delay_alu instid0(VALU_DEP_1) | instskip(SKIP_2) | instid1(VALU_DEP_1)
	v_mad_u64_u32 v[13:14], null, v15, s9, v[10:11]
	v_mov_b32_e32 v10, v12
	s_lshl_b64 s[8:9], s[6:7], 7
	v_mad_u64_u32 v[14:15], null, v19, s7, v[10:11]
	s_delay_alu instid0(VALU_DEP_3) | instskip(NEXT) | instid1(VALU_DEP_1)
	v_dual_mov_b32 v10, v13 :: v_dual_mov_b32 v13, 0
	v_lshlrev_b64 v[9:10], 2, v[9:10]
	s_delay_alu instid0(VALU_DEP_3) | instskip(SKIP_1) | instid1(VALU_DEP_2)
	v_mov_b32_e32 v12, v14
	v_mov_b32_e32 v14, 0
	v_lshlrev_b64 v[11:12], 2, v[11:12]
.LBB68_33:                              ; =>This Loop Header: Depth=1
                                        ;     Child Loop BB68_57 Depth 2
	s_delay_alu instid0(VALU_DEP_4)
	v_add_co_u32 v15, vcc_lo, s15, v9
	v_add_co_ci_u32_e32 v16, vcc_lo, s16, v10, vcc_lo
	v_cmp_ne_u32_e32 vcc_lo, 1, v20
	global_load_b32 v29, v[15:16], off
	s_cbranch_vccnz .LBB68_35
; %bb.34:                               ;   in Loop: Header=BB68_33 Depth=1
	v_add_co_u32 v15, vcc_lo, s20, v1
	v_add_co_ci_u32_e32 v16, vcc_lo, s21, v2, vcc_lo
	s_delay_alu instid0(VALU_DEP_2) | instskip(NEXT) | instid1(VALU_DEP_2)
	v_add_co_u32 v17, vcc_lo, v15, s10
	v_add_co_ci_u32_e32 v18, vcc_lo, s11, v16, vcc_lo
	s_clause 0x1
	global_load_b32 v30, v[15:16], off offset:64
	global_load_b32 v31, v[17:18], off offset:64
	s_cbranch_execz .LBB68_36
	s_branch .LBB68_43
.LBB68_35:                              ;   in Loop: Header=BB68_33 Depth=1
                                        ; implicit-def: $vgpr31
                                        ; implicit-def: $vgpr30
.LBB68_36:                              ;   in Loop: Header=BB68_33 Depth=1
	s_and_saveexec_b32 s23, s0
	s_delay_alu instid0(SALU_CYCLE_1)
	s_xor_b32 s23, exec_lo, s23
	s_cbranch_execz .LBB68_40
; %bb.37:                               ;   in Loop: Header=BB68_33 Depth=1
	s_and_saveexec_b32 s24, s1
	s_cbranch_execz .LBB68_39
; %bb.38:                               ;   in Loop: Header=BB68_33 Depth=1
	v_add_co_u32 v14, vcc_lo, s20, v1
	v_add_co_ci_u32_e32 v15, vcc_lo, s21, v2, vcc_lo
	global_load_b32 v14, v[14:15], off offset:64
.LBB68_39:                              ;   in Loop: Header=BB68_33 Depth=1
	s_or_b32 exec_lo, exec_lo, s24
.LBB68_40:                              ;   in Loop: Header=BB68_33 Depth=1
	s_and_not1_saveexec_b32 s23, s23
	s_cbranch_execz .LBB68_42
; %bb.41:                               ;   in Loop: Header=BB68_33 Depth=1
	v_add_co_u32 v13, vcc_lo, s20, v1
	s_waitcnt vmcnt(0)
	v_add_co_ci_u32_e32 v14, vcc_lo, s21, v2, vcc_lo
	s_delay_alu instid0(VALU_DEP_2) | instskip(NEXT) | instid1(VALU_DEP_2)
	v_add_co_u32 v15, vcc_lo, v13, s10
	v_add_co_ci_u32_e32 v16, vcc_lo, s11, v14, vcc_lo
	s_clause 0x1
	global_load_b32 v14, v[13:14], off offset:64
	global_load_b32 v13, v[15:16], off offset:64
.LBB68_42:                              ;   in Loop: Header=BB68_33 Depth=1
	s_or_b32 exec_lo, exec_lo, s23
	s_waitcnt vmcnt(0)
	v_dual_mov_b32 v30, v14 :: v_dual_mov_b32 v31, v13
.LBB68_43:                              ;   in Loop: Header=BB68_33 Depth=1
	ds_load_b64 v[15:16], v27
	s_waitcnt vmcnt(1)
	v_mov_b32_e32 v32, v23
	v_dual_mov_b32 v14, v4 :: v_dual_mov_b32 v13, v3
	s_add_u32 s15, s15, s4
	s_addc_u32 s16, s16, s5
	s_cmp_eq_u32 s22, s17
	s_cbranch_scc1 .LBB68_55
; %bb.44:                               ;   in Loop: Header=BB68_33 Depth=1
	v_cmp_ne_u32_e32 vcc_lo, 1, v20
	s_cbranch_vccnz .LBB68_46
; %bb.45:                               ;   in Loop: Header=BB68_33 Depth=1
	v_add_co_u32 v13, vcc_lo, s20, v1
	v_add_co_ci_u32_e32 v14, vcc_lo, s21, v2, vcc_lo
	s_delay_alu instid0(VALU_DEP_2) | instskip(NEXT) | instid1(VALU_DEP_2)
	v_add_co_u32 v17, vcc_lo, v13, s10
	v_add_co_ci_u32_e32 v18, vcc_lo, s11, v14, vcc_lo
	s_clause 0x1
	global_load_b32 v13, v[13:14], off offset:128
	global_load_b32 v14, v[17:18], off offset:128
	s_cbranch_execz .LBB68_47
	s_branch .LBB68_54
.LBB68_46:                              ;   in Loop: Header=BB68_33 Depth=1
                                        ; implicit-def: $vgpr13_vgpr14
.LBB68_47:                              ;   in Loop: Header=BB68_33 Depth=1
                                        ; implicit-def: $vgpr13_vgpr14
	s_and_saveexec_b32 s23, s0
	s_delay_alu instid0(SALU_CYCLE_1)
	s_xor_b32 s23, exec_lo, s23
	s_cbranch_execz .LBB68_51
; %bb.48:                               ;   in Loop: Header=BB68_33 Depth=1
	s_waitcnt vmcnt(0)
	v_dual_mov_b32 v14, v4 :: v_dual_mov_b32 v13, v3
	s_and_saveexec_b32 s24, s1
	s_cbranch_execz .LBB68_50
; %bb.49:                               ;   in Loop: Header=BB68_33 Depth=1
	v_add_co_u32 v13, vcc_lo, s20, v1
	v_add_co_ci_u32_e32 v14, vcc_lo, s21, v2, vcc_lo
	global_load_b32 v13, v[13:14], off offset:128
	v_mov_b32_e32 v14, v4
.LBB68_50:                              ;   in Loop: Header=BB68_33 Depth=1
	s_or_b32 exec_lo, exec_lo, s24
.LBB68_51:                              ;   in Loop: Header=BB68_33 Depth=1
	s_and_not1_saveexec_b32 s23, s23
	s_cbranch_execz .LBB68_53
; %bb.52:                               ;   in Loop: Header=BB68_33 Depth=1
	s_waitcnt vmcnt(0)
	v_add_co_u32 v13, vcc_lo, s20, v1
	v_add_co_ci_u32_e32 v14, vcc_lo, s21, v2, vcc_lo
	s_delay_alu instid0(VALU_DEP_2) | instskip(NEXT) | instid1(VALU_DEP_2)
	v_add_co_u32 v17, vcc_lo, v13, s10
	v_add_co_ci_u32_e32 v18, vcc_lo, s11, v14, vcc_lo
	s_clause 0x1
	global_load_b32 v13, v[13:14], off offset:128
	global_load_b32 v14, v[17:18], off offset:128
.LBB68_53:                              ;   in Loop: Header=BB68_33 Depth=1
	s_or_b32 exec_lo, exec_lo, s23
.LBB68_54:                              ;   in Loop: Header=BB68_33 Depth=1
	v_add_co_u32 v17, vcc_lo, s15, v5
	v_add_co_ci_u32_e32 v18, vcc_lo, s16, v6, vcc_lo
	global_load_b32 v32, v[17:18], off
.LBB68_55:                              ;   in Loop: Header=BB68_33 Depth=1
	s_waitcnt lgkmcnt(0)
	v_fma_f32 v17, v3, v15, 0
	v_fma_f32 v15, v30, v15, 0
	s_waitcnt vmcnt(0)
	s_barrier
	buffer_gl0_inv
	v_fmac_f32_e32 v17, v4, v16
	v_fmac_f32_e32 v15, v31, v16
	ds_store_2addr_b32 v26, v17, v15 offset1:16
	s_waitcnt lgkmcnt(0)
	s_barrier
	buffer_gl0_inv
	s_and_saveexec_b32 s23, s2
	s_cbranch_execz .LBB68_59
; %bb.56:                               ;   in Loop: Header=BB68_33 Depth=1
	v_add_co_u32 v15, vcc_lo, v7, v11
	v_add_co_ci_u32_e32 v16, vcc_lo, v8, v12, vcc_lo
	v_add_nc_u32_e32 v39, 0x400, v28
	s_mov_b32 s24, 0
	global_load_b32 v18, v[15:16], off
	ds_load_2addr_b32 v[33:34], v28 offset1:32
	ds_load_2addr_b32 v[35:36], v28 offset0:64 offset1:96
	ds_load_2addr_b32 v[37:38], v28 offset0:128 offset1:160
	s_waitcnt lgkmcnt(2)
	v_add_f32_e32 v17, 0, v33
	s_delay_alu instid0(VALU_DEP_1) | instskip(SKIP_3) | instid1(VALU_DEP_1)
	v_add_f32_e32 v17, v17, v34
	ds_load_2addr_b32 v[33:34], v28 offset0:192 offset1:224
	s_waitcnt lgkmcnt(2)
	v_add_f32_e32 v17, v17, v35
	v_add_f32_e32 v17, v17, v36
	ds_load_2addr_b32 v[35:36], v39 offset1:32
	s_waitcnt lgkmcnt(2)
	v_add_f32_e32 v17, v17, v37
	s_delay_alu instid0(VALU_DEP_1) | instskip(SKIP_3) | instid1(VALU_DEP_1)
	v_add_f32_e32 v17, v17, v38
	ds_load_2addr_b32 v[37:38], v39 offset0:64 offset1:96
	s_waitcnt lgkmcnt(2)
	v_add_f32_e32 v17, v17, v33
	v_add_f32_e32 v17, v17, v34
	ds_load_2addr_b32 v[33:34], v39 offset0:128 offset1:160
	s_waitcnt lgkmcnt(2)
	v_add_f32_e32 v17, v17, v35
	s_delay_alu instid0(VALU_DEP_1) | instskip(SKIP_3) | instid1(VALU_DEP_1)
	v_add_f32_e32 v17, v17, v36
	ds_load_2addr_b32 v[35:36], v39 offset0:192 offset1:224
	s_waitcnt lgkmcnt(2)
	v_add_f32_e32 v17, v17, v37
	v_add_f32_e32 v17, v17, v38
	s_waitcnt lgkmcnt(1)
	s_delay_alu instid0(VALU_DEP_1) | instskip(NEXT) | instid1(VALU_DEP_1)
	v_add_f32_e32 v17, v17, v33
	v_add_f32_e32 v17, v17, v34
	s_waitcnt lgkmcnt(0)
	s_delay_alu instid0(VALU_DEP_1) | instskip(NEXT) | instid1(VALU_DEP_1)
	v_add_f32_e32 v17, v17, v35
	v_add_f32_e32 v17, v17, v36
	s_delay_alu instid0(VALU_DEP_1)
	v_mul_f32_e32 v33, s12, v17
.LBB68_57:                              ;   Parent Loop BB68_33 Depth=1
                                        ; =>  This Inner Loop Header: Depth=2
	s_waitcnt vmcnt(0)
	s_delay_alu instid0(VALU_DEP_1)
	v_add_f32_e32 v17, v18, v33
	global_atomic_cmpswap_b32 v17, v[15:16], v[17:18], off glc
	s_waitcnt vmcnt(0)
	v_cmp_eq_u32_e32 vcc_lo, v17, v18
	v_mov_b32_e32 v18, v17
	s_or_b32 s24, vcc_lo, s24
	s_delay_alu instid0(SALU_CYCLE_1)
	s_and_not1_b32 exec_lo, exec_lo, s24
	s_cbranch_execnz .LBB68_57
; %bb.58:                               ;   in Loop: Header=BB68_33 Depth=1
	s_or_b32 exec_lo, exec_lo, s24
	v_add_co_u32 v7, vcc_lo, v7, s8
	v_add_co_ci_u32_e32 v8, vcc_lo, s9, v8, vcc_lo
.LBB68_59:                              ;   in Loop: Header=BB68_33 Depth=1
	s_or_b32 exec_lo, exec_lo, s23
	v_fmac_f32_e32 v24, v23, v3
	v_fmac_f32_e32 v25, v23, v4
	s_add_u32 s20, s20, 0x80
	s_addc_u32 s21, s21, 0
	s_add_i32 s22, s22, 1
	v_fmac_f32_e32 v24, v29, v30
	v_fmac_f32_e32 v25, v29, v31
	s_cmp_eq_u32 s22, s33
	s_cbranch_scc1 .LBB68_61
; %bb.60:                               ;   in Loop: Header=BB68_33 Depth=1
	v_mov_b32_e32 v3, v13
	v_dual_mov_b32 v23, v32 :: v_dual_mov_b32 v4, v14
	v_dual_mov_b32 v14, v30 :: v_dual_mov_b32 v13, v31
	s_branch .LBB68_33
.LBB68_61:
	v_mov_b32_e32 v5, v21
.LBB68_62:
	s_delay_alu instid0(VALU_DEP_1)
	v_lshlrev_b32_e32 v1, 2, v5
	v_lshlrev_b32_e32 v2, 2, v22
	ds_store_b32 v1, v24 offset:2048
	ds_store_b32 v2, v25 offset:2048
	s_waitcnt vmcnt(0) lgkmcnt(0)
	s_barrier
	buffer_gl0_inv
	s_and_saveexec_b32 s0, s2
	s_cbranch_execz .LBB68_66
; %bb.63:
	v_cmp_gt_i32_e32 vcc_lo, s29, v19
	s_cmp_lt_u32 s13, s28
	s_cselect_b32 s0, -1, 0
	s_delay_alu instid0(SALU_CYCLE_1) | instskip(NEXT) | instid1(SALU_CYCLE_1)
	s_or_b32 s0, vcc_lo, s0
	s_and_b32 exec_lo, exec_lo, s0
	s_cbranch_execz .LBB68_66
; %bb.64:
	v_mad_u64_u32 v[1:2], null, v19, s6, 0
	s_mul_i32 s0, s18, s7
	s_mul_hi_u32 s1, s18, s6
	s_mul_i32 s2, s19, s6
	s_add_i32 s1, s1, s0
	s_mul_i32 s0, s18, s6
	s_add_i32 s1, s1, s2
	s_delay_alu instid0(VALU_DEP_1)
	v_mad_u64_u32 v[3:4], null, v19, s7, v[2:3]
	s_lshl_b64 s[0:1], s[0:1], 2
	v_add_nc_u32_e32 v7, 3, v19
	s_add_u32 s0, s3, s0
	s_addc_u32 s1, s14, s1
	v_add_nc_u32_e32 v9, 4, v19
	v_add_nc_u32_e32 v10, 5, v19
	s_delay_alu instid0(VALU_DEP_4) | instskip(SKIP_2) | instid1(VALU_DEP_3)
	v_dual_mov_b32 v2, v3 :: v_dual_lshlrev_b32 v3, 4, v19
	v_add_nc_u32_e32 v11, 6, v19
	v_add_nc_u32_e32 v12, 7, v19
	v_lshlrev_b64 v[1:2], 2, v[1:2]
	s_delay_alu instid0(VALU_DEP_4)
	v_or_b32_e32 v0, v0, v3
	v_and_or_b32 v7, v7, 15, v3
	v_and_or_b32 v9, v9, 15, v3
	;; [unrolled: 1-line block ×4, first 2 shown]
	v_add_co_u32 v1, vcc_lo, s0, v1
	v_add_co_ci_u32_e32 v2, vcc_lo, s1, v2, vcc_lo
	v_lshlrev_b32_e32 v8, 2, v0
	v_and_or_b32 v12, v12, 15, v3
	v_lshlrev_b32_e32 v7, 2, v7
	global_load_b32 v4, v[1:2], off
	v_lshlrev_b32_e32 v9, 2, v9
	ds_load_b32 v8, v8 offset:2048
	v_add_nc_u32_e32 v5, 1, v19
	v_lshlrev_b32_e32 v10, 2, v10
	v_lshlrev_b32_e32 v11, 2, v11
	;; [unrolled: 1-line block ×3, first 2 shown]
	v_xor_b32_e32 v0, 8, v0
	v_and_or_b32 v5, v5, 15, v3
	s_mov_b32 s0, 0
	s_delay_alu instid0(VALU_DEP_2) | instskip(NEXT) | instid1(VALU_DEP_2)
	v_lshlrev_b32_e32 v0, 2, v0
	v_lshlrev_b32_e32 v5, 2, v5
	ds_load_b32 v5, v5 offset:2048
	v_add_nc_u32_e32 v6, 2, v19
	s_delay_alu instid0(VALU_DEP_1) | instskip(NEXT) | instid1(VALU_DEP_1)
	v_and_or_b32 v6, v6, 15, v3
	v_lshlrev_b32_e32 v6, 2, v6
	ds_load_b32 v6, v6 offset:2048
	ds_load_b32 v7, v7 offset:2048
	;; [unrolled: 1-line block ×6, first 2 shown]
	s_waitcnt lgkmcnt(7)
	v_add_f32_e32 v8, 0, v8
	ds_load_b32 v0, v0 offset:2048
	s_waitcnt lgkmcnt(7)
	v_dual_add_f32 v5, v8, v5 :: v_dual_add_nc_u32 v8, 11, v19
	s_delay_alu instid0(VALU_DEP_1) | instskip(SKIP_1) | instid1(VALU_DEP_1)
	v_and_or_b32 v8, v8, 15, v3
	s_waitcnt lgkmcnt(6)
	v_dual_add_f32 v5, v5, v6 :: v_dual_lshlrev_b32 v8, 2, v8
	s_waitcnt lgkmcnt(5)
	s_delay_alu instid0(VALU_DEP_1) | instskip(SKIP_2) | instid1(VALU_DEP_2)
	v_add_f32_e32 v5, v5, v7
	v_add_nc_u32_e32 v7, 10, v19
	s_waitcnt lgkmcnt(4)
	v_add_f32_e32 v5, v5, v9
	s_delay_alu instid0(VALU_DEP_2) | instskip(SKIP_2) | instid1(VALU_DEP_3)
	v_and_or_b32 v7, v7, 15, v3
	v_add_nc_u32_e32 v9, 12, v19
	s_waitcnt lgkmcnt(3)
	v_add_f32_e32 v5, v5, v10
	s_delay_alu instid0(VALU_DEP_3)
	v_lshlrev_b32_e32 v7, 2, v7
	v_add_nc_u32_e32 v10, 13, v19
	v_and_or_b32 v9, v9, 15, v3
	s_waitcnt lgkmcnt(2)
	v_add_f32_e32 v5, v5, v11
	v_add_nc_u32_e32 v6, 9, v19
	v_add_nc_u32_e32 v11, 14, v19
	v_and_or_b32 v10, v10, 15, v3
	v_lshlrev_b32_e32 v9, 2, v9
	s_waitcnt lgkmcnt(1)
	v_add_f32_e32 v5, v5, v12
	v_and_or_b32 v6, v6, 15, v3
	v_add_nc_u32_e32 v12, -1, v19
	ds_load_b32 v7, v7 offset:2048
	v_and_or_b32 v11, v11, 15, v3
	v_lshlrev_b32_e32 v10, 2, v10
	v_lshlrev_b32_e32 v6, 2, v6
	v_and_or_b32 v3, v12, 15, v3
	s_delay_alu instid0(VALU_DEP_4)
	v_lshlrev_b32_e32 v11, 2, v11
	ds_load_b32 v6, v6 offset:2048
	v_lshlrev_b32_e32 v3, 2, v3
	ds_load_b32 v8, v8 offset:2048
	ds_load_b32 v9, v9 offset:2048
	;; [unrolled: 1-line block ×5, first 2 shown]
	s_waitcnt lgkmcnt(7)
	v_add_f32_e32 v0, v5, v0
	s_waitcnt lgkmcnt(5)
	s_delay_alu instid0(VALU_DEP_1) | instskip(NEXT) | instid1(VALU_DEP_1)
	v_add_f32_e32 v0, v0, v6
	v_add_f32_e32 v0, v0, v7
	s_waitcnt lgkmcnt(4)
	s_delay_alu instid0(VALU_DEP_1) | instskip(SKIP_1) | instid1(VALU_DEP_1)
	v_add_f32_e32 v0, v0, v8
	s_waitcnt lgkmcnt(3)
	v_add_f32_e32 v0, v0, v9
	s_waitcnt lgkmcnt(2)
	s_delay_alu instid0(VALU_DEP_1) | instskip(SKIP_1) | instid1(VALU_DEP_1)
	v_add_f32_e32 v0, v0, v10
	s_waitcnt lgkmcnt(1)
	v_add_f32_e32 v0, v0, v11
	s_waitcnt lgkmcnt(0)
	s_delay_alu instid0(VALU_DEP_1) | instskip(NEXT) | instid1(VALU_DEP_1)
	v_add_f32_e32 v0, v0, v3
	v_mul_f32_e32 v0, s12, v0
.LBB68_65:                              ; =>This Inner Loop Header: Depth=1
	s_waitcnt vmcnt(0)
	s_delay_alu instid0(VALU_DEP_1)
	v_add_f32_e32 v3, v4, v0
	global_atomic_cmpswap_b32 v3, v[1:2], v[3:4], off glc
	s_waitcnt vmcnt(0)
	v_cmp_eq_u32_e32 vcc_lo, v3, v4
	v_mov_b32_e32 v4, v3
	s_or_b32 s0, vcc_lo, s0
	s_delay_alu instid0(SALU_CYCLE_1)
	s_and_not1_b32 exec_lo, exec_lo, s0
	s_cbranch_execnz .LBB68_65
.LBB68_66:
	s_endpgm
	.section	.rodata,"a",@progbits
	.p2align	6, 0x0
	.amdhsa_kernel _ZL62rocblas_symv_kernel_upper_double_buffered_non_diagonal_genericILi32ELi8ELi2ELi1E24rocblas_internal_val_ptrIfEPKfPfEvbiT3_lT4_lllS6_lllT5_lllii
		.amdhsa_group_segment_fixed_size 4224
		.amdhsa_private_segment_fixed_size 0
		.amdhsa_kernarg_size 384
		.amdhsa_user_sgpr_count 13
		.amdhsa_user_sgpr_dispatch_ptr 0
		.amdhsa_user_sgpr_queue_ptr 0
		.amdhsa_user_sgpr_kernarg_segment_ptr 1
		.amdhsa_user_sgpr_dispatch_id 0
		.amdhsa_user_sgpr_private_segment_size 0
		.amdhsa_wavefront_size32 1
		.amdhsa_uses_dynamic_stack 0
		.amdhsa_enable_private_segment 0
		.amdhsa_system_sgpr_workgroup_id_x 1
		.amdhsa_system_sgpr_workgroup_id_y 1
		.amdhsa_system_sgpr_workgroup_id_z 1
		.amdhsa_system_sgpr_workgroup_info 0
		.amdhsa_system_vgpr_workitem_id 1
		.amdhsa_next_free_vgpr 40
		.amdhsa_next_free_sgpr 34
		.amdhsa_reserve_vcc 1
		.amdhsa_float_round_mode_32 0
		.amdhsa_float_round_mode_16_64 0
		.amdhsa_float_denorm_mode_32 3
		.amdhsa_float_denorm_mode_16_64 3
		.amdhsa_dx10_clamp 1
		.amdhsa_ieee_mode 1
		.amdhsa_fp16_overflow 0
		.amdhsa_workgroup_processor_mode 1
		.amdhsa_memory_ordered 1
		.amdhsa_forward_progress 0
		.amdhsa_shared_vgpr_count 0
		.amdhsa_exception_fp_ieee_invalid_op 0
		.amdhsa_exception_fp_denorm_src 0
		.amdhsa_exception_fp_ieee_div_zero 0
		.amdhsa_exception_fp_ieee_overflow 0
		.amdhsa_exception_fp_ieee_underflow 0
		.amdhsa_exception_fp_ieee_inexact 0
		.amdhsa_exception_int_div_zero 0
	.end_amdhsa_kernel
	.section	.text._ZL62rocblas_symv_kernel_upper_double_buffered_non_diagonal_genericILi32ELi8ELi2ELi1E24rocblas_internal_val_ptrIfEPKfPfEvbiT3_lT4_lllS6_lllT5_lllii,"axG",@progbits,_ZL62rocblas_symv_kernel_upper_double_buffered_non_diagonal_genericILi32ELi8ELi2ELi1E24rocblas_internal_val_ptrIfEPKfPfEvbiT3_lT4_lllS6_lllT5_lllii,comdat
.Lfunc_end68:
	.size	_ZL62rocblas_symv_kernel_upper_double_buffered_non_diagonal_genericILi32ELi8ELi2ELi1E24rocblas_internal_val_ptrIfEPKfPfEvbiT3_lT4_lllS6_lllT5_lllii, .Lfunc_end68-_ZL62rocblas_symv_kernel_upper_double_buffered_non_diagonal_genericILi32ELi8ELi2ELi1E24rocblas_internal_val_ptrIfEPKfPfEvbiT3_lT4_lllS6_lllT5_lllii
                                        ; -- End function
	.section	.AMDGPU.csdata,"",@progbits
; Kernel info:
; codeLenInByte = 3304
; NumSgprs: 36
; NumVgprs: 40
; ScratchSize: 0
; MemoryBound: 0
; FloatMode: 240
; IeeeMode: 1
; LDSByteSize: 4224 bytes/workgroup (compile time only)
; SGPRBlocks: 4
; VGPRBlocks: 4
; NumSGPRsForWavesPerEU: 36
; NumVGPRsForWavesPerEU: 40
; Occupancy: 16
; WaveLimiterHint : 0
; COMPUTE_PGM_RSRC2:SCRATCH_EN: 0
; COMPUTE_PGM_RSRC2:USER_SGPR: 13
; COMPUTE_PGM_RSRC2:TRAP_HANDLER: 0
; COMPUTE_PGM_RSRC2:TGID_X_EN: 1
; COMPUTE_PGM_RSRC2:TGID_Y_EN: 1
; COMPUTE_PGM_RSRC2:TGID_Z_EN: 1
; COMPUTE_PGM_RSRC2:TIDIG_COMP_CNT: 1
	.section	.text._ZL26rocblas_hemvn_kernel_upperILb0ELi64ELi4ELi33ELi32ELi16ElPKfS1_PfEviT6_lT7_lT5_lS4_lS5_lS3_lT8_i,"axG",@progbits,_ZL26rocblas_hemvn_kernel_upperILb0ELi64ELi4ELi33ELi32ELi16ElPKfS1_PfEviT6_lT7_lT5_lS4_lS5_lS3_lT8_i,comdat
	.globl	_ZL26rocblas_hemvn_kernel_upperILb0ELi64ELi4ELi33ELi32ELi16ElPKfS1_PfEviT6_lT7_lT5_lS4_lS5_lS3_lT8_i ; -- Begin function _ZL26rocblas_hemvn_kernel_upperILb0ELi64ELi4ELi33ELi32ELi16ElPKfS1_PfEviT6_lT7_lT5_lS4_lS5_lS3_lT8_i
	.p2align	8
	.type	_ZL26rocblas_hemvn_kernel_upperILb0ELi64ELi4ELi33ELi32ELi16ElPKfS1_PfEviT6_lT7_lT5_lS4_lS5_lS3_lT8_i,@function
_ZL26rocblas_hemvn_kernel_upperILb0ELi64ELi4ELi33ELi32ELi16ElPKfS1_PfEviT6_lT7_lT5_lS4_lS5_lS3_lT8_i: ; @_ZL26rocblas_hemvn_kernel_upperILb0ELi64ELi4ELi33ELi32ELi16ElPKfS1_PfEviT6_lT7_lT5_lS4_lS5_lS3_lT8_i
; %bb.0:
	s_load_b64 s[4:5], s[0:1], 0x84
	s_add_u32 s2, s0, 0x78
	s_addc_u32 s3, s1, 0
	s_waitcnt lgkmcnt(0)
	s_lshr_b32 s6, s4, 16
	s_and_b32 s4, s4, 0xffff
	s_and_b32 s5, s5, 0xffff
	s_mul_i32 s4, s6, s4
	s_delay_alu instid0(SALU_CYCLE_1) | instskip(NEXT) | instid1(SALU_CYCLE_1)
	s_mul_i32 s4, s4, s5
	s_cmpk_lg_i32 s4, 0x100
	s_cbranch_scc1 .LBB69_126
; %bb.1:
	s_clause 0x1
	s_load_b512 s[16:31], s[0:1], 0x8
	s_load_b256 s[36:43], s[0:1], 0x48
	s_waitcnt lgkmcnt(0)
	s_mul_i32 s5, s15, s19
	s_mul_hi_u32 s6, s15, s18
	s_mul_i32 s4, s15, s18
	s_add_i32 s5, s6, s5
	s_mul_i32 s6, s15, s43
	s_lshl_b64 s[4:5], s[4:5], 2
	s_mul_hi_u32 s7, s15, s42
	s_add_u32 s4, s16, s4
	s_addc_u32 s5, s17, s5
	s_add_i32 s7, s7, s6
	s_mul_i32 s6, s15, s42
	s_delay_alu instid0(SALU_CYCLE_1) | instskip(NEXT) | instid1(SALU_CYCLE_1)
	s_lshl_b64 s[6:7], s[6:7], 2
	s_add_u32 s6, s40, s6
	s_addc_u32 s7, s41, s7
	s_load_b32 s4, s[4:5], 0x0
	s_load_b32 s5, s[6:7], 0x0
	s_waitcnt lgkmcnt(0)
	v_cmp_eq_f32_e64 s4, s4, 0
	v_cmp_eq_f32_e64 s5, s5, 1.0
	s_delay_alu instid0(VALU_DEP_1) | instskip(NEXT) | instid1(SALU_CYCLE_1)
	s_and_b32 s5, s4, s5
	s_and_b32 vcc_lo, exec_lo, s5
	s_cbranch_vccnz .LBB69_126
; %bb.2:
	s_and_b32 vcc_lo, exec_lo, s4
	s_cbranch_vccnz .LBB69_126
; %bb.3:
	s_mul_i32 s5, s15, s39
	s_mul_hi_u32 s6, s15, s38
	s_mul_i32 s4, s15, s38
	s_add_i32 s5, s6, s5
	v_and_b32_e32 v16, 0x3ff, v0
	s_lshl_b64 s[4:5], s[4:5], 2
	s_clause 0x1
	s_load_b32 s33, s[0:1], 0x0
	s_load_b64 s[12:13], s[0:1], 0x68
	s_add_u32 s6, s28, s4
	s_addc_u32 s7, s29, s5
	s_lshl_b64 s[4:5], s[30:31], 2
	v_bfe_u32 v17, v0, 10, 10
	s_add_u32 s4, s6, s4
	s_addc_u32 s5, s7, s5
	s_lshl_b32 s10, s14, 6
	s_load_b32 s7, s[2:3], 0x0
	v_add_nc_u32_e32 v4, s10, v16
	s_delay_alu instid0(VALU_DEP_1) | instskip(SKIP_2) | instid1(VALU_DEP_3)
	v_ashrrev_i32_e32 v5, 31, v4
	v_mul_lo_u32 v3, v4, s37
	v_mad_u64_u32 v[1:2], null, v4, s36, 0
	v_mul_lo_u32 v6, v5, s36
	s_waitcnt lgkmcnt(0)
	s_ashr_i32 s29, s33, 31
	s_delay_alu instid0(SALU_CYCLE_1) | instskip(NEXT) | instid1(SALU_CYCLE_1)
	s_lshr_b32 s0, s29, 26
	s_add_i32 s0, s33, s0
	s_delay_alu instid0(SALU_CYCLE_1) | instskip(NEXT) | instid1(VALU_DEP_1)
	s_and_not1_b32 s0, s0, 63
	v_add3_u32 v2, v2, v3, v6
	s_add_i32 s1, s7, -1
	s_sub_i32 s28, s33, s0
	v_cmp_eq_u32_e64 s0, 0, v17
	s_cmp_eq_u32 s14, s1
	v_lshlrev_b64 v[1:2], 2, v[1:2]
	s_cselect_b32 s8, s28, 0
	s_delay_alu instid0(VALU_DEP_1) | instskip(NEXT) | instid1(VALU_DEP_2)
	v_add_co_u32 v8, vcc_lo, s4, v1
	v_add_co_ci_u32_e32 v9, vcc_lo, s5, v2, vcc_lo
	s_and_saveexec_b32 s1, s0
	s_cbranch_execz .LBB69_7
; %bb.4:
	v_cmp_gt_i32_e32 vcc_lo, s8, v16
	s_cmp_eq_u32 s8, 0
	v_mov_b32_e32 v0, 0
	s_cselect_b32 s2, -1, 0
	s_delay_alu instid0(SALU_CYCLE_1) | instskip(NEXT) | instid1(SALU_CYCLE_1)
	s_or_b32 s3, s2, vcc_lo
	s_and_saveexec_b32 s2, s3
	s_cbranch_execz .LBB69_6
; %bb.5:
	global_load_b32 v0, v[8:9], off
.LBB69_6:
	s_or_b32 exec_lo, exec_lo, s2
	v_lshlrev_b32_e32 v1, 2, v16
	s_waitcnt vmcnt(0)
	ds_store_b32 v1, v0 offset:4544
.LBB69_7:
	s_or_b32 exec_lo, exec_lo, s1
	v_lshl_add_u32 v14, v17, 6, v16
	v_dual_mov_b32 v1, 0 :: v_dual_and_b32 v0, 31, v16
	s_mul_i32 s1, s15, s27
	s_mul_hi_u32 s2, s15, s26
	s_delay_alu instid0(VALU_DEP_2)
	v_lshrrev_b32_e32 v15, 5, v14
	s_add_i32 s3, s2, s1
	s_mul_i32 s2, s15, s26
	v_lshlrev_b32_e32 v19, 2, v0
	s_lshl_b64 s[2:3], s[2:3], 2
	v_mad_u64_u32 v[2:3], null, v15, s24, v[0:1]
	s_add_u32 s1, s20, s2
	s_addc_u32 s4, s21, s3
	s_lshl_b64 s[2:3], s[22:23], 2
	s_delay_alu instid0(SALU_CYCLE_1) | instskip(SKIP_1) | instid1(VALU_DEP_1)
	s_add_u32 s1, s1, s2
	s_addc_u32 s4, s4, s3
	v_mad_u64_u32 v[6:7], null, v15, s25, v[3:4]
	s_ashr_i32 s11, s10, 31
	s_delay_alu instid0(SALU_CYCLE_1) | instskip(NEXT) | instid1(SALU_CYCLE_1)
	s_lshl_b64 s[2:3], s[10:11], 2
	s_add_u32 s1, s1, s2
	s_addc_u32 s4, s4, s3
	s_delay_alu instid0(VALU_DEP_1) | instskip(SKIP_2) | instid1(SALU_CYCLE_1)
	v_mov_b32_e32 v3, v6
	s_mul_i32 s2, s10, s25
	s_mul_hi_u32 s3, s10, s24
	s_add_i32 s2, s3, s2
	s_mul_i32 s3, s11, s24
	v_lshlrev_b64 v[6:7], 2, v[2:3]
	s_add_i32 s3, s2, s3
	s_mul_i32 s2, s10, s24
	s_delay_alu instid0(SALU_CYCLE_1) | instskip(NEXT) | instid1(SALU_CYCLE_1)
	s_lshl_b64 s[2:3], s[2:3], 2
	s_add_u32 s1, s2, s1
	s_addc_u32 s2, s3, s4
	s_cmp_eq_u32 s8, 0
	v_add_co_u32 v10, s1, s1, v6
	s_cselect_b32 s20, -1, 0
	s_cmp_lg_u32 s8, 0
	v_add_co_ci_u32_e64 v11, s1, s2, v7, s1
	v_cmp_gt_i32_e64 s1, s8, v0
	s_cselect_b32 s21, -1, 0
	s_delay_alu instid0(SALU_CYCLE_1)
	s_and_b32 vcc_lo, exec_lo, s21
	s_cbranch_vccz .LBB69_17
; %bb.8:
	v_sub_co_u32 v2, vcc_lo, v10, v19
	s_ashr_i32 s9, s8, 31
	v_subrev_co_ci_u32_e32 v3, vcc_lo, 0, v11, vcc_lo
	s_lshl_b64 s[2:3], s[8:9], 2
	s_mov_b32 s4, exec_lo
	v_add_co_u32 v2, vcc_lo, v2, s2
	s_delay_alu instid0(VALU_DEP_2) | instskip(NEXT) | instid1(VALU_DEP_2)
	v_add_co_ci_u32_e32 v3, vcc_lo, s3, v3, vcc_lo
	v_add_co_u32 v2, vcc_lo, v2, -4
	s_delay_alu instid0(VALU_DEP_2) | instskip(NEXT) | instid1(VALU_DEP_2)
	v_add_co_ci_u32_e32 v3, vcc_lo, -1, v3, vcc_lo
	v_cndmask_b32_e64 v2, v2, v10, s1
	s_delay_alu instid0(VALU_DEP_2)
	v_cndmask_b32_e64 v3, v3, v11, s1
	v_cmpx_gt_i32_e64 s8, v15
	s_cbranch_execz .LBB69_10
; %bb.9:
	global_load_b32 v1, v[2:3], off
.LBB69_10:
	s_or_b32 exec_lo, exec_lo, s4
	v_mul_u32_u24_e32 v12, 33, v15
	v_dual_mov_b32 v18, 0 :: v_dual_add_nc_u32 v13, 8, v15
	s_delay_alu instid0(VALU_DEP_2) | instskip(NEXT) | instid1(VALU_DEP_2)
	v_add_lshl_u32 v12, v12, v0, 2
	v_cmp_gt_i32_e32 vcc_lo, s8, v13
	v_mov_b32_e32 v13, 0
	s_waitcnt vmcnt(0)
	ds_store_b32 v12, v1
	s_and_saveexec_b32 s4, vcc_lo
	s_cbranch_execz .LBB69_12
; %bb.11:
	s_lshl_b64 s[16:17], s[24:25], 5
	s_delay_alu instid0(SALU_CYCLE_1)
	v_add_co_u32 v20, vcc_lo, v2, s16
	v_add_co_ci_u32_e32 v21, vcc_lo, s17, v3, vcc_lo
	global_load_b32 v18, v[20:21], off
.LBB69_12:
	s_or_b32 exec_lo, exec_lo, s4
	v_add_nc_u32_e32 v1, 16, v15
	s_mov_b32 s4, exec_lo
	s_waitcnt vmcnt(0)
	ds_store_b32 v12, v18 offset:1056
	v_cmpx_gt_i32_e64 s8, v1
	s_cbranch_execz .LBB69_14
; %bb.13:
	s_lshl_b64 s[16:17], s[24:25], 6
	s_delay_alu instid0(SALU_CYCLE_1)
	v_add_co_u32 v20, vcc_lo, v2, s16
	v_add_co_ci_u32_e32 v21, vcc_lo, s17, v3, vcc_lo
	global_load_b32 v13, v[20:21], off
.LBB69_14:
	s_or_b32 exec_lo, exec_lo, s4
	v_dual_mov_b32 v18, 0 :: v_dual_add_nc_u32 v1, 24, v15
	s_mov_b32 s4, exec_lo
	s_waitcnt vmcnt(0)
	ds_store_b32 v12, v13 offset:2112
	v_cmpx_gt_i32_e64 s8, v1
	s_cbranch_execz .LBB69_16
; %bb.15:
	v_mad_u64_u32 v[20:21], null, 0x60, s24, v[2:3]
	s_delay_alu instid0(VALU_DEP_1) | instskip(NEXT) | instid1(VALU_DEP_1)
	v_mov_b32_e32 v1, v21
	v_mad_u64_u32 v[21:22], null, 0x60, s25, v[1:2]
	global_load_b32 v18, v[20:21], off
.LBB69_16:
	s_or_b32 exec_lo, exec_lo, s4
	v_add_co_u32 v1, vcc_lo, v2, v19
	v_add_co_ci_u32_e32 v2, vcc_lo, 0, v3, vcc_lo
	s_waitcnt vmcnt(0)
	ds_store_b32 v12, v18 offset:3168
	v_sub_co_u32 v1, vcc_lo, v1, s2
	v_subrev_co_ci_u32_e32 v2, vcc_lo, s3, v2, vcc_lo
	s_delay_alu instid0(VALU_DEP_2) | instskip(NEXT) | instid1(VALU_DEP_2)
	v_add_co_u32 v1, vcc_lo, v1, 4
	v_add_co_ci_u32_e32 v2, vcc_lo, 0, v2, vcc_lo
	s_delay_alu instid0(VALU_DEP_2) | instskip(NEXT) | instid1(VALU_DEP_2)
	v_cndmask_b32_e64 v1, v1, v10, s1
	v_cndmask_b32_e64 v2, v2, v11, s1
	v_mul_u32_u24_e32 v3, 33, v15
	s_branch .LBB69_19
.LBB69_17:
                                        ; implicit-def: $vgpr1_vgpr2
	v_mul_u32_u24_e32 v3, 33, v15
	s_cbranch_execz .LBB69_19
; %bb.18:
	v_mad_u64_u32 v[1:2], null, 0x60, s24, v[10:11]
	s_lshl_b64 s[2:3], s[24:25], 5
	s_delay_alu instid0(SALU_CYCLE_1) | instskip(SKIP_1) | instid1(VALU_DEP_3)
	v_add_co_u32 v20, vcc_lo, v10, s2
	v_add_co_ci_u32_e32 v21, vcc_lo, s3, v11, vcc_lo
	v_mad_u64_u32 v[12:13], null, 0x60, s25, v[2:3]
	s_delay_alu instid0(VALU_DEP_3) | instskip(NEXT) | instid1(VALU_DEP_3)
	v_add_co_u32 v22, vcc_lo, v20, s2
	v_add_co_ci_u32_e32 v23, vcc_lo, s3, v21, vcc_lo
	s_delay_alu instid0(VALU_DEP_3)
	v_mov_b32_e32 v2, v12
	s_clause 0x1
	global_load_b32 v12, v[10:11], off
	global_load_b32 v13, v[20:21], off
	global_load_b32 v18, v[22:23], off
	global_load_b32 v20, v[1:2], off
	v_add_lshl_u32 v21, v3, v0, 2
	v_dual_mov_b32 v1, v10 :: v_dual_mov_b32 v2, v11
	s_waitcnt vmcnt(3)
	ds_store_b32 v21, v12
	s_waitcnt vmcnt(2)
	ds_store_b32 v21, v13 offset:1056
	s_waitcnt vmcnt(1)
	ds_store_b32 v21, v18 offset:2112
	;; [unrolled: 2-line block ×3, first 2 shown]
.LBB69_19:
	v_lshlrev_b32_e32 v21, 2, v15
	v_mul_u32_u24_e32 v20, 33, v0
	v_mul_u32_u24_e32 v10, 0x84, v15
	s_waitcnt lgkmcnt(0)
	s_barrier
	v_cmp_gt_u32_e64 s2, v21, v0
	v_add_lshl_u32 v27, v21, v20, 2
	buffer_gl0_inv
	s_and_saveexec_b32 s1, s2
	s_cbranch_execz .LBB69_21
; %bb.20:
	v_add_lshl_u32 v11, v10, v0, 2
	ds_load_b32 v11, v11
	s_waitcnt lgkmcnt(0)
	ds_store_b32 v27, v11
.LBB69_21:
	s_or_b32 exec_lo, exec_lo, s1
	v_cmp_ge_u32_e64 s3, v21, v0
	s_delay_alu instid0(VALU_DEP_1)
	s_and_saveexec_b32 s1, s3
	s_cbranch_execz .LBB69_23
; %bb.22:
	v_or_b32_e32 v11, 1, v21
	s_delay_alu instid0(VALU_DEP_1) | instskip(NEXT) | instid1(VALU_DEP_1)
	v_mul_u32_u24_e32 v11, 33, v11
	v_add_lshl_u32 v11, v11, v0, 2
	ds_load_b32 v11, v11
	s_waitcnt lgkmcnt(0)
	ds_store_b32 v27, v11 offset:4
.LBB69_23:
	s_or_b32 exec_lo, exec_lo, s1
	v_or_b32_e32 v11, 2, v21
	s_delay_alu instid0(VALU_DEP_1) | instskip(NEXT) | instid1(VALU_DEP_1)
	v_cmp_gt_u32_e64 s4, v11, v0
	s_and_saveexec_b32 s1, s4
	s_cbranch_execz .LBB69_25
; %bb.24:
	v_mul_u32_u24_e32 v11, 33, v11
	s_delay_alu instid0(VALU_DEP_1)
	v_add_lshl_u32 v11, v11, v0, 2
	ds_load_b32 v11, v11
	s_waitcnt lgkmcnt(0)
	ds_store_b32 v27, v11 offset:8
.LBB69_25:
	s_or_b32 exec_lo, exec_lo, s1
	v_or_b32_e32 v11, 3, v21
	s_delay_alu instid0(VALU_DEP_1) | instskip(SKIP_1) | instid1(VALU_DEP_2)
	v_mad_u32_u24 v12, v11, 33, v0
	v_cmp_gt_u32_e64 s5, v11, v0
	v_lshlrev_b32_e32 v24, 2, v12
	s_delay_alu instid0(VALU_DEP_2)
	s_and_saveexec_b32 s1, s5
	s_cbranch_execz .LBB69_27
; %bb.26:
	ds_load_b32 v11, v24
	s_waitcnt lgkmcnt(0)
	ds_store_b32 v27, v11 offset:12
.LBB69_27:
	s_or_b32 exec_lo, exec_lo, s1
	v_add_lshl_u32 v25, v10, v0, 2
	v_lshlrev_b32_e32 v28, 2, v21
	v_add_nc_u32_e32 v26, 0xfffffef8, v24
	s_waitcnt lgkmcnt(0)
	s_barrier
	buffer_gl0_inv
	ds_load_b32 v18, v25
	ds_load_b128 v[10:13], v28 offset:4544
	ds_load_2addr_b32 v[22:23], v26 offset1:33
	ds_load_b32 v29, v24
	v_cmp_gt_u32_e64 s1, 32, v14
	s_waitcnt lgkmcnt(0)
	s_barrier
	buffer_gl0_inv
	v_fma_f32 v10, v18, v10, 0
	v_mov_b32_e32 v18, 0
	s_delay_alu instid0(VALU_DEP_2) | instskip(SKIP_1) | instid1(VALU_DEP_2)
	v_fmac_f32_e32 v10, v22, v11
	v_lshlrev_b32_e32 v22, 2, v20
	v_fmac_f32_e32 v10, v23, v12
	v_add_lshl_u32 v23, v15, v20, 2
	s_delay_alu instid0(VALU_DEP_2)
	v_fmac_f32_e32 v10, v29, v13
	ds_store_b32 v23, v10
	s_waitcnt lgkmcnt(0)
	s_barrier
	buffer_gl0_inv
	s_and_saveexec_b32 s6, s1
	s_cbranch_execz .LBB69_29
; %bb.28:
	ds_load_2addr_b32 v[10:11], v22 offset1:1
	ds_load_2addr_b32 v[12:13], v22 offset0:2 offset1:3
	ds_load_2addr_b32 v[29:30], v22 offset0:4 offset1:5
	;; [unrolled: 1-line block ×3, first 2 shown]
	s_waitcnt lgkmcnt(3)
	v_add_f32_e32 v10, v10, v11
	s_waitcnt lgkmcnt(2)
	s_delay_alu instid0(VALU_DEP_1) | instskip(NEXT) | instid1(VALU_DEP_1)
	v_add_f32_e32 v10, v10, v12
	v_add_f32_e32 v10, v10, v13
	s_waitcnt lgkmcnt(1)
	s_delay_alu instid0(VALU_DEP_1) | instskip(NEXT) | instid1(VALU_DEP_1)
	v_add_f32_e32 v10, v10, v29
	;; [unrolled: 4-line block ×3, first 2 shown]
	v_add_f32_e32 v18, v10, v32
.LBB69_29:
	s_or_b32 exec_lo, exec_lo, s6
	s_lshl_b64 s[16:17], s[24:25], 7
	s_delay_alu instid0(SALU_CYCLE_1) | instskip(SKIP_2) | instid1(VALU_DEP_2)
	v_add_co_u32 v12, vcc_lo, v1, s16
	v_add_co_ci_u32_e32 v13, vcc_lo, s17, v2, vcc_lo
	s_lshl_b64 s[16:17], s[24:25], 5
	v_add_co_u32 v10, vcc_lo, 0x80, v12
	s_delay_alu instid0(VALU_DEP_2)
	v_add_co_ci_u32_e32 v11, vcc_lo, 0, v13, vcc_lo
	s_and_b32 vcc_lo, exec_lo, s21
	s_barrier
	buffer_gl0_inv
	s_cbranch_vccz .LBB69_39
; %bb.30:
	v_sub_co_u32 v1, vcc_lo, v10, v19
	s_ashr_i32 s9, s8, 31
	v_subrev_co_ci_u32_e32 v2, vcc_lo, 0, v11, vcc_lo
	s_lshl_b64 s[18:19], s[8:9], 2
	v_or_b32_e32 v29, 32, v0
	v_add_co_u32 v1, vcc_lo, v1, s18
	s_delay_alu instid0(VALU_DEP_3) | instskip(SKIP_1) | instid1(VALU_DEP_2)
	v_add_co_ci_u32_e32 v2, vcc_lo, s19, v2, vcc_lo
	s_sub_i32 s9, s8, 32
	v_add_co_u32 v1, vcc_lo, 0xffffff7c, v1
	s_delay_alu instid0(VALU_DEP_2) | instskip(SKIP_3) | instid1(VALU_DEP_3)
	v_add_co_ci_u32_e32 v2, vcc_lo, -1, v2, vcc_lo
	v_cmp_gt_i32_e32 vcc_lo, s8, v29
	v_dual_mov_b32 v31, 0 :: v_dual_mov_b32 v30, 0
	s_mov_b32 s22, exec_lo
	v_dual_cndmask_b32 v2, v2, v11 :: v_dual_cndmask_b32 v1, v1, v10
	v_cmpx_gt_i32_e64 s9, v15
	s_cbranch_execz .LBB69_32
; %bb.31:
	global_load_b32 v30, v[1:2], off
.LBB69_32:
	s_or_b32 exec_lo, exec_lo, s22
	v_add_nc_u32_e32 v32, 8, v15
	v_add_lshl_u32 v29, v3, v0, 2
	s_mov_b32 s22, exec_lo
	s_waitcnt vmcnt(0)
	ds_store_b32 v29, v30
	v_cmpx_gt_i32_e64 s9, v32
	s_cbranch_execz .LBB69_34
; %bb.33:
	v_add_co_u32 v30, s6, v1, s16
	s_delay_alu instid0(VALU_DEP_1)
	v_add_co_ci_u32_e64 v31, s6, s17, v2, s6
	global_load_b32 v31, v[30:31], off
.LBB69_34:
	s_or_b32 exec_lo, exec_lo, s22
	v_add_nc_u32_e32 v32, 16, v15
	v_mov_b32_e32 v30, 0
	s_waitcnt vmcnt(0)
	ds_store_b32 v29, v31 offset:1056
	v_cmp_gt_i32_e64 s6, s9, v32
	v_mov_b32_e32 v32, 0
	s_delay_alu instid0(VALU_DEP_2)
	s_and_saveexec_b32 s22, s6
	s_cbranch_execz .LBB69_36
; %bb.35:
	s_lshl_b64 s[26:27], s[24:25], 6
	s_delay_alu instid0(SALU_CYCLE_1) | instskip(NEXT) | instid1(VALU_DEP_1)
	v_add_co_u32 v31, s6, v1, s26
	v_add_co_ci_u32_e64 v32, s6, s27, v2, s6
	global_load_b32 v32, v[31:32], off
.LBB69_36:
	s_or_b32 exec_lo, exec_lo, s22
	v_add_nc_u32_e32 v31, 24, v15
	s_waitcnt vmcnt(0)
	ds_store_b32 v29, v32 offset:2112
	v_cmp_gt_i32_e64 s6, s9, v31
	s_delay_alu instid0(VALU_DEP_1)
	s_and_saveexec_b32 s9, s6
	s_cbranch_execz .LBB69_38
; %bb.37:
	v_mad_u64_u32 v[30:31], null, 0x60, s24, v[1:2]
	s_delay_alu instid0(VALU_DEP_1) | instskip(NEXT) | instid1(VALU_DEP_1)
	v_mad_u64_u32 v[32:33], null, 0x60, s25, v[31:32]
	v_mov_b32_e32 v31, v32
	global_load_b32 v30, v[30:31], off
.LBB69_38:
	s_or_b32 exec_lo, exec_lo, s9
	v_add_co_u32 v1, s6, v1, v19
	s_delay_alu instid0(VALU_DEP_1) | instskip(SKIP_3) | instid1(VALU_DEP_1)
	v_add_co_ci_u32_e64 v2, s6, 0, v2, s6
	s_waitcnt vmcnt(0)
	ds_store_b32 v29, v30 offset:3168
	v_sub_co_u32 v1, s6, v1, s18
	v_subrev_co_ci_u32_e64 v2, s6, s19, v2, s6
	s_delay_alu instid0(VALU_DEP_2) | instskip(NEXT) | instid1(VALU_DEP_1)
	v_add_co_u32 v1, s6, 0x84, v1
	v_add_co_ci_u32_e64 v2, s6, 0, v2, s6
	s_delay_alu instid0(VALU_DEP_1)
	v_dual_cndmask_b32 v1, v1, v10 :: v_dual_cndmask_b32 v2, v2, v11
	s_branch .LBB69_41
.LBB69_39:
                                        ; implicit-def: $vgpr1_vgpr2
	s_cbranch_execz .LBB69_41
; %bb.40:
	v_mad_u64_u32 v[1:2], null, 0x60, s24, v[12:13]
	s_delay_alu instid0(VALU_DEP_1) | instskip(SKIP_2) | instid1(VALU_DEP_2)
	v_mad_u64_u32 v[29:30], null, 0x60, s25, v[2:3]
	v_add_co_u32 v30, vcc_lo, v12, s16
	v_add_co_ci_u32_e32 v31, vcc_lo, s17, v13, vcc_lo
	v_add_co_u32 v32, vcc_lo, v30, s16
	s_delay_alu instid0(VALU_DEP_2)
	v_add_co_ci_u32_e32 v33, vcc_lo, s17, v31, vcc_lo
	v_mov_b32_e32 v2, v29
	s_clause 0x3
	global_load_b32 v12, v[12:13], off offset:128
	global_load_b32 v13, v[30:31], off offset:128
	;; [unrolled: 1-line block ×4, first 2 shown]
	v_add_lshl_u32 v31, v3, v0, 2
	v_dual_mov_b32 v1, v10 :: v_dual_mov_b32 v2, v11
	s_waitcnt vmcnt(3)
	ds_store_b32 v31, v12
	s_waitcnt vmcnt(2)
	ds_store_b32 v31, v13 offset:1056
	s_waitcnt vmcnt(1)
	ds_store_b32 v31, v29 offset:2112
	;; [unrolled: 2-line block ×3, first 2 shown]
.LBB69_41:
	s_waitcnt lgkmcnt(0)
	s_barrier
	buffer_gl0_inv
	s_and_saveexec_b32 s6, s2
	s_cbranch_execnz .LBB69_58
; %bb.42:
	s_or_b32 exec_lo, exec_lo, s6
	s_and_saveexec_b32 s2, s3
	s_cbranch_execnz .LBB69_59
.LBB69_43:
	s_or_b32 exec_lo, exec_lo, s2
	s_and_saveexec_b32 s2, s4
	s_cbranch_execnz .LBB69_60
.LBB69_44:
	s_or_b32 exec_lo, exec_lo, s2
	v_add_nc_u32_e32 v28, 0x11c0, v28
	s_and_saveexec_b32 s2, s5
	s_cbranch_execz .LBB69_46
.LBB69_45:
	ds_load_b32 v10, v24
	s_waitcnt lgkmcnt(0)
	ds_store_b32 v27, v10 offset:12
.LBB69_46:
	s_or_b32 exec_lo, exec_lo, s2
	s_waitcnt lgkmcnt(0)
	s_barrier
	buffer_gl0_inv
	ds_load_b32 v27, v25
	ds_load_b128 v[10:13], v28 offset:128
	ds_load_2addr_b32 v[29:30], v26 offset1:33
	ds_load_b32 v31, v24
	v_cmp_eq_u32_e64 s2, 1, v15
	s_waitcnt lgkmcnt(0)
	s_barrier
	buffer_gl0_inv
	v_fma_f32 v10, v27, v10, 0
	s_delay_alu instid0(VALU_DEP_1) | instskip(NEXT) | instid1(VALU_DEP_1)
	v_fmac_f32_e32 v10, v29, v11
	v_fmac_f32_e32 v10, v30, v12
	s_delay_alu instid0(VALU_DEP_1)
	v_fmac_f32_e32 v10, v31, v13
	ds_store_b32 v23, v10
	s_waitcnt lgkmcnt(0)
	s_barrier
	buffer_gl0_inv
	s_and_saveexec_b32 s3, s2
	s_cbranch_execz .LBB69_48
; %bb.47:
	ds_load_2addr_b32 v[10:11], v22 offset1:1
	ds_load_2addr_b32 v[12:13], v22 offset0:2 offset1:3
	ds_load_2addr_b32 v[29:30], v22 offset0:4 offset1:5
	ds_load_2addr_b32 v[31:32], v22 offset0:6 offset1:7
	s_waitcnt lgkmcnt(3)
	v_add_f32_e32 v10, v10, v11
	s_waitcnt lgkmcnt(2)
	s_delay_alu instid0(VALU_DEP_1) | instskip(NEXT) | instid1(VALU_DEP_1)
	v_add_f32_e32 v10, v10, v12
	v_add_f32_e32 v10, v10, v13
	s_waitcnt lgkmcnt(1)
	s_delay_alu instid0(VALU_DEP_1) | instskip(NEXT) | instid1(VALU_DEP_1)
	v_add_f32_e32 v10, v10, v29
	;; [unrolled: 4-line block ×3, first 2 shown]
	v_add_f32_e32 v18, v10, v32
.LBB69_48:
	s_or_b32 exec_lo, exec_lo, s3
	v_add_co_u32 v12, vcc_lo, 0xffffff80, v1
	v_add_co_ci_u32_e32 v13, vcc_lo, -1, v2, vcc_lo
	s_and_b32 vcc_lo, exec_lo, s21
	s_barrier
	buffer_gl0_inv
	s_cbranch_vccz .LBB69_61
; %bb.49:
	v_sub_co_u32 v10, vcc_lo, v1, v19
	s_ashr_i32 s9, s8, 31
	v_subrev_co_ci_u32_e32 v11, vcc_lo, 0, v2, vcc_lo
	s_lshl_b64 s[4:5], s[8:9], 2
	s_sub_i32 s6, s8, 32
	v_add_co_u32 v10, vcc_lo, v10, s4
	s_delay_alu instid0(VALU_DEP_2) | instskip(SKIP_1) | instid1(VALU_DEP_2)
	v_add_co_ci_u32_e32 v11, vcc_lo, s5, v11, vcc_lo
	s_mov_b32 s9, exec_lo
	v_add_co_u32 v10, vcc_lo, 0xffffff7c, v10
	s_delay_alu instid0(VALU_DEP_2) | instskip(SKIP_2) | instid1(VALU_DEP_3)
	v_add_co_ci_u32_e32 v11, vcc_lo, -1, v11, vcc_lo
	v_cmp_gt_i32_e32 vcc_lo, s8, v0
	v_dual_mov_b32 v30, 0 :: v_dual_mov_b32 v29, 0
	v_dual_cndmask_b32 v11, v11, v13 :: v_dual_cndmask_b32 v10, v10, v12
	v_cmpx_gt_i32_e64 s6, v15
	s_cbranch_execz .LBB69_51
; %bb.50:
	global_load_b32 v29, v[10:11], off
.LBB69_51:
	s_or_b32 exec_lo, exec_lo, s9
	v_add_nc_u32_e32 v27, 8, v15
	v_add_lshl_u32 v31, v3, v0, 2
	s_mov_b32 s9, exec_lo
	s_waitcnt vmcnt(0)
	ds_store_b32 v31, v29
	v_cmpx_gt_i32_e64 s6, v27
	s_cbranch_execz .LBB69_53
; %bb.52:
	v_add_co_u32 v29, s3, v10, s16
	s_delay_alu instid0(VALU_DEP_1)
	v_add_co_ci_u32_e64 v30, s3, s17, v11, s3
	global_load_b32 v30, v[29:30], off
.LBB69_53:
	s_or_b32 exec_lo, exec_lo, s9
	v_dual_mov_b32 v32, 0 :: v_dual_add_nc_u32 v29, 16, v15
	v_mov_b32_e32 v33, 0
	s_mov_b32 s9, exec_lo
	s_waitcnt vmcnt(0)
	ds_store_b32 v31, v30 offset:1056
	v_cmpx_gt_i32_e64 s6, v29
	s_cbranch_execz .LBB69_55
; %bb.54:
	s_lshl_b64 s[18:19], s[24:25], 6
	s_delay_alu instid0(SALU_CYCLE_1) | instskip(NEXT) | instid1(VALU_DEP_1)
	v_add_co_u32 v33, s3, v10, s18
	v_add_co_ci_u32_e64 v34, s3, s19, v11, s3
	global_load_b32 v33, v[33:34], off
.LBB69_55:
	s_or_b32 exec_lo, exec_lo, s9
	v_add_nc_u32_e32 v30, 24, v15
	s_waitcnt vmcnt(0)
	ds_store_b32 v31, v33 offset:2112
	v_cmp_gt_i32_e64 s3, s6, v30
	s_delay_alu instid0(VALU_DEP_1)
	s_and_saveexec_b32 s6, s3
	s_cbranch_execz .LBB69_57
; %bb.56:
	v_mad_u64_u32 v[32:33], null, 0x60, s24, v[10:11]
	s_delay_alu instid0(VALU_DEP_1) | instskip(NEXT) | instid1(VALU_DEP_1)
	v_mad_u64_u32 v[34:35], null, 0x60, s25, v[33:34]
	v_mov_b32_e32 v33, v34
	global_load_b32 v32, v[32:33], off
.LBB69_57:
	s_or_b32 exec_lo, exec_lo, s6
	v_add_co_u32 v10, s3, v10, v19
	s_delay_alu instid0(VALU_DEP_1) | instskip(SKIP_3) | instid1(VALU_DEP_1)
	v_add_co_ci_u32_e64 v11, s3, 0, v11, s3
	s_waitcnt vmcnt(0)
	ds_store_b32 v31, v32 offset:3168
	v_sub_co_u32 v10, s3, v10, s4
	v_subrev_co_ci_u32_e64 v11, s3, s5, v11, s3
	s_delay_alu instid0(VALU_DEP_2) | instskip(NEXT) | instid1(VALU_DEP_1)
	v_add_co_u32 v10, s3, v10, 4
	v_add_co_ci_u32_e64 v11, s3, 0, v11, s3
	s_delay_alu instid0(VALU_DEP_1)
	v_dual_cndmask_b32 v10, v10, v12 :: v_dual_cndmask_b32 v11, v11, v13
	s_branch .LBB69_63
.LBB69_58:
	ds_load_b32 v10, v25
	s_waitcnt lgkmcnt(0)
	ds_store_b32 v27, v10
	s_or_b32 exec_lo, exec_lo, s6
	s_and_saveexec_b32 s2, s3
	s_cbranch_execz .LBB69_43
.LBB69_59:
	ds_load_b32 v10, v26
	s_waitcnt lgkmcnt(0)
	ds_store_b32 v27, v10 offset:4
	s_or_b32 exec_lo, exec_lo, s2
	s_and_saveexec_b32 s2, s4
	s_cbranch_execz .LBB69_44
.LBB69_60:
	ds_load_b32 v10, v26 offset:132
	s_waitcnt lgkmcnt(0)
	ds_store_b32 v27, v10 offset:8
	s_or_b32 exec_lo, exec_lo, s2
	v_add_nc_u32_e32 v28, 0x11c0, v28
	s_and_saveexec_b32 s2, s5
	s_cbranch_execnz .LBB69_45
	s_branch .LBB69_46
.LBB69_61:
                                        ; implicit-def: $vgpr10_vgpr11
                                        ; implicit-def: $vgpr27
                                        ; implicit-def: $vgpr29
                                        ; implicit-def: $vgpr30
	s_cbranch_execz .LBB69_63
; %bb.62:
	v_mad_u64_u32 v[10:11], null, 0x60, s24, v[1:2]
	v_add_nc_u32_e32 v27, 8, v15
	v_add_lshl_u32 v0, v3, v0, 2
	s_delay_alu instid0(VALU_DEP_3) | instskip(SKIP_2) | instid1(VALU_DEP_2)
	v_mad_u64_u32 v[29:30], null, 0x60, s25, v[11:12]
	v_add_co_u32 v30, vcc_lo, v1, s16
	v_add_co_ci_u32_e32 v31, vcc_lo, s17, v2, vcc_lo
	v_add_co_u32 v32, vcc_lo, v30, s16
	s_delay_alu instid0(VALU_DEP_2)
	v_add_co_ci_u32_e32 v33, vcc_lo, s17, v31, vcc_lo
	v_mov_b32_e32 v11, v29
	s_clause 0x3
	global_load_b32 v1, v[1:2], off offset:-128
	global_load_b32 v2, v[30:31], off offset:-128
	;; [unrolled: 1-line block ×4, first 2 shown]
	v_add_nc_u32_e32 v30, 24, v15
	v_dual_mov_b32 v10, v12 :: v_dual_add_nc_u32 v29, 16, v15
	v_mov_b32_e32 v11, v13
	s_waitcnt vmcnt(3)
	ds_store_b32 v0, v1
	s_waitcnt vmcnt(2)
	ds_store_b32 v0, v2 offset:1056
	s_waitcnt vmcnt(1)
	ds_store_b32 v0, v19 offset:2112
	;; [unrolled: 2-line block ×3, first 2 shown]
.LBB69_63:
	s_waitcnt lgkmcnt(0)
	s_barrier
	buffer_gl0_inv
	ds_load_b32 v12, v23
	ds_load_b32 v13, v21 offset:4544
	v_add_lshl_u32 v0, v27, v20, 2
	v_lshlrev_b32_e32 v1, 2, v27
	ds_load_b32 v21, v0
	ds_load_b32 v27, v1 offset:4544
	v_add_lshl_u32 v2, v29, v20, 2
	v_lshlrev_b32_e32 v3, 2, v29
	v_add_lshl_u32 v0, v30, v20, 2
	v_lshlrev_b32_e32 v1, 2, v30
	ds_load_b32 v20, v2
	ds_load_b32 v29, v3 offset:4544
	ds_load_b32 v30, v0
	ds_load_b32 v31, v1 offset:4544
	ds_load_b32 v15, v25
	ds_load_b128 v[0:3], v28 offset:128
	s_waitcnt lgkmcnt(8)
	v_fma_f32 v25, v12, v13, 0
	ds_load_2addr_b32 v[12:13], v26 offset1:33
	ds_load_b32 v19, v24
	s_waitcnt lgkmcnt(0)
	s_barrier
	buffer_gl0_inv
	v_fmac_f32_e32 v25, v21, v27
	s_delay_alu instid0(VALU_DEP_1) | instskip(NEXT) | instid1(VALU_DEP_1)
	v_fmac_f32_e32 v25, v20, v29
	v_fmac_f32_e32 v25, v30, v31
	ds_store_b32 v23, v25
	s_waitcnt lgkmcnt(0)
	s_barrier
	buffer_gl0_inv
	s_and_saveexec_b32 s3, s2
	s_cbranch_execz .LBB69_65
; %bb.64:
	ds_load_2addr_b32 v[20:21], v22 offset1:1
	ds_load_2addr_b32 v[24:25], v22 offset0:2 offset1:3
	ds_load_2addr_b32 v[26:27], v22 offset0:4 offset1:5
	;; [unrolled: 1-line block ×3, first 2 shown]
	s_waitcnt lgkmcnt(3)
	v_add_f32_e32 v18, v18, v20
	s_delay_alu instid0(VALU_DEP_1) | instskip(SKIP_1) | instid1(VALU_DEP_1)
	v_add_f32_e32 v18, v18, v21
	s_waitcnt lgkmcnt(2)
	v_add_f32_e32 v18, v18, v24
	s_delay_alu instid0(VALU_DEP_1) | instskip(SKIP_1) | instid1(VALU_DEP_1)
	v_add_f32_e32 v18, v18, v25
	;; [unrolled: 4-line block ×3, first 2 shown]
	s_waitcnt lgkmcnt(0)
	v_add_f32_e32 v18, v18, v28
	s_delay_alu instid0(VALU_DEP_1)
	v_add_f32_e32 v18, v18, v29
.LBB69_65:
	s_or_b32 exec_lo, exec_lo, s3
	v_fma_f32 v0, v15, v0, 0
	s_barrier
	buffer_gl0_inv
	v_fmac_f32_e32 v0, v12, v1
	s_delay_alu instid0(VALU_DEP_1) | instskip(NEXT) | instid1(VALU_DEP_1)
	v_fmac_f32_e32 v0, v13, v2
	v_fmac_f32_e32 v0, v19, v3
	ds_store_b32 v23, v0
	s_waitcnt lgkmcnt(0)
	s_barrier
	buffer_gl0_inv
	s_and_saveexec_b32 s2, s1
	s_cbranch_execz .LBB69_67
; %bb.66:
	ds_load_2addr_b32 v[0:1], v22 offset1:1
	ds_load_2addr_b32 v[2:3], v22 offset0:2 offset1:3
	ds_load_2addr_b32 v[12:13], v22 offset0:4 offset1:5
	;; [unrolled: 1-line block ×3, first 2 shown]
	s_waitcnt lgkmcnt(3)
	v_add_f32_e32 v0, v18, v0
	s_delay_alu instid0(VALU_DEP_1) | instskip(SKIP_1) | instid1(VALU_DEP_1)
	v_add_f32_e32 v0, v0, v1
	s_waitcnt lgkmcnt(2)
	v_add_f32_e32 v0, v0, v2
	s_delay_alu instid0(VALU_DEP_1) | instskip(SKIP_1) | instid1(VALU_DEP_1)
	v_add_f32_e32 v0, v0, v3
	;; [unrolled: 4-line block ×3, first 2 shown]
	s_waitcnt lgkmcnt(0)
	v_add_f32_e32 v0, v0, v19
	s_delay_alu instid0(VALU_DEP_1)
	v_add_f32_e32 v18, v0, v20
.LBB69_67:
	s_or_b32 exec_lo, exec_lo, s2
	s_mul_hi_u32 s1, s33, s15
	s_mul_i32 s29, s29, s15
	s_mul_i32 s2, s33, s15
	s_add_i32 s1, s1, s29
	s_mul_hi_u32 s3, s2, s7
	s_mul_i32 s1, s1, s7
	s_mul_i32 s2, s2, s7
	s_add_i32 s3, s3, s1
	s_mul_hi_i32 s5, s33, s14
	s_lshl_b64 s[2:3], s[2:3], 2
	s_mul_i32 s4, s33, s14
	s_add_u32 s1, s12, s2
	s_addc_u32 s2, s13, s3
	s_lshl_b64 s[4:5], s[4:5], 2
	v_lshlrev_b32_e32 v19, 2, v16
	s_add_u32 s3, s1, s4
	s_addc_u32 s6, s2, s5
	s_add_i32 s1, s14, 1
	s_delay_alu instid0(SALU_CYCLE_1)
	s_cmp_ge_u32 s1, s7
	s_barrier
	buffer_gl0_inv
	s_cbranch_scc1 .LBB69_124
; %bb.68:
	v_and_b32_e32 v12, 48, v16
	v_lshlrev_b32_e32 v68, 4, v17
	s_mul_i32 s1, s10, s37
	s_mul_hi_u32 s2, s10, s36
	s_mul_i32 s4, s11, s36
	s_add_i32 s1, s2, s1
	v_and_b32_e32 v13, 15, v16
	s_add_i32 s5, s1, s4
	v_lshrrev_b32_e32 v15, 4, v14
	v_lshlrev_b32_e32 v0, 2, v12
	v_or_b32_e32 v1, 60, v19
	v_and_b32_e32 v2, 0x1fff0, v14
	v_cmp_gt_u32_e64 s1, 64, v14
	v_add_nc_u32_e32 v14, 0x80, v68
	v_add_nc_u32_e32 v46, 0x88, v68
	v_mad_u32_u24 v25, 0x10c, v13, v0
	v_mad_u32_u24 v26, 0x10c, v13, v1
	;; [unrolled: 1-line block ×3, first 2 shown]
	v_mad_u64_u32 v[0:1], null, s24, v14, 0
	v_mad_u64_u32 v[2:3], null, s24, v46, 0
	s_mul_i32 s4, s10, s36
	v_lshlrev_b32_e32 v20, 2, v17
	s_lshl_b64 s[4:5], s[4:5], 2
	v_add_nc_u32_e32 v52, 0xc0, v68
	v_sub_co_u32 v21, vcc_lo, v8, s4
	v_subrev_co_ci_u32_e32 v22, vcc_lo, s5, v9, vcc_lo
	v_mad_u64_u32 v[8:9], null, s25, v14, v[1:2]
	v_dual_mov_b32 v1, v3 :: v_dual_add_nc_u32 v14, 0x84, v68
	v_add_nc_u32_e32 v53, 0xc4, v68
	v_mul_i32_i24_e32 v78, -12, v15
	v_or_b32_e32 v28, 1, v20
	v_or_b32_e32 v29, 2, v20
	v_mov_b32_e32 v3, v8
	v_mad_u64_u32 v[8:9], null, s25, v46, v[1:2]
	v_sub_co_u32 v1, vcc_lo, v0, v6
	s_delay_alu instid0(VALU_DEP_3) | instskip(SKIP_2) | instid1(VALU_DEP_4)
	v_sub_co_ci_u32_e32 v3, vcc_lo, v3, v7, vcc_lo
	v_or_b32_e32 v45, v12, v13
	v_mad_u64_u32 v[12:13], null, s24, v14, 0
	v_add_co_u32 v46, vcc_lo, v10, v1
	s_delay_alu instid0(VALU_DEP_4) | instskip(SKIP_4) | instid1(VALU_DEP_4)
	v_add_co_ci_u32_e32 v47, vcc_lo, v11, v3, vcc_lo
	v_mov_b32_e32 v3, v8
	v_sub_co_u32 v2, vcc_lo, v2, v6
	v_dual_mov_b32 v0, v13 :: v_dual_add_nc_u32 v23, 0x10c0, v19
	v_add_nc_u32_e32 v13, 0x8c, v68
	v_sub_co_ci_u32_e32 v3, vcc_lo, v3, v7, vcc_lo
	s_delay_alu instid0(VALU_DEP_4) | instskip(NEXT) | instid1(VALU_DEP_4)
	v_add_co_u32 v48, vcc_lo, v10, v2
	v_mad_u64_u32 v[8:9], null, s25, v14, v[0:1]
	s_delay_alu instid0(VALU_DEP_4) | instskip(NEXT) | instid1(VALU_DEP_4)
	v_mad_u64_u32 v[0:1], null, s24, v13, 0
	v_add_co_ci_u32_e32 v49, vcc_lo, v11, v3, vcc_lo
	v_mad_u64_u32 v[2:3], null, s24, v52, 0
	v_sub_co_u32 v14, vcc_lo, v12, v6
	v_sub_co_ci_u32_e32 v15, vcc_lo, v8, v7, vcc_lo
	v_add_nc_u32_e32 v24, 0x11c0, v19
	s_delay_alu instid0(VALU_DEP_3) | instskip(SKIP_4) | instid1(VALU_DEP_3)
	v_add_co_u32 v50, vcc_lo, v10, v14
	v_mad_u64_u32 v[8:9], null, s25, v13, v[1:2]
	v_mov_b32_e32 v1, v3
	v_mad_u64_u32 v[12:13], null, s24, v53, 0
	v_add_co_ci_u32_e32 v51, vcc_lo, v11, v15, vcc_lo
	v_mad_u64_u32 v[14:15], null, s25, v52, v[1:2]
	v_mov_b32_e32 v3, v8
	v_or_b32_e32 v30, 3, v20
	v_mov_b32_e32 v1, v13
	v_sub_co_u32 v13, vcc_lo, v0, v6
	v_add_nc_u32_e32 v15, 0xc8, v68
	v_sub_co_ci_u32_e32 v3, vcc_lo, v3, v7, vcc_lo
	s_delay_alu instid0(VALU_DEP_4)
	v_mad_u64_u32 v[8:9], null, s25, v53, v[1:2]
	v_add_nc_u32_e32 v58, 0xcc, v68
	v_add_co_u32 v52, vcc_lo, v10, v13
	v_mad_u64_u32 v[0:1], null, s24, v15, 0
	v_add_co_ci_u32_e32 v53, vcc_lo, v11, v3, vcc_lo
	v_sub_co_u32 v13, vcc_lo, v2, v6
	v_mov_b32_e32 v2, v8
	v_mad_u64_u32 v[8:9], null, s24, v58, 0
	v_sub_co_ci_u32_e32 v14, vcc_lo, v14, v7, vcc_lo
	v_sub_co_u32 v12, vcc_lo, v12, v6
	s_delay_alu instid0(VALU_DEP_4)
	v_sub_co_ci_u32_e32 v57, vcc_lo, v2, v7, vcc_lo
	v_mad_u64_u32 v[2:3], null, s25, v15, v[1:2]
	v_add_co_u32 v54, vcc_lo, v10, v13
	v_add_co_ci_u32_e32 v55, vcc_lo, v11, v14, vcc_lo
	v_add_co_u32 v56, vcc_lo, v10, v12
	v_mov_b32_e32 v1, v9
	v_add_nc_u32_e32 v9, 0x100, v68
	v_add_co_ci_u32_e32 v57, vcc_lo, v11, v57, vcc_lo
	v_sub_co_u32 v0, vcc_lo, v0, v6
	v_sub_co_ci_u32_e32 v14, vcc_lo, v2, v7, vcc_lo
	s_delay_alu instid0(VALU_DEP_4)
	v_mad_u64_u32 v[2:3], null, s24, v9, 0
	v_add_nc_u32_e32 v31, 0x10c0, v68
	v_add_nc_u32_e32 v66, 0x10c, v68
	;; [unrolled: 1-line block ×5, first 2 shown]
	v_mad_u32_u24 v32, 0x430, v17, v19
	v_mad_u64_u32 v[12:13], null, s25, v58, v[1:2]
	v_add_nc_u32_e32 v1, 0x104, v68
	v_add_co_u32 v58, vcc_lo, v10, v0
	v_mov_b32_e32 v0, v3
	v_add_nc_u32_e32 v34, 17, v20
	v_add_co_ci_u32_e32 v59, vcc_lo, v11, v14, vcc_lo
	v_mov_b32_e32 v3, v12
	s_delay_alu instid0(VALU_DEP_4) | instskip(SKIP_1) | instid1(VALU_DEP_3)
	v_mad_u64_u32 v[62:63], null, s25, v9, v[0:1]
	v_sub_co_u32 v8, vcc_lo, v8, v6
	v_sub_co_ci_u32_e32 v3, vcc_lo, v3, v7, vcc_lo
	v_mad_u64_u32 v[13:14], null, s24, v1, 0
	s_delay_alu instid0(VALU_DEP_3) | instskip(SKIP_1) | instid1(VALU_DEP_4)
	v_add_co_u32 v60, vcc_lo, v10, v8
	v_add_nc_u32_e32 v36, 19, v20
	v_add_co_ci_u32_e32 v61, vcc_lo, v11, v3, vcc_lo
	v_mov_b32_e32 v3, v62
	v_sub_co_u32 v2, vcc_lo, v2, v6
	v_dual_mov_b32 v0, v14 :: v_dual_add_nc_u32 v33, 16, v20
	v_add_nc_u32_e32 v12, 0x108, v68
	s_delay_alu instid0(VALU_DEP_4) | instskip(NEXT) | instid1(VALU_DEP_4)
	v_sub_co_ci_u32_e32 v3, vcc_lo, v3, v7, vcc_lo
	v_add_co_u32 v62, vcc_lo, v10, v2
	s_delay_alu instid0(VALU_DEP_4) | instskip(NEXT) | instid1(VALU_DEP_4)
	v_mad_u64_u32 v[8:9], null, s25, v1, v[0:1]
	v_mad_u64_u32 v[0:1], null, s24, v12, 0
	s_delay_alu instid0(VALU_DEP_4) | instskip(SKIP_4) | instid1(VALU_DEP_3)
	v_add_co_ci_u32_e32 v63, vcc_lo, v11, v3, vcc_lo
	v_mad_u64_u32 v[2:3], null, s24, v66, 0
	v_sub_co_u32 v14, vcc_lo, v13, v6
	v_sub_co_ci_u32_e32 v15, vcc_lo, v8, v7, vcc_lo
	v_add_nc_u32_e32 v38, 33, v20
	v_add_co_u32 v64, vcc_lo, v10, v14
	v_mad_u64_u32 v[8:9], null, s25, v12, v[1:2]
	v_mov_b32_e32 v1, v3
	v_mad_u64_u32 v[12:13], null, s24, v67, 0
	v_add_co_ci_u32_e32 v65, vcc_lo, v11, v15, vcc_lo
	s_delay_alu instid0(VALU_DEP_3) | instskip(SKIP_1) | instid1(VALU_DEP_4)
	v_mad_u64_u32 v[14:15], null, s25, v66, v[1:2]
	v_dual_mov_b32 v3, v8 :: v_dual_add_nc_u32 v40, 35, v20
	v_mov_b32_e32 v1, v13
	v_add_nc_u32_e32 v15, 0x144, v68
	v_sub_co_u32 v13, vcc_lo, v0, v6
	s_delay_alu instid0(VALU_DEP_4) | instskip(NEXT) | instid1(VALU_DEP_4)
	v_sub_co_ci_u32_e32 v3, vcc_lo, v3, v7, vcc_lo
	v_mad_u64_u32 v[8:9], null, s25, v67, v[1:2]
	s_delay_alu instid0(VALU_DEP_4) | instskip(NEXT) | instid1(VALU_DEP_4)
	v_mad_u64_u32 v[0:1], null, s24, v15, 0
	v_add_co_u32 v66, vcc_lo, v10, v13
	s_delay_alu instid0(VALU_DEP_4)
	v_add_co_ci_u32_e32 v67, vcc_lo, v11, v3, vcc_lo
	v_sub_co_u32 v69, vcc_lo, v2, v6
	v_dual_mov_b32 v71, v8 :: v_dual_add_nc_u32 v42, 49, v20
	v_sub_co_ci_u32_e32 v70, vcc_lo, v14, v7, vcc_lo
	v_mad_u64_u32 v[2:3], null, s25, v15, v[1:2]
	v_mad_u64_u32 v[8:9], null, s24, v72, 0
	;; [unrolled: 1-line block ×3, first 2 shown]
	v_add_co_u32 v68, vcc_lo, v10, v69
	v_add_co_ci_u32_e32 v69, vcc_lo, v11, v70, vcc_lo
	v_add_nc_u32_e32 v35, 18, v20
	v_dual_mov_b32 v15, v2 :: v_dual_add_nc_u32 v44, 51, v20
	v_sub_co_u32 v3, vcc_lo, v12, v6
	v_dual_mov_b32 v1, v9 :: v_dual_mov_b32 v2, v14
	v_sub_co_ci_u32_e32 v12, vcc_lo, v71, v7, vcc_lo
	v_sub_co_u32 v9, vcc_lo, v0, v6
	v_sub_co_ci_u32_e32 v74, vcc_lo, v15, v7, vcc_lo
	s_delay_alu instid0(VALU_DEP_4)
	v_mad_u64_u32 v[14:15], null, s25, v72, v[1:2]
	v_add_co_u32 v70, vcc_lo, v10, v3
	v_mad_u64_u32 v[0:1], null, s25, v73, v[2:3]
	v_add_co_ci_u32_e32 v71, vcc_lo, v11, v12, vcc_lo
	v_add_co_u32 v72, vcc_lo, v10, v9
	v_mov_b32_e32 v1, v14
	v_add_co_ci_u32_e32 v73, vcc_lo, v11, v74, vcc_lo
	v_sub_co_u32 v2, vcc_lo, v8, v6
	s_delay_alu instid0(VALU_DEP_3) | instskip(SKIP_2) | instid1(VALU_DEP_4)
	v_sub_co_ci_u32_e32 v1, vcc_lo, v1, v7, vcc_lo
	v_sub_co_u32 v3, vcc_lo, v13, v6
	v_sub_co_ci_u32_e32 v0, vcc_lo, v0, v7, vcc_lo
	v_add_co_u32 v74, vcc_lo, v10, v2
	s_delay_alu instid0(VALU_DEP_4) | instskip(NEXT) | instid1(VALU_DEP_4)
	v_add_co_ci_u32_e32 v75, vcc_lo, v11, v1, vcc_lo
	v_add_co_u32 v76, vcc_lo, v10, v3
	v_add_nc_u32_e32 v37, 32, v20
	v_add_nc_u32_e32 v39, 34, v20
	;; [unrolled: 1-line block ×4, first 2 shown]
	v_add_co_ci_u32_e32 v77, vcc_lo, v11, v0, vcc_lo
	v_add_nc_u32_e32 v78, v27, v78
	s_add_i32 s9, s7, -2
	s_add_i32 s10, s10, 64
	s_lshl_b64 s[4:5], s[24:25], 8
	s_cmp_eq_u32 s9, s14
	s_cselect_b32 s11, s28, 0
	s_and_saveexec_b32 s2, s0
	s_cbranch_execz .LBB69_72
.LBB69_69:
	v_cmp_gt_i32_e32 vcc_lo, s11, v16
	s_cmp_eq_u32 s11, 0
	v_mov_b32_e32 v0, 0
	s_cselect_b32 s12, -1, 0
	s_delay_alu instid0(SALU_CYCLE_1) | instskip(NEXT) | instid1(SALU_CYCLE_1)
	s_or_b32 s13, s12, vcc_lo
	s_and_saveexec_b32 s12, s13
	s_cbranch_execz .LBB69_71
; %bb.70:
	s_mul_i32 s13, s10, s37
	s_mul_hi_u32 s15, s10, s36
	s_ashr_i32 s16, s10, 31
	s_add_i32 s13, s15, s13
	s_mul_i32 s16, s16, s36
	s_delay_alu instid0(SALU_CYCLE_1) | instskip(SKIP_1) | instid1(SALU_CYCLE_1)
	s_add_i32 s17, s13, s16
	s_mul_i32 s16, s10, s36
	s_lshl_b64 s[16:17], s[16:17], 2
	s_delay_alu instid0(SALU_CYCLE_1)
	v_add_co_u32 v0, vcc_lo, v21, s16
	v_add_co_ci_u32_e32 v1, vcc_lo, s17, v22, vcc_lo
	global_load_b32 v0, v[0:1], off
.LBB69_71:
	s_or_b32 exec_lo, exec_lo, s12
	s_waitcnt vmcnt(0)
	ds_store_b32 v23, v0
.LBB69_72:                              ; =>This Inner Loop Header: Depth=1
	s_or_b32 exec_lo, exec_lo, s2
	s_cmp_eq_u32 s11, 0
	v_add_co_u32 v0, vcc_lo, v46, v19
	s_cselect_b32 s12, -1, 0
	s_cmp_lg_u32 s11, 0
	v_add_co_ci_u32_e32 v1, vcc_lo, 0, v47, vcc_lo
	s_cselect_b32 s2, -1, 0
	s_waitcnt lgkmcnt(0)
	s_and_b32 vcc_lo, exec_lo, s2
	s_barrier
	buffer_gl0_inv
	s_cbranch_vccz .LBB69_120
; %bb.73:                               ;   in Loop: Header=BB69_72 Depth=1
	v_dual_mov_b32 v79, 0 :: v_dual_mov_b32 v82, 0
	s_mov_b32 s13, exec_lo
	v_cmpx_gt_i32_e64 s11, v20
	s_cbranch_execz .LBB69_75
; %bb.74:                               ;   in Loop: Header=BB69_72 Depth=1
	global_load_b32 v82, v[0:1], off
.LBB69_75:                              ;   in Loop: Header=BB69_72 Depth=1
	s_or_b32 exec_lo, exec_lo, s13
	s_delay_alu instid0(SALU_CYCLE_1)
	s_mov_b32 s13, exec_lo
	v_cmpx_gt_i32_e64 s11, v28
	s_cbranch_execz .LBB69_77
; %bb.76:                               ;   in Loop: Header=BB69_72 Depth=1
	v_add_co_u32 v2, vcc_lo, v50, v19
	v_add_co_ci_u32_e32 v3, vcc_lo, 0, v51, vcc_lo
	global_load_b32 v79, v[2:3], off
.LBB69_77:                              ;   in Loop: Header=BB69_72 Depth=1
	s_or_b32 exec_lo, exec_lo, s13
	v_dual_mov_b32 v80, 0 :: v_dual_mov_b32 v81, 0
	s_mov_b32 s13, exec_lo
	v_cmpx_gt_i32_e64 s11, v29
	s_cbranch_execz .LBB69_79
; %bb.78:                               ;   in Loop: Header=BB69_72 Depth=1
	v_add_co_u32 v2, vcc_lo, v48, v19
	v_add_co_ci_u32_e32 v3, vcc_lo, 0, v49, vcc_lo
	global_load_b32 v81, v[2:3], off
.LBB69_79:                              ;   in Loop: Header=BB69_72 Depth=1
	s_or_b32 exec_lo, exec_lo, s13
	s_delay_alu instid0(SALU_CYCLE_1)
	s_mov_b32 s13, exec_lo
	v_cmpx_gt_i32_e64 s11, v30
	s_cbranch_execz .LBB69_81
; %bb.80:                               ;   in Loop: Header=BB69_72 Depth=1
	v_add_co_u32 v2, vcc_lo, v52, v19
	v_add_co_ci_u32_e32 v3, vcc_lo, 0, v53, vcc_lo
	global_load_b32 v80, v[2:3], off
.LBB69_81:                              ;   in Loop: Header=BB69_72 Depth=1
	s_or_b32 exec_lo, exec_lo, s13
	s_branch .LBB69_83
.LBB69_82:                              ;   in Loop: Header=BB69_72 Depth=1
	v_add_co_u32 v2, vcc_lo, v50, v19
	v_add_co_ci_u32_e32 v3, vcc_lo, 0, v51, vcc_lo
	v_add_co_u32 v6, vcc_lo, v48, v19
	v_add_co_ci_u32_e32 v7, vcc_lo, 0, v49, vcc_lo
	;; [unrolled: 2-line block ×3, first 2 shown]
	global_load_b32 v82, v[0:1], off
	global_load_b32 v79, v[2:3], off
	;; [unrolled: 1-line block ×4, first 2 shown]
.LBB69_83:                              ;   in Loop: Header=BB69_72 Depth=1
	ds_load_b32 v0, v24
	ds_load_b32 v86, v31
	v_add_co_u32 v6, vcc_lo, v54, v19
	v_cndmask_b32_e64 v14, 0, 1, s2
	v_add_co_ci_u32_e32 v7, vcc_lo, 0, v55, vcc_lo
	s_and_not1_b32 vcc_lo, exec_lo, s2
	s_waitcnt vmcnt(0) lgkmcnt(1)
	v_mul_f32_e32 v1, v82, v0
	v_mul_f32_e32 v2, v79, v0
	;; [unrolled: 1-line block ×4, first 2 shown]
	ds_store_b32 v32, v1
	ds_load_b32 v85, v31 offset:4
	ds_store_b32 v32, v2 offset:268
	ds_load_b32 v84, v31 offset:8
	ds_store_b32 v32, v3 offset:536
	;; [unrolled: 2-line block ×3, first 2 shown]
	s_waitcnt lgkmcnt(0)
	s_barrier
	buffer_gl0_inv
	ds_load_2addr_b32 v[2:3], v27 offset1:1
	ds_load_2addr_b32 v[0:1], v27 offset0:2 offset1:3
	s_waitcnt lgkmcnt(0)
	s_barrier
	buffer_gl0_inv
	s_cbranch_vccnz .LBB69_121
; %bb.84:                               ;   in Loop: Header=BB69_72 Depth=1
	v_dual_mov_b32 v87, 0 :: v_dual_mov_b32 v88, 0
	s_mov_b32 s2, exec_lo
	v_cmpx_gt_i32_e64 s11, v33
	s_cbranch_execz .LBB69_86
; %bb.85:                               ;   in Loop: Header=BB69_72 Depth=1
	global_load_b32 v88, v[6:7], off
.LBB69_86:                              ;   in Loop: Header=BB69_72 Depth=1
	s_or_b32 exec_lo, exec_lo, s2
	s_delay_alu instid0(SALU_CYCLE_1)
	s_mov_b32 s2, exec_lo
	v_cmpx_gt_i32_e64 s11, v34
	s_cbranch_execz .LBB69_88
; %bb.87:                               ;   in Loop: Header=BB69_72 Depth=1
	v_add_co_u32 v8, vcc_lo, v56, v19
	v_add_co_ci_u32_e32 v9, vcc_lo, 0, v57, vcc_lo
	global_load_b32 v87, v[8:9], off
.LBB69_88:                              ;   in Loop: Header=BB69_72 Depth=1
	s_or_b32 exec_lo, exec_lo, s2
	v_dual_mov_b32 v89, 0 :: v_dual_mov_b32 v90, 0
	s_mov_b32 s2, exec_lo
	v_cmpx_gt_i32_e64 s11, v35
	s_cbranch_execz .LBB69_90
; %bb.89:                               ;   in Loop: Header=BB69_72 Depth=1
	v_add_co_u32 v8, vcc_lo, v58, v19
	v_add_co_ci_u32_e32 v9, vcc_lo, 0, v59, vcc_lo
	global_load_b32 v90, v[8:9], off
.LBB69_90:                              ;   in Loop: Header=BB69_72 Depth=1
	s_or_b32 exec_lo, exec_lo, s2
	s_delay_alu instid0(SALU_CYCLE_1)
	s_mov_b32 s2, exec_lo
	v_cmpx_gt_i32_e64 s11, v36
	s_cbranch_execz .LBB69_92
; %bb.91:                               ;   in Loop: Header=BB69_72 Depth=1
	v_add_co_u32 v8, vcc_lo, v60, v19
	v_add_co_ci_u32_e32 v9, vcc_lo, 0, v61, vcc_lo
	global_load_b32 v89, v[8:9], off
.LBB69_92:                              ;   in Loop: Header=BB69_72 Depth=1
	s_or_b32 exec_lo, exec_lo, s2
	s_branch .LBB69_94
.LBB69_93:                              ;   in Loop: Header=BB69_72 Depth=1
	v_add_co_u32 v8, vcc_lo, v56, v19
	v_add_co_ci_u32_e32 v9, vcc_lo, 0, v57, vcc_lo
	v_add_co_u32 v10, vcc_lo, v58, v19
	v_add_co_ci_u32_e32 v11, vcc_lo, 0, v59, vcc_lo
	;; [unrolled: 2-line block ×3, first 2 shown]
	global_load_b32 v88, v[6:7], off
	global_load_b32 v87, v[8:9], off
	;; [unrolled: 1-line block ×4, first 2 shown]
.LBB69_94:                              ;   in Loop: Header=BB69_72 Depth=1
	ds_load_b32 v6, v24
	ds_load_b32 v91, v31 offset:64
	v_cmp_ne_u32_e32 vcc_lo, 1, v14
	v_add_co_u32 v10, s2, v62, v19
	s_delay_alu instid0(VALU_DEP_1)
	v_add_co_ci_u32_e64 v11, s2, 0, v63, s2
	s_and_b32 vcc_lo, exec_lo, vcc_lo
	s_waitcnt vmcnt(0) lgkmcnt(1)
	v_mul_f32_e32 v7, v88, v6
	v_mul_f32_e32 v8, v87, v6
	;; [unrolled: 1-line block ×4, first 2 shown]
	ds_store_b32 v32, v7
	ds_load_b32 v94, v31 offset:68
	ds_store_b32 v32, v8 offset:268
	ds_load_b32 v93, v31 offset:72
	ds_store_b32 v32, v9 offset:536
	;; [unrolled: 2-line block ×3, first 2 shown]
	s_waitcnt lgkmcnt(0)
	s_barrier
	buffer_gl0_inv
	ds_load_2addr_b32 v[8:9], v27 offset1:1
	ds_load_2addr_b32 v[6:7], v27 offset0:2 offset1:3
	s_waitcnt lgkmcnt(0)
	s_barrier
	buffer_gl0_inv
	s_cbranch_vccnz .LBB69_122
; %bb.95:                               ;   in Loop: Header=BB69_72 Depth=1
	v_dual_mov_b32 v95, 0 :: v_dual_mov_b32 v96, 0
	s_mov_b32 s2, exec_lo
	v_cmpx_gt_i32_e64 s11, v37
	s_cbranch_execz .LBB69_97
; %bb.96:                               ;   in Loop: Header=BB69_72 Depth=1
	global_load_b32 v96, v[10:11], off
.LBB69_97:                              ;   in Loop: Header=BB69_72 Depth=1
	s_or_b32 exec_lo, exec_lo, s2
	s_delay_alu instid0(SALU_CYCLE_1)
	s_mov_b32 s2, exec_lo
	v_cmpx_gt_i32_e64 s11, v38
	s_cbranch_execz .LBB69_99
; %bb.98:                               ;   in Loop: Header=BB69_72 Depth=1
	v_add_co_u32 v12, vcc_lo, v64, v19
	v_add_co_ci_u32_e32 v13, vcc_lo, 0, v65, vcc_lo
	global_load_b32 v95, v[12:13], off
.LBB69_99:                              ;   in Loop: Header=BB69_72 Depth=1
	s_or_b32 exec_lo, exec_lo, s2
	v_dual_mov_b32 v97, 0 :: v_dual_mov_b32 v98, 0
	s_mov_b32 s2, exec_lo
	v_cmpx_gt_i32_e64 s11, v39
	s_cbranch_execz .LBB69_101
; %bb.100:                              ;   in Loop: Header=BB69_72 Depth=1
	v_add_co_u32 v12, vcc_lo, v66, v19
	v_add_co_ci_u32_e32 v13, vcc_lo, 0, v67, vcc_lo
	global_load_b32 v98, v[12:13], off
.LBB69_101:                             ;   in Loop: Header=BB69_72 Depth=1
	s_or_b32 exec_lo, exec_lo, s2
	s_delay_alu instid0(SALU_CYCLE_1)
	s_mov_b32 s2, exec_lo
	v_cmpx_gt_i32_e64 s11, v40
	s_cbranch_execz .LBB69_103
; %bb.102:                              ;   in Loop: Header=BB69_72 Depth=1
	v_add_co_u32 v12, vcc_lo, v68, v19
	v_add_co_ci_u32_e32 v13, vcc_lo, 0, v69, vcc_lo
	global_load_b32 v97, v[12:13], off
.LBB69_103:                             ;   in Loop: Header=BB69_72 Depth=1
	s_or_b32 exec_lo, exec_lo, s2
	s_branch .LBB69_105
.LBB69_104:                             ;   in Loop: Header=BB69_72 Depth=1
	v_add_co_u32 v12, vcc_lo, v64, v19
	v_add_co_ci_u32_e32 v13, vcc_lo, 0, v65, vcc_lo
	s_waitcnt vmcnt(0)
	v_add_co_u32 v97, vcc_lo, v66, v19
	v_add_co_ci_u32_e32 v98, vcc_lo, 0, v67, vcc_lo
	v_add_co_u32 v99, vcc_lo, v68, v19
	v_add_co_ci_u32_e32 v100, vcc_lo, 0, v69, vcc_lo
	global_load_b32 v96, v[10:11], off
	global_load_b32 v95, v[12:13], off
	;; [unrolled: 1-line block ×4, first 2 shown]
.LBB69_105:                             ;   in Loop: Header=BB69_72 Depth=1
	ds_load_b32 v10, v24
	ds_load_b32 v99, v31 offset:128
	v_cmp_ne_u32_e32 vcc_lo, 1, v14
	v_add_co_u32 v14, s2, v70, v19
	s_delay_alu instid0(VALU_DEP_1)
	v_add_co_ci_u32_e64 v15, s2, 0, v71, s2
	s_and_b32 vcc_lo, exec_lo, vcc_lo
	s_waitcnt vmcnt(0) lgkmcnt(1)
	v_mul_f32_e32 v11, v96, v10
	v_mul_f32_e32 v12, v95, v10
	;; [unrolled: 1-line block ×4, first 2 shown]
	ds_store_b32 v32, v11
	ds_load_b32 v102, v31 offset:132
	ds_store_b32 v32, v12 offset:268
	ds_load_b32 v101, v31 offset:136
	ds_store_b32 v32, v13 offset:536
	;; [unrolled: 2-line block ×3, first 2 shown]
	s_waitcnt lgkmcnt(0)
	s_barrier
	buffer_gl0_inv
	ds_load_2addr_b32 v[12:13], v27 offset1:1
	ds_load_2addr_b32 v[10:11], v27 offset0:2 offset1:3
	s_waitcnt lgkmcnt(0)
	s_barrier
	buffer_gl0_inv
	s_cbranch_vccnz .LBB69_123
; %bb.106:                              ;   in Loop: Header=BB69_72 Depth=1
	v_dual_mov_b32 v103, 0 :: v_dual_mov_b32 v104, 0
	s_mov_b32 s2, exec_lo
	v_cmpx_gt_i32_e64 s11, v41
	s_cbranch_execz .LBB69_108
; %bb.107:                              ;   in Loop: Header=BB69_72 Depth=1
	global_load_b32 v104, v[14:15], off
.LBB69_108:                             ;   in Loop: Header=BB69_72 Depth=1
	s_or_b32 exec_lo, exec_lo, s2
	s_delay_alu instid0(SALU_CYCLE_1)
	s_mov_b32 s2, exec_lo
	v_cmpx_gt_i32_e64 s11, v42
	s_cbranch_execz .LBB69_110
; %bb.109:                              ;   in Loop: Header=BB69_72 Depth=1
	v_add_co_u32 v105, vcc_lo, v72, v19
	v_add_co_ci_u32_e32 v106, vcc_lo, 0, v73, vcc_lo
	global_load_b32 v103, v[105:106], off
.LBB69_110:                             ;   in Loop: Header=BB69_72 Depth=1
	s_or_b32 exec_lo, exec_lo, s2
	v_dual_mov_b32 v105, 0 :: v_dual_mov_b32 v106, 0
	s_mov_b32 s2, exec_lo
	v_cmpx_gt_i32_e64 s11, v43
	s_cbranch_execz .LBB69_112
; %bb.111:                              ;   in Loop: Header=BB69_72 Depth=1
	v_add_co_u32 v106, vcc_lo, v74, v19
	v_add_co_ci_u32_e32 v107, vcc_lo, 0, v75, vcc_lo
	global_load_b32 v106, v[106:107], off
.LBB69_112:                             ;   in Loop: Header=BB69_72 Depth=1
	s_or_b32 exec_lo, exec_lo, s2
	s_delay_alu instid0(SALU_CYCLE_1)
	s_mov_b32 s2, exec_lo
	v_cmpx_gt_i32_e64 s11, v44
	s_cbranch_execz .LBB69_114
; %bb.113:                              ;   in Loop: Header=BB69_72 Depth=1
	v_add_co_u32 v107, vcc_lo, v76, v19
	v_add_co_ci_u32_e32 v108, vcc_lo, 0, v77, vcc_lo
	global_load_b32 v105, v[107:108], off
.LBB69_114:                             ;   in Loop: Header=BB69_72 Depth=1
	s_or_b32 exec_lo, exec_lo, s2
	s_branch .LBB69_116
.LBB69_115:                             ;   in Loop: Header=BB69_72 Depth=1
	s_waitcnt vmcnt(0)
	v_add_co_u32 v105, vcc_lo, v72, v19
	v_add_co_ci_u32_e32 v106, vcc_lo, 0, v73, vcc_lo
	v_add_co_u32 v107, vcc_lo, v74, v19
	v_add_co_ci_u32_e32 v108, vcc_lo, 0, v75, vcc_lo
	;; [unrolled: 2-line block ×3, first 2 shown]
	global_load_b32 v104, v[14:15], off
	global_load_b32 v103, v[105:106], off
	;; [unrolled: 1-line block ×4, first 2 shown]
.LBB69_116:                             ;   in Loop: Header=BB69_72 Depth=1
	ds_load_b32 v15, v24
	ds_load_b32 v14, v31 offset:192
	v_cmp_gt_i32_e32 vcc_lo, s11, v16
	v_add_f32_e32 v12, 0, v12
	v_add_f32_e32 v8, 0, v8
	;; [unrolled: 1-line block ×3, first 2 shown]
	s_or_b32 s2, s12, vcc_lo
	s_delay_alu instid0(SALU_CYCLE_1) | instskip(NEXT) | instid1(VALU_DEP_2)
	s_and_b32 s11, s1, s2
	v_add_f32_e32 v8, v8, v9
	s_waitcnt vmcnt(0) lgkmcnt(1)
	v_mul_f32_e32 v107, v104, v15
	v_mul_f32_e32 v109, v103, v15
	;; [unrolled: 1-line block ×4, first 2 shown]
	ds_store_b32 v32, v107
	ds_load_b32 v108, v31 offset:196
	ds_store_b32 v32, v109 offset:268
	ds_load_b32 v107, v31 offset:200
	ds_store_b32 v32, v110 offset:536
	;; [unrolled: 2-line block ×3, first 2 shown]
	s_waitcnt lgkmcnt(0)
	s_barrier
	buffer_gl0_inv
	ds_load_2addr_b32 v[109:110], v27 offset1:1
	ds_load_2addr_b32 v[111:112], v27 offset0:2 offset1:3
	s_waitcnt lgkmcnt(0)
	s_barrier
	buffer_gl0_inv
	v_add_f32_e32 v109, 0, v109
	v_add_f32_e32 v12, v12, v13
	s_delay_alu instid0(VALU_DEP_2) | instskip(NEXT) | instid1(VALU_DEP_1)
	v_dual_add_f32 v2, v2, v3 :: v_dual_add_f32 v3, v109, v110
	v_dual_add_f32 v9, v12, v10 :: v_dual_add_f32 v0, v2, v0
	s_delay_alu instid0(VALU_DEP_2) | instskip(NEXT) | instid1(VALU_DEP_2)
	v_add_f32_e32 v2, v3, v111
	v_dual_add_f32 v3, v9, v11 :: v_dual_add_f32 v6, v8, v6
	s_delay_alu instid0(VALU_DEP_2) | instskip(NEXT) | instid1(VALU_DEP_2)
	v_dual_add_f32 v0, v0, v1 :: v_dual_add_f32 v1, v2, v112
	v_add_f32_e32 v6, v6, v7
	ds_store_2addr_b32 v78, v0, v6 offset1:16
	ds_store_2addr_b32 v78, v3, v1 offset0:32 offset1:48
	s_waitcnt lgkmcnt(0)
	s_barrier
	buffer_gl0_inv
	s_and_saveexec_b32 s2, s11
	s_cbranch_execz .LBB69_118
; %bb.117:                              ;   in Loop: Header=BB69_72 Depth=1
	ds_load_2addr_b32 v[0:1], v25 offset1:1
	ds_load_2addr_b32 v[2:3], v25 offset0:2 offset1:3
	ds_load_2addr_b32 v[6:7], v25 offset0:4 offset1:5
	;; [unrolled: 1-line block ×3, first 2 shown]
	s_waitcnt lgkmcnt(3)
	v_add_f32_e32 v0, v0, v1
	s_waitcnt lgkmcnt(2)
	s_delay_alu instid0(VALU_DEP_1) | instskip(NEXT) | instid1(VALU_DEP_1)
	v_add_f32_e32 v0, v0, v2
	v_add_f32_e32 v0, v0, v3
	s_waitcnt lgkmcnt(1)
	s_delay_alu instid0(VALU_DEP_1) | instskip(SKIP_3) | instid1(VALU_DEP_1)
	v_add_f32_e32 v2, v0, v6
	ds_load_2addr_b32 v[0:1], v25 offset0:8 offset1:9
	v_add_f32_e32 v2, v2, v7
	s_waitcnt lgkmcnt(1)
	v_add_f32_e32 v6, v2, v8
	ds_load_2addr_b32 v[2:3], v25 offset0:10 offset1:11
	v_add_f32_e32 v8, v6, v9
	ds_load_2addr_b32 v[6:7], v25 offset0:12 offset1:13
	ds_load_b32 v9, v25 offset:56
	s_waitcnt lgkmcnt(3)
	v_add_f32_e32 v0, v8, v0
	s_delay_alu instid0(VALU_DEP_1) | instskip(SKIP_1) | instid1(VALU_DEP_1)
	v_add_f32_e32 v0, v0, v1
	s_waitcnt lgkmcnt(2)
	v_add_f32_e32 v0, v0, v2
	ds_load_b32 v2, v26
	v_add_f32_e32 v0, v0, v3
	s_waitcnt lgkmcnt(2)
	s_delay_alu instid0(VALU_DEP_1) | instskip(NEXT) | instid1(VALU_DEP_1)
	v_dual_add_f32 v1, v0, v6 :: v_dual_add_nc_u32 v0, s10, v45
	v_add_f32_e32 v3, v1, v7
	s_delay_alu instid0(VALU_DEP_2) | instskip(SKIP_1) | instid1(VALU_DEP_2)
	v_ashrrev_i32_e32 v1, 31, v0
	s_waitcnt lgkmcnt(1)
	v_add_f32_e32 v3, v3, v9
	s_delay_alu instid0(VALU_DEP_2) | instskip(SKIP_1) | instid1(VALU_DEP_2)
	v_lshlrev_b64 v[0:1], 2, v[0:1]
	s_waitcnt lgkmcnt(0)
	v_add_f32_e32 v2, v3, v2
	s_delay_alu instid0(VALU_DEP_2) | instskip(NEXT) | instid1(VALU_DEP_3)
	v_add_co_u32 v0, vcc_lo, s3, v0
	v_add_co_ci_u32_e32 v1, vcc_lo, s6, v1, vcc_lo
	global_store_b32 v[0:1], v2, off
.LBB69_118:                             ;   in Loop: Header=BB69_72 Depth=1
	s_or_b32 exec_lo, exec_lo, s2
	v_fmac_f32_e32 v18, v82, v86
	v_add_co_u32 v46, vcc_lo, v46, s4
	v_add_co_ci_u32_e32 v47, vcc_lo, s5, v47, vcc_lo
	s_delay_alu instid0(VALU_DEP_3) | instskip(SKIP_2) | instid1(VALU_DEP_3)
	v_fmac_f32_e32 v18, v79, v85
	v_add_co_u32 v48, vcc_lo, v48, s4
	v_add_co_ci_u32_e32 v49, vcc_lo, s5, v49, vcc_lo
	v_fmac_f32_e32 v18, v81, v84
	v_add_co_u32 v50, vcc_lo, v50, s4
	v_add_co_ci_u32_e32 v51, vcc_lo, s5, v51, vcc_lo
	s_delay_alu instid0(VALU_DEP_3) | instskip(SKIP_2) | instid1(VALU_DEP_3)
	v_fmac_f32_e32 v18, v80, v83
	v_add_co_u32 v52, vcc_lo, v52, s4
	v_add_co_ci_u32_e32 v53, vcc_lo, s5, v53, vcc_lo
	;; [unrolled: 7-line block ×7, first 2 shown]
	v_fmac_f32_e32 v18, v106, v107
	v_add_co_u32 v74, vcc_lo, v74, s4
	v_add_co_ci_u32_e32 v75, vcc_lo, s5, v75, vcc_lo
	v_add_co_u32 v76, vcc_lo, v76, s4
	s_delay_alu instid0(VALU_DEP_4)
	v_fmac_f32_e32 v18, v105, v15
	v_add_co_ci_u32_e32 v77, vcc_lo, s5, v77, vcc_lo
	s_add_i32 s11, s14, 2
	s_add_i32 s2, s14, 1
	s_add_i32 s10, s10, 64
	s_cmp_ge_u32 s11, s7
	s_waitcnt_vscnt null, 0x0
	s_barrier
	buffer_gl0_inv
	s_cbranch_scc1 .LBB69_124
; %bb.119:                              ;   in Loop: Header=BB69_72 Depth=1
	s_mov_b32 s14, s2
	s_delay_alu instid0(SALU_CYCLE_1)
	s_cmp_eq_u32 s9, s14
	s_cselect_b32 s11, s28, 0
	s_and_saveexec_b32 s2, s0
	s_cbranch_execnz .LBB69_69
	s_branch .LBB69_72
.LBB69_120:                             ;   in Loop: Header=BB69_72 Depth=1
                                        ; implicit-def: $vgpr80
                                        ; implicit-def: $vgpr81
                                        ; implicit-def: $vgpr79
                                        ; implicit-def: $vgpr82
	s_cbranch_execnz .LBB69_82
	s_branch .LBB69_83
.LBB69_121:                             ;   in Loop: Header=BB69_72 Depth=1
                                        ; implicit-def: $vgpr89
                                        ; implicit-def: $vgpr90
                                        ; implicit-def: $vgpr87
                                        ; implicit-def: $vgpr88
	s_cbranch_execnz .LBB69_93
	s_branch .LBB69_94
.LBB69_122:                             ;   in Loop: Header=BB69_72 Depth=1
                                        ; implicit-def: $vgpr97
                                        ; implicit-def: $vgpr98
                                        ; implicit-def: $vgpr95
                                        ; implicit-def: $vgpr96
	s_cbranch_execnz .LBB69_104
	s_branch .LBB69_105
.LBB69_123:                             ;   in Loop: Header=BB69_72 Depth=1
                                        ; implicit-def: $vgpr105
                                        ; implicit-def: $vgpr106
                                        ; implicit-def: $vgpr103
                                        ; implicit-def: $vgpr104
	s_cbranch_execnz .LBB69_115
	s_branch .LBB69_116
.LBB69_124:
	v_cmp_gt_i32_e32 vcc_lo, s8, v16
	v_mad_u32_u24 v0, 0x10c, v17, v19
	s_or_b32 s1, s20, vcc_lo
	ds_store_b32 v0, v18
	s_and_b32 s0, s0, s1
	s_waitcnt lgkmcnt(0)
	s_barrier
	buffer_gl0_inv
	s_and_saveexec_b32 s1, s0
	s_cbranch_execz .LBB69_126
; %bb.125:
	ds_load_2addr_b32 v[0:1], v19 offset1:67
	ds_load_2addr_b32 v[2:3], v19 offset0:134 offset1:201
	s_waitcnt lgkmcnt(1)
	v_add_f32_e32 v0, v0, v1
	s_waitcnt lgkmcnt(0)
	s_delay_alu instid0(VALU_DEP_1) | instskip(SKIP_1) | instid1(VALU_DEP_2)
	v_add_f32_e32 v2, v0, v2
	v_lshlrev_b64 v[0:1], 2, v[4:5]
	v_add_f32_e32 v2, v2, v3
	s_delay_alu instid0(VALU_DEP_2) | instskip(NEXT) | instid1(VALU_DEP_3)
	v_add_co_u32 v0, vcc_lo, s3, v0
	v_add_co_ci_u32_e32 v1, vcc_lo, s6, v1, vcc_lo
	global_store_b32 v[0:1], v2, off
.LBB69_126:
	s_nop 0
	s_sendmsg sendmsg(MSG_DEALLOC_VGPRS)
	s_endpgm
	.section	.rodata,"a",@progbits
	.p2align	6, 0x0
	.amdhsa_kernel _ZL26rocblas_hemvn_kernel_upperILb0ELi64ELi4ELi33ELi32ELi16ElPKfS1_PfEviT6_lT7_lT5_lS4_lS5_lS3_lT8_i
		.amdhsa_group_segment_fixed_size 4800
		.amdhsa_private_segment_fixed_size 0
		.amdhsa_kernarg_size 376
		.amdhsa_user_sgpr_count 14
		.amdhsa_user_sgpr_dispatch_ptr 0
		.amdhsa_user_sgpr_queue_ptr 0
		.amdhsa_user_sgpr_kernarg_segment_ptr 1
		.amdhsa_user_sgpr_dispatch_id 0
		.amdhsa_user_sgpr_private_segment_size 0
		.amdhsa_wavefront_size32 1
		.amdhsa_uses_dynamic_stack 0
		.amdhsa_enable_private_segment 0
		.amdhsa_system_sgpr_workgroup_id_x 1
		.amdhsa_system_sgpr_workgroup_id_y 0
		.amdhsa_system_sgpr_workgroup_id_z 1
		.amdhsa_system_sgpr_workgroup_info 0
		.amdhsa_system_vgpr_workitem_id 1
		.amdhsa_next_free_vgpr 113
		.amdhsa_next_free_sgpr 44
		.amdhsa_reserve_vcc 1
		.amdhsa_float_round_mode_32 0
		.amdhsa_float_round_mode_16_64 0
		.amdhsa_float_denorm_mode_32 3
		.amdhsa_float_denorm_mode_16_64 3
		.amdhsa_dx10_clamp 1
		.amdhsa_ieee_mode 1
		.amdhsa_fp16_overflow 0
		.amdhsa_workgroup_processor_mode 1
		.amdhsa_memory_ordered 1
		.amdhsa_forward_progress 0
		.amdhsa_shared_vgpr_count 0
		.amdhsa_exception_fp_ieee_invalid_op 0
		.amdhsa_exception_fp_denorm_src 0
		.amdhsa_exception_fp_ieee_div_zero 0
		.amdhsa_exception_fp_ieee_overflow 0
		.amdhsa_exception_fp_ieee_underflow 0
		.amdhsa_exception_fp_ieee_inexact 0
		.amdhsa_exception_int_div_zero 0
	.end_amdhsa_kernel
	.section	.text._ZL26rocblas_hemvn_kernel_upperILb0ELi64ELi4ELi33ELi32ELi16ElPKfS1_PfEviT6_lT7_lT5_lS4_lS5_lS3_lT8_i,"axG",@progbits,_ZL26rocblas_hemvn_kernel_upperILb0ELi64ELi4ELi33ELi32ELi16ElPKfS1_PfEviT6_lT7_lT5_lS4_lS5_lS3_lT8_i,comdat
.Lfunc_end69:
	.size	_ZL26rocblas_hemvn_kernel_upperILb0ELi64ELi4ELi33ELi32ELi16ElPKfS1_PfEviT6_lT7_lT5_lS4_lS5_lS3_lT8_i, .Lfunc_end69-_ZL26rocblas_hemvn_kernel_upperILb0ELi64ELi4ELi33ELi32ELi16ElPKfS1_PfEviT6_lT7_lT5_lS4_lS5_lS3_lT8_i
                                        ; -- End function
	.section	.AMDGPU.csdata,"",@progbits
; Kernel info:
; codeLenInByte = 8012
; NumSgprs: 46
; NumVgprs: 113
; ScratchSize: 0
; MemoryBound: 0
; FloatMode: 240
; IeeeMode: 1
; LDSByteSize: 4800 bytes/workgroup (compile time only)
; SGPRBlocks: 5
; VGPRBlocks: 14
; NumSGPRsForWavesPerEU: 46
; NumVGPRsForWavesPerEU: 113
; Occupancy: 12
; WaveLimiterHint : 0
; COMPUTE_PGM_RSRC2:SCRATCH_EN: 0
; COMPUTE_PGM_RSRC2:USER_SGPR: 14
; COMPUTE_PGM_RSRC2:TRAP_HANDLER: 0
; COMPUTE_PGM_RSRC2:TGID_X_EN: 1
; COMPUTE_PGM_RSRC2:TGID_Y_EN: 0
; COMPUTE_PGM_RSRC2:TGID_Z_EN: 1
; COMPUTE_PGM_RSRC2:TIDIG_COMP_CNT: 1
	.section	.text._ZL36rocblas_hemvn_kernel_upper_block_sumILi64ElPKfPffEviT1_lS3_lT2_lT0_lPT3_i,"axG",@progbits,_ZL36rocblas_hemvn_kernel_upper_block_sumILi64ElPKfPffEviT1_lS3_lT2_lT0_lPT3_i,comdat
	.globl	_ZL36rocblas_hemvn_kernel_upper_block_sumILi64ElPKfPffEviT1_lS3_lT2_lT0_lPT3_i ; -- Begin function _ZL36rocblas_hemvn_kernel_upper_block_sumILi64ElPKfPffEviT1_lS3_lT2_lT0_lPT3_i
	.p2align	8
	.type	_ZL36rocblas_hemvn_kernel_upper_block_sumILi64ElPKfPffEviT1_lS3_lT2_lT0_lPT3_i,@function
_ZL36rocblas_hemvn_kernel_upper_block_sumILi64ElPKfPffEviT1_lS3_lT2_lT0_lPT3_i: ; @_ZL36rocblas_hemvn_kernel_upper_block_sumILi64ElPKfPffEviT1_lS3_lT2_lT0_lPT3_i
; %bb.0:
	s_load_b256 s[4:11], s[0:1], 0x8
	s_mov_b32 s17, 0
	s_waitcnt lgkmcnt(0)
	s_mul_i32 s3, s15, s7
	s_mul_hi_u32 s7, s15, s6
	s_mul_i32 s2, s15, s6
	s_add_i32 s3, s7, s3
	s_mul_i32 s6, s15, s11
	s_lshl_b64 s[2:3], s[2:3], 2
	s_mul_hi_u32 s7, s15, s10
	s_add_u32 s2, s4, s2
	s_addc_u32 s3, s5, s3
	s_add_i32 s5, s7, s6
	s_mul_i32 s4, s15, s10
	s_delay_alu instid0(SALU_CYCLE_1) | instskip(NEXT) | instid1(SALU_CYCLE_1)
	s_lshl_b64 s[4:5], s[4:5], 2
	s_add_u32 s4, s8, s4
	s_addc_u32 s5, s9, s5
	s_load_b32 s3, s[2:3], 0x0
	s_load_b32 s16, s[4:5], 0x0
	s_waitcnt lgkmcnt(0)
	v_cmp_eq_f32_e64 s2, s3, 0
	v_cmp_eq_f32_e64 s4, s16, 1.0
	s_delay_alu instid0(VALU_DEP_1) | instskip(NEXT) | instid1(SALU_CYCLE_1)
	s_and_b32 s2, s2, s4
	s_and_b32 vcc_lo, exec_lo, s2
	s_cbranch_vccnz .LBB70_19
; %bb.1:
	s_clause 0x2
	s_load_b256 s[4:11], s[0:1], 0x30
	s_load_b64 s[18:19], s[0:1], 0x28
	s_load_b32 s12, s[0:1], 0x0
	v_lshl_or_b32 v0, s14, 6, v0
	s_waitcnt lgkmcnt(0)
	s_mul_i32 s2, s15, s9
	s_mul_hi_u32 s9, s15, s8
	s_mul_i32 s8, s15, s8
	s_add_i32 s9, s9, s2
	v_cmp_neq_f32_e64 s2, s3, 0
	s_lshl_b64 s[8:9], s[8:9], 2
	s_delay_alu instid0(SALU_CYCLE_1) | instskip(SKIP_2) | instid1(SALU_CYCLE_1)
	s_add_u32 s8, s18, s8
	s_addc_u32 s9, s19, s9
	s_lshl_b64 s[4:5], s[4:5], 2
	s_add_u32 s4, s8, s4
	s_addc_u32 s5, s9, s5
	s_and_b32 vcc_lo, exec_lo, s2
	v_cmp_gt_i32_e64 s2, s12, v0
	s_cbranch_vccnz .LBB70_6
; %bb.2:
	s_mov_b32 s8, 0
                                        ; implicit-def: $vgpr3
                                        ; implicit-def: $vgpr1_vgpr2
	s_delay_alu instid0(VALU_DEP_1)
	s_and_saveexec_b32 s9, s2
	s_cbranch_execz .LBB70_7
; %bb.3:
	v_ashrrev_i32_e32 v3, 31, v0
	v_mul_lo_u32 v4, v0, s7
	v_mad_u64_u32 v[1:2], null, v0, s6, 0
	v_cmp_eq_f32_e64 s2, s16, 0
	s_delay_alu instid0(VALU_DEP_4) | instskip(NEXT) | instid1(VALU_DEP_2)
	v_mul_lo_u32 v3, v3, s6
	s_and_b32 vcc_lo, exec_lo, s2
	s_delay_alu instid0(VALU_DEP_1)
	v_add3_u32 v2, v2, v4, v3
	v_mov_b32_e32 v3, 0
	s_cbranch_vccnz .LBB70_5
; %bb.4:
	s_delay_alu instid0(VALU_DEP_2) | instskip(NEXT) | instid1(VALU_DEP_1)
	v_lshlrev_b64 v[3:4], 2, v[1:2]
	v_add_co_u32 v3, vcc_lo, s4, v3
	s_delay_alu instid0(VALU_DEP_2)
	v_add_co_ci_u32_e32 v4, vcc_lo, s5, v4, vcc_lo
	global_load_b32 v3, v[3:4], off
	s_waitcnt vmcnt(0)
	v_mul_f32_e32 v3, s16, v3
.LBB70_5:
	s_mov_b32 s17, exec_lo
	s_or_b32 exec_lo, exec_lo, s9
	s_delay_alu instid0(SALU_CYCLE_1)
	s_and_b32 vcc_lo, exec_lo, s8
	s_cbranch_vccnz .LBB70_8
	s_branch .LBB70_17
.LBB70_6:
                                        ; implicit-def: $vgpr3
                                        ; implicit-def: $vgpr1_vgpr2
	s_cbranch_execnz .LBB70_8
	s_branch .LBB70_17
.LBB70_7:
	s_or_b32 exec_lo, exec_lo, s9
	s_delay_alu instid0(SALU_CYCLE_1)
	s_and_b32 vcc_lo, exec_lo, s8
	s_cbranch_vccz .LBB70_17
.LBB70_8:
	s_mov_b32 s2, exec_lo
                                        ; implicit-def: $vgpr3
                                        ; implicit-def: $vgpr1_vgpr2
	v_cmpx_gt_i32_e64 s12, v0
	s_cbranch_execz .LBB70_16
; %bb.9:
	v_ashrrev_i32_e32 v1, 31, v0
	v_mov_b32_e32 v4, 0
	s_cmp_lt_i32 s14, 0
	s_cbranch_scc1 .LBB70_12
; %bb.10:
	s_load_b32 s0, s[0:1], 0x58
	s_ashr_i32 s13, s12, 31
	s_mul_hi_u32 s1, s12, s15
	s_mul_i32 s8, s13, s15
	v_lshlrev_b64 v[2:3], 2, v[0:1]
	s_add_i32 s1, s1, s8
	s_mul_i32 s8, s12, s15
	v_mov_b32_e32 v4, 0
	s_waitcnt lgkmcnt(0)
	s_mul_i32 s1, s1, s0
	s_mul_hi_u32 s9, s8, s0
	s_mul_i32 s0, s8, s0
	s_add_i32 s1, s9, s1
	s_delay_alu instid0(SALU_CYCLE_1) | instskip(NEXT) | instid1(SALU_CYCLE_1)
	s_lshl_b64 s[0:1], s[0:1], 2
	s_add_u32 s0, s10, s0
	s_addc_u32 s1, s11, s1
	v_add_co_u32 v2, vcc_lo, s0, v2
	v_add_co_ci_u32_e32 v3, vcc_lo, s1, v3, vcc_lo
	s_add_i32 s8, s14, 1
	s_lshl_b64 s[0:1], s[12:13], 2
.LBB70_11:                              ; =>This Inner Loop Header: Depth=1
	global_load_b32 v5, v[2:3], off
	v_add_co_u32 v2, vcc_lo, v2, s0
	v_add_co_ci_u32_e32 v3, vcc_lo, s1, v3, vcc_lo
	s_add_i32 s8, s8, -1
	s_delay_alu instid0(SALU_CYCLE_1)
	s_cmp_eq_u32 s8, 0
	s_waitcnt vmcnt(0)
	v_add_f32_e32 v4, v4, v5
	s_cbranch_scc0 .LBB70_11
.LBB70_12:
	s_delay_alu instid0(VALU_DEP_2) | instskip(SKIP_2) | instid1(VALU_DEP_1)
	v_mul_lo_u32 v5, v1, s6
	v_mul_lo_u32 v6, v0, s7
	v_cmp_eq_f32_e64 s0, s16, 0
	s_and_b32 vcc_lo, exec_lo, s0
	s_mov_b32 s0, 0
	s_cbranch_vccz .LBB70_20
; %bb.13:
	v_mad_u64_u32 v[1:2], null, v0, s6, 0
	v_mul_f32_e32 v3, s3, v4
	s_delay_alu instid0(VALU_DEP_2)
	v_add3_u32 v2, v2, v6, v5
	s_and_not1_b32 vcc_lo, exec_lo, s0
	s_cbranch_vccnz .LBB70_15
.LBB70_14:
	v_mad_u64_u32 v[1:2], null, v0, s6, 0
	s_delay_alu instid0(VALU_DEP_1) | instskip(NEXT) | instid1(VALU_DEP_1)
	v_add3_u32 v2, v2, v6, v5
	v_lshlrev_b64 v[5:6], 2, v[1:2]
	s_delay_alu instid0(VALU_DEP_1) | instskip(NEXT) | instid1(VALU_DEP_2)
	v_add_co_u32 v5, vcc_lo, s4, v5
	v_add_co_ci_u32_e32 v6, vcc_lo, s5, v6, vcc_lo
	global_load_b32 v0, v[5:6], off
	s_waitcnt vmcnt(0)
	v_mul_f32_e32 v3, s16, v0
	s_delay_alu instid0(VALU_DEP_1)
	v_fmac_f32_e32 v3, s3, v4
.LBB70_15:
	s_or_b32 s17, s17, exec_lo
.LBB70_16:
	s_or_b32 exec_lo, exec_lo, s2
.LBB70_17:
	s_and_saveexec_b32 s0, s17
	s_cbranch_execz .LBB70_19
; %bb.18:
	v_lshlrev_b64 v[0:1], 2, v[1:2]
	s_delay_alu instid0(VALU_DEP_1) | instskip(NEXT) | instid1(VALU_DEP_2)
	v_add_co_u32 v0, vcc_lo, s4, v0
	v_add_co_ci_u32_e32 v1, vcc_lo, s5, v1, vcc_lo
	global_store_b32 v[0:1], v3, off
.LBB70_19:
	s_nop 0
	s_sendmsg sendmsg(MSG_DEALLOC_VGPRS)
	s_endpgm
.LBB70_20:
                                        ; implicit-def: $vgpr3
                                        ; implicit-def: $vgpr1_vgpr2
	s_branch .LBB70_14
	.section	.rodata,"a",@progbits
	.p2align	6, 0x0
	.amdhsa_kernel _ZL36rocblas_hemvn_kernel_upper_block_sumILi64ElPKfPffEviT1_lS3_lT2_lT0_lPT3_i
		.amdhsa_group_segment_fixed_size 0
		.amdhsa_private_segment_fixed_size 0
		.amdhsa_kernarg_size 344
		.amdhsa_user_sgpr_count 14
		.amdhsa_user_sgpr_dispatch_ptr 0
		.amdhsa_user_sgpr_queue_ptr 0
		.amdhsa_user_sgpr_kernarg_segment_ptr 1
		.amdhsa_user_sgpr_dispatch_id 0
		.amdhsa_user_sgpr_private_segment_size 0
		.amdhsa_wavefront_size32 1
		.amdhsa_uses_dynamic_stack 0
		.amdhsa_enable_private_segment 0
		.amdhsa_system_sgpr_workgroup_id_x 1
		.amdhsa_system_sgpr_workgroup_id_y 0
		.amdhsa_system_sgpr_workgroup_id_z 1
		.amdhsa_system_sgpr_workgroup_info 0
		.amdhsa_system_vgpr_workitem_id 0
		.amdhsa_next_free_vgpr 7
		.amdhsa_next_free_sgpr 20
		.amdhsa_reserve_vcc 1
		.amdhsa_float_round_mode_32 0
		.amdhsa_float_round_mode_16_64 0
		.amdhsa_float_denorm_mode_32 3
		.amdhsa_float_denorm_mode_16_64 3
		.amdhsa_dx10_clamp 1
		.amdhsa_ieee_mode 1
		.amdhsa_fp16_overflow 0
		.amdhsa_workgroup_processor_mode 1
		.amdhsa_memory_ordered 1
		.amdhsa_forward_progress 0
		.amdhsa_shared_vgpr_count 0
		.amdhsa_exception_fp_ieee_invalid_op 0
		.amdhsa_exception_fp_denorm_src 0
		.amdhsa_exception_fp_ieee_div_zero 0
		.amdhsa_exception_fp_ieee_overflow 0
		.amdhsa_exception_fp_ieee_underflow 0
		.amdhsa_exception_fp_ieee_inexact 0
		.amdhsa_exception_int_div_zero 0
	.end_amdhsa_kernel
	.section	.text._ZL36rocblas_hemvn_kernel_upper_block_sumILi64ElPKfPffEviT1_lS3_lT2_lT0_lPT3_i,"axG",@progbits,_ZL36rocblas_hemvn_kernel_upper_block_sumILi64ElPKfPffEviT1_lS3_lT2_lT0_lPT3_i,comdat
.Lfunc_end70:
	.size	_ZL36rocblas_hemvn_kernel_upper_block_sumILi64ElPKfPffEviT1_lS3_lT2_lT0_lPT3_i, .Lfunc_end70-_ZL36rocblas_hemvn_kernel_upper_block_sumILi64ElPKfPffEviT1_lS3_lT2_lT0_lPT3_i
                                        ; -- End function
	.section	.AMDGPU.csdata,"",@progbits
; Kernel info:
; codeLenInByte = 784
; NumSgprs: 22
; NumVgprs: 7
; ScratchSize: 0
; MemoryBound: 0
; FloatMode: 240
; IeeeMode: 1
; LDSByteSize: 0 bytes/workgroup (compile time only)
; SGPRBlocks: 2
; VGPRBlocks: 0
; NumSGPRsForWavesPerEU: 22
; NumVGPRsForWavesPerEU: 7
; Occupancy: 16
; WaveLimiterHint : 0
; COMPUTE_PGM_RSRC2:SCRATCH_EN: 0
; COMPUTE_PGM_RSRC2:USER_SGPR: 14
; COMPUTE_PGM_RSRC2:TRAP_HANDLER: 0
; COMPUTE_PGM_RSRC2:TGID_X_EN: 1
; COMPUTE_PGM_RSRC2:TGID_Y_EN: 0
; COMPUTE_PGM_RSRC2:TGID_Z_EN: 1
; COMPUTE_PGM_RSRC2:TIDIG_COMP_CNT: 0
	.section	.text._ZL26rocblas_hemvn_kernel_upperILb0ELi64ELi4ELi33ELi32ELi16EiPKfS1_PfEviT6_lT7_lT5_lS4_lS5_lS3_lT8_i,"axG",@progbits,_ZL26rocblas_hemvn_kernel_upperILb0ELi64ELi4ELi33ELi32ELi16EiPKfS1_PfEviT6_lT7_lT5_lS4_lS5_lS3_lT8_i,comdat
	.globl	_ZL26rocblas_hemvn_kernel_upperILb0ELi64ELi4ELi33ELi32ELi16EiPKfS1_PfEviT6_lT7_lT5_lS4_lS5_lS3_lT8_i ; -- Begin function _ZL26rocblas_hemvn_kernel_upperILb0ELi64ELi4ELi33ELi32ELi16EiPKfS1_PfEviT6_lT7_lT5_lS4_lS5_lS3_lT8_i
	.p2align	8
	.type	_ZL26rocblas_hemvn_kernel_upperILb0ELi64ELi4ELi33ELi32ELi16EiPKfS1_PfEviT6_lT7_lT5_lS4_lS5_lS3_lT8_i,@function
_ZL26rocblas_hemvn_kernel_upperILb0ELi64ELi4ELi33ELi32ELi16EiPKfS1_PfEviT6_lT7_lT5_lS4_lS5_lS3_lT8_i: ; @_ZL26rocblas_hemvn_kernel_upperILb0ELi64ELi4ELi33ELi32ELi16EiPKfS1_PfEviT6_lT7_lT5_lS4_lS5_lS3_lT8_i
; %bb.0:
	s_load_b64 s[4:5], s[0:1], 0x84
	s_add_u32 s2, s0, 0x78
	s_addc_u32 s3, s1, 0
	s_waitcnt lgkmcnt(0)
	s_lshr_b32 s6, s4, 16
	s_and_b32 s4, s4, 0xffff
	s_and_b32 s5, s5, 0xffff
	s_mul_i32 s4, s6, s4
	s_delay_alu instid0(SALU_CYCLE_1) | instskip(NEXT) | instid1(SALU_CYCLE_1)
	s_mul_i32 s4, s4, s5
	s_cmpk_lg_i32 s4, 0x100
	s_cbranch_scc1 .LBB71_126
; %bb.1:
	s_clause 0x1
	s_load_b256 s[16:23], s[0:1], 0x8
	s_load_b256 s[4:11], s[0:1], 0x50
	s_waitcnt lgkmcnt(0)
	s_mul_i32 s13, s15, s19
	s_mul_hi_u32 s19, s15, s18
	s_mul_i32 s12, s15, s18
	s_add_i32 s13, s19, s13
	s_mul_i32 s9, s15, s9
	s_lshl_b64 s[12:13], s[12:13], 2
	s_mul_hi_u32 s18, s15, s8
	s_add_u32 s12, s16, s12
	s_addc_u32 s13, s17, s13
	s_add_i32 s9, s18, s9
	s_mul_i32 s8, s15, s8
	s_delay_alu instid0(SALU_CYCLE_1) | instskip(NEXT) | instid1(SALU_CYCLE_1)
	s_lshl_b64 s[8:9], s[8:9], 2
	s_add_u32 s6, s6, s8
	s_addc_u32 s7, s7, s9
	s_load_b32 s8, s[12:13], 0x0
	s_load_b32 s7, s[6:7], 0x0
	s_waitcnt lgkmcnt(0)
	v_cmp_eq_f32_e64 s6, s8, 0
	v_cmp_eq_f32_e64 s7, s7, 1.0
	s_delay_alu instid0(VALU_DEP_1) | instskip(NEXT) | instid1(SALU_CYCLE_1)
	s_and_b32 s7, s6, s7
	s_and_b32 vcc_lo, exec_lo, s7
	s_cbranch_vccnz .LBB71_126
; %bb.2:
	s_and_b32 vcc_lo, exec_lo, s6
	s_cbranch_vccnz .LBB71_126
; %bb.3:
	s_clause 0x2
	s_load_b128 s[16:19], s[0:1], 0x30
	s_load_b64 s[8:9], s[0:1], 0x40
	s_load_b32 s7, s[0:1], 0x48
	s_mul_i32 s5, s15, s5
	s_mul_hi_u32 s6, s15, s4
	s_mul_i32 s4, s15, s4
	s_add_i32 s5, s6, s5
	v_and_b32_e32 v5, 0x3ff, v0
	s_lshl_b64 s[4:5], s[4:5], 2
	s_load_b32 s24, s[0:1], 0x0
	s_load_b32 s28, s[2:3], 0x0
	v_bfe_u32 v18, v0, 10, 10
	s_waitcnt lgkmcnt(0)
	s_add_u32 s6, s18, s4
	s_addc_u32 s12, s19, s5
	s_lshl_b64 s[4:5], s[8:9], 2
	s_delay_alu instid0(SALU_CYCLE_1) | instskip(SKIP_2) | instid1(SALU_CYCLE_1)
	s_add_u32 s4, s6, s4
	s_addc_u32 s5, s12, s5
	s_lshl_b32 s18, s14, 6
	v_add_nc_u32_e32 v4, s18, v5
	s_ashr_i32 s25, s24, 31
	s_add_i32 s3, s28, -1
	s_lshr_b32 s2, s25, 26
	s_delay_alu instid0(VALU_DEP_1) | instskip(SKIP_1) | instid1(SALU_CYCLE_1)
	v_mul_lo_u32 v1, v4, s7
	s_add_i32 s2, s24, s2
	s_and_not1_b32 s2, s2, 63
	s_delay_alu instid0(SALU_CYCLE_1) | instskip(SKIP_2) | instid1(VALU_DEP_2)
	s_sub_i32 s29, s24, s2
	v_cmp_eq_u32_e64 s2, 0, v18
	s_cmp_eq_u32 s14, s3
	v_ashrrev_i32_e32 v2, 31, v1
	s_cselect_b32 s8, s29, 0
	s_delay_alu instid0(VALU_DEP_1) | instskip(NEXT) | instid1(VALU_DEP_1)
	v_lshlrev_b64 v[1:2], 2, v[1:2]
	v_add_co_u32 v6, vcc_lo, s4, v1
	s_delay_alu instid0(VALU_DEP_2)
	v_add_co_ci_u32_e32 v7, vcc_lo, s5, v2, vcc_lo
	s_and_saveexec_b32 s3, s2
	s_cbranch_execz .LBB71_7
; %bb.4:
	v_cmp_gt_i32_e32 vcc_lo, s8, v5
	s_cmp_eq_u32 s8, 0
	v_mov_b32_e32 v0, 0
	s_cselect_b32 s4, -1, 0
	s_delay_alu instid0(SALU_CYCLE_1) | instskip(NEXT) | instid1(SALU_CYCLE_1)
	s_or_b32 s5, s4, vcc_lo
	s_and_saveexec_b32 s4, s5
	s_cbranch_execz .LBB71_6
; %bb.5:
	global_load_b32 v0, v[6:7], off
.LBB71_6:
	s_or_b32 exec_lo, exec_lo, s4
	v_lshlrev_b32_e32 v1, 2, v5
	s_waitcnt vmcnt(0)
	ds_store_b32 v1, v0 offset:4544
.LBB71_7:
	s_or_b32 exec_lo, exec_lo, s3
	s_load_b32 s12, s[0:1], 0x28
	v_lshl_add_u32 v14, v18, 6, v5
	v_and_b32_e32 v0, 31, v5
	s_mul_i32 s1, s15, s17
	s_mul_hi_u32 s3, s15, s16
	s_mul_i32 s0, s15, s16
	v_lshrrev_b32_e32 v3, 5, v14
	s_add_i32 s1, s3, s1
	v_lshlrev_b32_e32 v15, 2, v0
	s_lshl_b64 s[0:1], s[0:1], 2
	s_delay_alu instid0(SALU_CYCLE_1) | instskip(SKIP_2) | instid1(SALU_CYCLE_1)
	s_add_u32 s3, s20, s0
	s_addc_u32 s4, s21, s1
	s_lshl_b64 s[0:1], s[22:23], 2
	s_add_u32 s3, s3, s0
	s_addc_u32 s4, s4, s1
	s_ashr_i32 s19, s18, 31
	s_delay_alu instid0(SALU_CYCLE_1)
	s_lshl_b64 s[0:1], s[18:19], 2
	s_waitcnt lgkmcnt(0)
	v_mad_u64_u32 v[1:2], null, v3, s12, v[0:1]
	s_add_u32 s3, s3, s0
	s_mul_i32 s0, s18, s12
	s_addc_u32 s4, s4, s1
	s_ashr_i32 s1, s0, 31
	s_delay_alu instid0(SALU_CYCLE_1) | instskip(NEXT) | instid1(VALU_DEP_1)
	s_lshl_b64 s[0:1], s[0:1], 2
	v_ashrrev_i32_e32 v2, 31, v1
	s_add_u32 s3, s0, s3
	s_addc_u32 s4, s1, s4
	s_cmp_eq_u32 s8, 0
	v_cmp_gt_i32_e64 s0, s8, v0
	v_lshlrev_b64 v[8:9], 2, v[1:2]
	s_cselect_b32 s30, -1, 0
	s_cmp_lg_u32 s8, 0
	s_cselect_b32 s19, -1, 0
	s_delay_alu instid0(SALU_CYCLE_1) | instskip(NEXT) | instid1(VALU_DEP_1)
	s_and_b32 vcc_lo, exec_lo, s19
	v_add_co_u32 v1, s1, s3, v8
	s_delay_alu instid0(VALU_DEP_1)
	v_add_co_ci_u32_e64 v2, s1, s4, v9, s1
	s_cbranch_vccz .LBB71_17
; %bb.8:
	s_delay_alu instid0(VALU_DEP_2) | instskip(SKIP_1) | instid1(VALU_DEP_2)
	v_sub_co_u32 v10, vcc_lo, v1, v15
	s_ashr_i32 s9, s8, 31
	v_subrev_co_ci_u32_e32 v11, vcc_lo, 0, v2, vcc_lo
	s_lshl_b64 s[4:5], s[8:9], 2
	v_dual_mov_b32 v16, 0 :: v_dual_mov_b32 v13, 0
	v_add_co_u32 v10, vcc_lo, v10, s4
	s_delay_alu instid0(VALU_DEP_3) | instskip(SKIP_1) | instid1(VALU_DEP_2)
	v_add_co_ci_u32_e32 v11, vcc_lo, s5, v11, vcc_lo
	s_mov_b32 s1, exec_lo
	v_add_co_u32 v10, vcc_lo, v10, -4
	s_delay_alu instid0(VALU_DEP_2) | instskip(NEXT) | instid1(VALU_DEP_2)
	v_add_co_ci_u32_e32 v11, vcc_lo, -1, v11, vcc_lo
	v_cndmask_b32_e64 v10, v10, v1, s0
	s_delay_alu instid0(VALU_DEP_2)
	v_cndmask_b32_e64 v11, v11, v2, s0
	v_cmpx_gt_i32_e64 s8, v3
	s_cbranch_execz .LBB71_10
; %bb.9:
	global_load_b32 v13, v[10:11], off
.LBB71_10:
	s_or_b32 exec_lo, exec_lo, s1
	v_mul_u32_u24_e32 v12, 33, v3
	v_add_nc_u32_e32 v17, 8, v3
	s_mov_b32 s1, exec_lo
	s_delay_alu instid0(VALU_DEP_2)
	v_add_lshl_u32 v12, v12, v0, 2
	s_waitcnt vmcnt(0)
	ds_store_b32 v12, v13
	v_cmpx_gt_i32_e64 s8, v17
	s_cbranch_execz .LBB71_12
; %bb.11:
	s_lshl_b32 s16, s12, 3
	s_delay_alu instid0(SALU_CYCLE_1) | instskip(NEXT) | instid1(SALU_CYCLE_1)
	s_ashr_i32 s17, s16, 31
	s_lshl_b64 s[16:17], s[16:17], 2
	s_delay_alu instid0(SALU_CYCLE_1)
	v_add_co_u32 v16, vcc_lo, v10, s16
	v_add_co_ci_u32_e32 v17, vcc_lo, s17, v11, vcc_lo
	global_load_b32 v16, v[16:17], off
.LBB71_12:
	s_or_b32 exec_lo, exec_lo, s1
	v_add_nc_u32_e32 v17, 16, v3
	v_mov_b32_e32 v13, 0
	s_waitcnt vmcnt(0)
	ds_store_b32 v12, v16 offset:1056
	v_cmp_gt_i32_e32 vcc_lo, s8, v17
	v_mov_b32_e32 v17, 0
	s_and_saveexec_b32 s1, vcc_lo
	s_cbranch_execz .LBB71_14
; %bb.13:
	s_lshl_b32 s16, s12, 4
	s_delay_alu instid0(SALU_CYCLE_1) | instskip(NEXT) | instid1(SALU_CYCLE_1)
	s_ashr_i32 s17, s16, 31
	s_lshl_b64 s[16:17], s[16:17], 2
	s_delay_alu instid0(SALU_CYCLE_1)
	v_add_co_u32 v16, vcc_lo, v10, s16
	v_add_co_ci_u32_e32 v17, vcc_lo, s17, v11, vcc_lo
	global_load_b32 v17, v[16:17], off
.LBB71_14:
	s_or_b32 exec_lo, exec_lo, s1
	v_add_nc_u32_e32 v16, 24, v3
	s_mov_b32 s1, exec_lo
	s_waitcnt vmcnt(0)
	ds_store_b32 v12, v17 offset:2112
	v_cmpx_gt_i32_e64 s8, v16
	s_cbranch_execz .LBB71_16
; %bb.15:
	s_mul_i32 s16, s12, 24
	s_delay_alu instid0(SALU_CYCLE_1) | instskip(NEXT) | instid1(SALU_CYCLE_1)
	s_ashr_i32 s17, s16, 31
	s_lshl_b64 s[16:17], s[16:17], 2
	s_delay_alu instid0(SALU_CYCLE_1)
	v_add_co_u32 v16, vcc_lo, v10, s16
	v_add_co_ci_u32_e32 v17, vcc_lo, s17, v11, vcc_lo
	global_load_b32 v13, v[16:17], off
.LBB71_16:
	s_or_b32 exec_lo, exec_lo, s1
	v_add_co_u32 v10, vcc_lo, v10, v15
	v_add_co_ci_u32_e32 v11, vcc_lo, 0, v11, vcc_lo
	s_waitcnt vmcnt(0)
	ds_store_b32 v12, v13 offset:3168
	v_sub_co_u32 v10, vcc_lo, v10, s4
	v_subrev_co_ci_u32_e32 v11, vcc_lo, s5, v11, vcc_lo
	s_delay_alu instid0(VALU_DEP_2) | instskip(NEXT) | instid1(VALU_DEP_2)
	v_add_co_u32 v10, vcc_lo, v10, 4
	v_add_co_ci_u32_e32 v11, vcc_lo, 0, v11, vcc_lo
	s_delay_alu instid0(VALU_DEP_2) | instskip(NEXT) | instid1(VALU_DEP_2)
	v_cndmask_b32_e64 v10, v10, v1, s0
	v_cndmask_b32_e64 v11, v11, v2, s0
	v_mul_u32_u24_e32 v16, 33, v3
	s_branch .LBB71_19
.LBB71_17:
                                        ; implicit-def: $vgpr10_vgpr11
	v_mul_u32_u24_e32 v16, 33, v3
	s_cbranch_execz .LBB71_19
; %bb.18:
	s_lshl_b32 s0, s12, 3
	s_ashr_i32 s13, s12, 31
	s_ashr_i32 s1, s0, 31
	s_delay_alu instid0(SALU_CYCLE_1) | instskip(NEXT) | instid1(SALU_CYCLE_1)
	s_lshl_b64 s[0:1], s[0:1], 2
	v_add_co_u32 v10, vcc_lo, v1, s0
	v_add_co_ci_u32_e32 v11, vcc_lo, s1, v2, vcc_lo
	s_lshl_b64 s[0:1], s[12:13], 5
	s_delay_alu instid0(VALU_DEP_2) | instid1(SALU_CYCLE_1)
	v_add_co_u32 v12, vcc_lo, v10, s0
	s_delay_alu instid0(VALU_DEP_2) | instskip(NEXT) | instid1(VALU_DEP_2)
	v_add_co_ci_u32_e32 v13, vcc_lo, s1, v11, vcc_lo
	v_add_co_u32 v19, vcc_lo, v12, s0
	s_delay_alu instid0(VALU_DEP_2)
	v_add_co_ci_u32_e32 v20, vcc_lo, s1, v13, vcc_lo
	s_clause 0x1
	global_load_b32 v17, v[1:2], off
	global_load_b32 v21, v[10:11], off
	;; [unrolled: 1-line block ×4, first 2 shown]
	v_add_lshl_u32 v19, v16, v0, 2
	v_dual_mov_b32 v11, v2 :: v_dual_mov_b32 v10, v1
	s_waitcnt vmcnt(3)
	ds_store_b32 v19, v17
	s_waitcnt vmcnt(2)
	ds_store_b32 v19, v21 offset:1056
	s_waitcnt vmcnt(1)
	ds_store_b32 v19, v12 offset:2112
	;; [unrolled: 2-line block ×3, first 2 shown]
.LBB71_19:
	v_lshlrev_b32_e32 v20, 2, v3
	v_mul_u32_u24_e32 v17, 33, v0
	v_mul_u32_u24_e32 v1, 0x84, v3
	s_waitcnt lgkmcnt(0)
	s_barrier
	v_cmp_gt_u32_e64 s1, v20, v0
	v_add_lshl_u32 v26, v20, v17, 2
	buffer_gl0_inv
	s_and_saveexec_b32 s0, s1
	s_cbranch_execz .LBB71_21
; %bb.20:
	v_add_lshl_u32 v2, v1, v0, 2
	ds_load_b32 v2, v2
	s_waitcnt lgkmcnt(0)
	ds_store_b32 v26, v2
.LBB71_21:
	s_or_b32 exec_lo, exec_lo, s0
	v_cmp_ge_u32_e64 s3, v20, v0
	s_delay_alu instid0(VALU_DEP_1)
	s_and_saveexec_b32 s0, s3
	s_cbranch_execz .LBB71_23
; %bb.22:
	v_or_b32_e32 v2, 1, v20
	s_delay_alu instid0(VALU_DEP_1) | instskip(NEXT) | instid1(VALU_DEP_1)
	v_mul_u32_u24_e32 v2, 33, v2
	v_add_lshl_u32 v2, v2, v0, 2
	ds_load_b32 v2, v2
	s_waitcnt lgkmcnt(0)
	ds_store_b32 v26, v2 offset:4
.LBB71_23:
	s_or_b32 exec_lo, exec_lo, s0
	v_or_b32_e32 v2, 2, v20
	s_delay_alu instid0(VALU_DEP_1) | instskip(NEXT) | instid1(VALU_DEP_1)
	v_cmp_gt_u32_e64 s4, v2, v0
	s_and_saveexec_b32 s0, s4
	s_cbranch_execz .LBB71_25
; %bb.24:
	v_mul_u32_u24_e32 v2, 33, v2
	s_delay_alu instid0(VALU_DEP_1)
	v_add_lshl_u32 v2, v2, v0, 2
	ds_load_b32 v2, v2
	s_waitcnt lgkmcnt(0)
	ds_store_b32 v26, v2 offset:8
.LBB71_25:
	s_or_b32 exec_lo, exec_lo, s0
	v_or_b32_e32 v2, 3, v20
	s_delay_alu instid0(VALU_DEP_1) | instskip(SKIP_1) | instid1(VALU_DEP_2)
	v_mad_u32_u24 v12, v2, 33, v0
	v_cmp_gt_u32_e64 s5, v2, v0
	v_lshlrev_b32_e32 v23, 2, v12
	s_delay_alu instid0(VALU_DEP_2)
	s_and_saveexec_b32 s0, s5
	s_cbranch_execz .LBB71_27
; %bb.26:
	ds_load_b32 v2, v23
	s_waitcnt lgkmcnt(0)
	ds_store_b32 v26, v2 offset:12
.LBB71_27:
	s_or_b32 exec_lo, exec_lo, s0
	v_add_lshl_u32 v24, v1, v0, 2
	v_lshlrev_b32_e32 v27, 2, v20
	v_add_nc_u32_e32 v25, 0xfffffef8, v23
	s_waitcnt lgkmcnt(0)
	s_barrier
	buffer_gl0_inv
	ds_load_b32 v12, v24
	ds_load_b128 v[28:31], v27 offset:4544
	ds_load_2addr_b32 v[1:2], v25 offset1:33
	ds_load_b32 v13, v23
	v_add_lshl_u32 v22, v3, v17, 2
	v_cmp_gt_u32_e64 s0, 32, v14
	v_lshlrev_b32_e32 v21, 2, v17
	s_waitcnt lgkmcnt(0)
	s_barrier
	buffer_gl0_inv
	v_fma_f32 v12, v12, v28, 0
	s_delay_alu instid0(VALU_DEP_1) | instskip(NEXT) | instid1(VALU_DEP_1)
	v_fmac_f32_e32 v12, v1, v29
	v_dual_fmac_f32 v12, v2, v30 :: v_dual_mov_b32 v19, 0
	s_delay_alu instid0(VALU_DEP_1)
	v_fmac_f32_e32 v12, v13, v31
	ds_store_b32 v22, v12
	s_waitcnt lgkmcnt(0)
	s_barrier
	buffer_gl0_inv
	s_and_saveexec_b32 s6, s0
	s_cbranch_execz .LBB71_29
; %bb.28:
	ds_load_2addr_b32 v[1:2], v21 offset1:1
	ds_load_2addr_b32 v[12:13], v21 offset0:2 offset1:3
	ds_load_2addr_b32 v[28:29], v21 offset0:4 offset1:5
	;; [unrolled: 1-line block ×3, first 2 shown]
	s_waitcnt lgkmcnt(3)
	v_add_f32_e32 v1, v1, v2
	s_waitcnt lgkmcnt(2)
	s_delay_alu instid0(VALU_DEP_1) | instskip(NEXT) | instid1(VALU_DEP_1)
	v_add_f32_e32 v1, v1, v12
	v_add_f32_e32 v1, v1, v13
	s_waitcnt lgkmcnt(1)
	s_delay_alu instid0(VALU_DEP_1) | instskip(NEXT) | instid1(VALU_DEP_1)
	v_add_f32_e32 v1, v1, v28
	;; [unrolled: 4-line block ×3, first 2 shown]
	v_add_f32_e32 v19, v1, v31
.LBB71_29:
	s_or_b32 exec_lo, exec_lo, s6
	s_lshl_b32 s20, s12, 5
	s_delay_alu instid0(SALU_CYCLE_1)
	s_ashr_i32 s21, s20, 31
	s_barrier
	s_lshl_b64 s[16:17], s[20:21], 2
	buffer_gl0_inv
	v_add_co_u32 v12, vcc_lo, v10, s16
	v_add_co_ci_u32_e32 v13, vcc_lo, s17, v11, vcc_lo
	s_delay_alu instid0(VALU_DEP_2) | instskip(NEXT) | instid1(VALU_DEP_2)
	v_add_co_u32 v10, vcc_lo, 0x80, v12
	v_add_co_ci_u32_e32 v11, vcc_lo, 0, v13, vcc_lo
	s_and_b32 vcc_lo, exec_lo, s19
	s_cbranch_vccz .LBB71_39
; %bb.30:
	s_delay_alu instid0(VALU_DEP_2)
	v_sub_co_u32 v1, vcc_lo, v10, v15
	s_ashr_i32 s9, s8, 31
	v_subrev_co_ci_u32_e32 v2, vcc_lo, 0, v11, vcc_lo
	s_lshl_b64 s[22:23], s[8:9], 2
	v_or_b32_e32 v28, 32, v0
	v_add_co_u32 v1, vcc_lo, v1, s22
	s_delay_alu instid0(VALU_DEP_3) | instskip(SKIP_1) | instid1(VALU_DEP_3)
	v_add_co_ci_u32_e32 v2, vcc_lo, s23, v2, vcc_lo
	v_dual_mov_b32 v30, 0 :: v_dual_mov_b32 v29, 0
	v_add_co_u32 v1, vcc_lo, 0xffffff7c, v1
	s_delay_alu instid0(VALU_DEP_3) | instskip(SKIP_3) | instid1(VALU_DEP_2)
	v_add_co_ci_u32_e32 v2, vcc_lo, -1, v2, vcc_lo
	v_cmp_gt_i32_e32 vcc_lo, s8, v28
	s_sub_i32 s9, s8, 32
	s_mov_b32 s13, exec_lo
	v_dual_cndmask_b32 v2, v2, v11 :: v_dual_cndmask_b32 v1, v1, v10
	v_cmpx_gt_i32_e64 s9, v3
	s_cbranch_execz .LBB71_32
; %bb.31:
	global_load_b32 v29, v[1:2], off
.LBB71_32:
	s_or_b32 exec_lo, exec_lo, s13
	v_add_nc_u32_e32 v31, 8, v3
	v_add_lshl_u32 v28, v16, v0, 2
	s_mov_b32 s13, exec_lo
	s_waitcnt vmcnt(0)
	ds_store_b32 v28, v29
	v_cmpx_gt_i32_e64 s9, v31
	s_cbranch_execz .LBB71_34
; %bb.33:
	s_lshl_b32 s26, s12, 3
	s_delay_alu instid0(SALU_CYCLE_1) | instskip(NEXT) | instid1(SALU_CYCLE_1)
	s_ashr_i32 s27, s26, 31
	s_lshl_b64 s[26:27], s[26:27], 2
	s_delay_alu instid0(SALU_CYCLE_1) | instskip(NEXT) | instid1(VALU_DEP_1)
	v_add_co_u32 v29, s6, v1, s26
	v_add_co_ci_u32_e64 v30, s6, s27, v2, s6
	global_load_b32 v30, v[29:30], off
.LBB71_34:
	s_or_b32 exec_lo, exec_lo, s13
	v_add_nc_u32_e32 v31, 16, v3
	v_mov_b32_e32 v29, 0
	s_waitcnt vmcnt(0)
	ds_store_b32 v28, v30 offset:1056
	v_cmp_gt_i32_e64 s6, s9, v31
	v_mov_b32_e32 v31, 0
	s_delay_alu instid0(VALU_DEP_2)
	s_and_saveexec_b32 s13, s6
	s_cbranch_execz .LBB71_36
; %bb.35:
	s_lshl_b32 s26, s12, 4
	s_delay_alu instid0(SALU_CYCLE_1) | instskip(NEXT) | instid1(SALU_CYCLE_1)
	s_ashr_i32 s27, s26, 31
	s_lshl_b64 s[26:27], s[26:27], 2
	s_delay_alu instid0(SALU_CYCLE_1) | instskip(NEXT) | instid1(VALU_DEP_1)
	v_add_co_u32 v30, s6, v1, s26
	v_add_co_ci_u32_e64 v31, s6, s27, v2, s6
	global_load_b32 v31, v[30:31], off
.LBB71_36:
	s_or_b32 exec_lo, exec_lo, s13
	v_add_nc_u32_e32 v30, 24, v3
	s_waitcnt vmcnt(0)
	ds_store_b32 v28, v31 offset:2112
	v_cmp_gt_i32_e64 s6, s9, v30
	s_delay_alu instid0(VALU_DEP_1)
	s_and_saveexec_b32 s9, s6
	s_cbranch_execz .LBB71_38
; %bb.37:
	s_mul_i32 s26, s12, 24
	s_delay_alu instid0(SALU_CYCLE_1) | instskip(NEXT) | instid1(SALU_CYCLE_1)
	s_ashr_i32 s27, s26, 31
	s_lshl_b64 s[26:27], s[26:27], 2
	s_delay_alu instid0(SALU_CYCLE_1) | instskip(NEXT) | instid1(VALU_DEP_1)
	v_add_co_u32 v29, s6, v1, s26
	v_add_co_ci_u32_e64 v30, s6, s27, v2, s6
	global_load_b32 v29, v[29:30], off
.LBB71_38:
	s_or_b32 exec_lo, exec_lo, s9
	v_add_co_u32 v1, s6, v1, v15
	s_delay_alu instid0(VALU_DEP_1) | instskip(SKIP_3) | instid1(VALU_DEP_1)
	v_add_co_ci_u32_e64 v2, s6, 0, v2, s6
	s_waitcnt vmcnt(0)
	ds_store_b32 v28, v29 offset:3168
	v_sub_co_u32 v1, s6, v1, s22
	v_subrev_co_ci_u32_e64 v2, s6, s23, v2, s6
	s_delay_alu instid0(VALU_DEP_2) | instskip(NEXT) | instid1(VALU_DEP_1)
	v_add_co_u32 v1, s6, 0x84, v1
	v_add_co_ci_u32_e64 v2, s6, 0, v2, s6
	s_delay_alu instid0(VALU_DEP_1)
	v_dual_cndmask_b32 v1, v1, v10 :: v_dual_cndmask_b32 v2, v2, v11
	s_branch .LBB71_41
.LBB71_39:
                                        ; implicit-def: $vgpr1_vgpr2
	s_cbranch_execz .LBB71_41
; %bb.40:
	s_lshl_b32 s22, s12, 3
	s_ashr_i32 s13, s12, 31
	s_ashr_i32 s23, s22, 31
	s_delay_alu instid0(SALU_CYCLE_1) | instskip(NEXT) | instid1(SALU_CYCLE_1)
	s_lshl_b64 s[22:23], s[22:23], 2
	v_add_co_u32 v1, vcc_lo, v12, s22
	v_add_co_ci_u32_e32 v2, vcc_lo, s23, v13, vcc_lo
	s_lshl_b64 s[22:23], s[12:13], 5
	s_delay_alu instid0(VALU_DEP_2) | instid1(SALU_CYCLE_1)
	v_add_co_u32 v28, vcc_lo, v1, s22
	s_delay_alu instid0(VALU_DEP_2) | instskip(NEXT) | instid1(VALU_DEP_2)
	v_add_co_ci_u32_e32 v29, vcc_lo, s23, v2, vcc_lo
	v_add_co_u32 v30, vcc_lo, v28, s22
	s_delay_alu instid0(VALU_DEP_2)
	v_add_co_ci_u32_e32 v31, vcc_lo, s23, v29, vcc_lo
	s_clause 0x3
	global_load_b32 v12, v[12:13], off offset:128
	global_load_b32 v13, v[1:2], off offset:128
	;; [unrolled: 1-line block ×4, first 2 shown]
	v_add_lshl_u32 v30, v16, v0, 2
	v_dual_mov_b32 v1, v10 :: v_dual_mov_b32 v2, v11
	s_waitcnt vmcnt(3)
	ds_store_b32 v30, v12
	s_waitcnt vmcnt(2)
	ds_store_b32 v30, v13 offset:1056
	s_waitcnt vmcnt(1)
	ds_store_b32 v30, v28 offset:2112
	;; [unrolled: 2-line block ×3, first 2 shown]
.LBB71_41:
	s_waitcnt lgkmcnt(0)
	s_barrier
	buffer_gl0_inv
	s_and_saveexec_b32 s6, s1
	s_cbranch_execnz .LBB71_58
; %bb.42:
	s_or_b32 exec_lo, exec_lo, s6
	s_and_saveexec_b32 s1, s3
	s_cbranch_execnz .LBB71_59
.LBB71_43:
	s_or_b32 exec_lo, exec_lo, s1
	s_and_saveexec_b32 s1, s4
	s_cbranch_execnz .LBB71_60
.LBB71_44:
	s_or_b32 exec_lo, exec_lo, s1
	v_add_nc_u32_e32 v27, 0x11c0, v27
	s_and_saveexec_b32 s1, s5
	s_cbranch_execz .LBB71_46
.LBB71_45:
	ds_load_b32 v10, v23
	s_waitcnt lgkmcnt(0)
	ds_store_b32 v26, v10 offset:12
.LBB71_46:
	s_or_b32 exec_lo, exec_lo, s1
	s_waitcnt lgkmcnt(0)
	s_barrier
	buffer_gl0_inv
	ds_load_b32 v26, v24
	ds_load_b128 v[10:13], v27 offset:128
	ds_load_2addr_b32 v[28:29], v25 offset1:33
	ds_load_b32 v30, v23
	v_cmp_eq_u32_e64 s1, 1, v3
	s_waitcnt lgkmcnt(0)
	s_barrier
	buffer_gl0_inv
	v_fma_f32 v10, v26, v10, 0
	s_delay_alu instid0(VALU_DEP_1) | instskip(NEXT) | instid1(VALU_DEP_1)
	v_fmac_f32_e32 v10, v28, v11
	v_fmac_f32_e32 v10, v29, v12
	s_delay_alu instid0(VALU_DEP_1)
	v_fmac_f32_e32 v10, v30, v13
	ds_store_b32 v22, v10
	s_waitcnt lgkmcnt(0)
	s_barrier
	buffer_gl0_inv
	s_and_saveexec_b32 s3, s1
	s_cbranch_execz .LBB71_48
; %bb.47:
	ds_load_2addr_b32 v[10:11], v21 offset1:1
	ds_load_2addr_b32 v[12:13], v21 offset0:2 offset1:3
	ds_load_2addr_b32 v[28:29], v21 offset0:4 offset1:5
	;; [unrolled: 1-line block ×3, first 2 shown]
	s_waitcnt lgkmcnt(3)
	v_add_f32_e32 v10, v10, v11
	s_waitcnt lgkmcnt(2)
	s_delay_alu instid0(VALU_DEP_1) | instskip(NEXT) | instid1(VALU_DEP_1)
	v_add_f32_e32 v10, v10, v12
	v_add_f32_e32 v10, v10, v13
	s_waitcnt lgkmcnt(1)
	s_delay_alu instid0(VALU_DEP_1) | instskip(NEXT) | instid1(VALU_DEP_1)
	v_add_f32_e32 v10, v10, v28
	;; [unrolled: 4-line block ×3, first 2 shown]
	v_add_f32_e32 v19, v10, v31
.LBB71_48:
	s_or_b32 exec_lo, exec_lo, s3
	v_add_co_u32 v12, vcc_lo, 0xffffff80, v1
	v_add_co_ci_u32_e32 v13, vcc_lo, -1, v2, vcc_lo
	s_and_b32 vcc_lo, exec_lo, s19
	s_barrier
	buffer_gl0_inv
	s_cbranch_vccz .LBB71_61
; %bb.49:
	v_sub_co_u32 v10, vcc_lo, v1, v15
	s_ashr_i32 s9, s8, 31
	v_subrev_co_ci_u32_e32 v11, vcc_lo, 0, v2, vcc_lo
	s_lshl_b64 s[4:5], s[8:9], 2
	v_dual_mov_b32 v29, 0 :: v_dual_mov_b32 v28, 0
	v_add_co_u32 v10, vcc_lo, v10, s4
	s_delay_alu instid0(VALU_DEP_3) | instskip(SKIP_1) | instid1(VALU_DEP_2)
	v_add_co_ci_u32_e32 v11, vcc_lo, s5, v11, vcc_lo
	s_sub_i32 s6, s8, 32
	v_add_co_u32 v10, vcc_lo, 0xffffff7c, v10
	s_delay_alu instid0(VALU_DEP_2) | instskip(SKIP_2) | instid1(VALU_DEP_2)
	v_add_co_ci_u32_e32 v11, vcc_lo, -1, v11, vcc_lo
	v_cmp_gt_i32_e32 vcc_lo, s8, v0
	s_mov_b32 s9, exec_lo
	v_dual_cndmask_b32 v11, v11, v13 :: v_dual_cndmask_b32 v10, v10, v12
	v_cmpx_gt_i32_e64 s6, v3
	s_cbranch_execz .LBB71_51
; %bb.50:
	global_load_b32 v28, v[10:11], off
.LBB71_51:
	s_or_b32 exec_lo, exec_lo, s9
	v_add_nc_u32_e32 v26, 8, v3
	v_add_lshl_u32 v30, v16, v0, 2
	s_mov_b32 s9, exec_lo
	s_waitcnt vmcnt(0)
	ds_store_b32 v30, v28
	v_cmpx_gt_i32_e64 s6, v26
	s_cbranch_execz .LBB71_53
; %bb.52:
	s_lshl_b32 s22, s12, 3
	s_delay_alu instid0(SALU_CYCLE_1) | instskip(NEXT) | instid1(SALU_CYCLE_1)
	s_ashr_i32 s23, s22, 31
	s_lshl_b64 s[22:23], s[22:23], 2
	s_delay_alu instid0(SALU_CYCLE_1) | instskip(NEXT) | instid1(VALU_DEP_1)
	v_add_co_u32 v28, s3, v10, s22
	v_add_co_ci_u32_e64 v29, s3, s23, v11, s3
	global_load_b32 v29, v[28:29], off
.LBB71_53:
	s_or_b32 exec_lo, exec_lo, s9
	v_dual_mov_b32 v31, 0 :: v_dual_add_nc_u32 v28, 16, v3
	v_mov_b32_e32 v32, 0
	s_mov_b32 s9, exec_lo
	s_waitcnt vmcnt(0)
	ds_store_b32 v30, v29 offset:1056
	v_cmpx_gt_i32_e64 s6, v28
	s_cbranch_execz .LBB71_55
; %bb.54:
	s_lshl_b32 s22, s12, 4
	s_delay_alu instid0(SALU_CYCLE_1) | instskip(NEXT) | instid1(SALU_CYCLE_1)
	s_ashr_i32 s23, s22, 31
	s_lshl_b64 s[22:23], s[22:23], 2
	s_delay_alu instid0(SALU_CYCLE_1) | instskip(NEXT) | instid1(VALU_DEP_1)
	v_add_co_u32 v32, s3, v10, s22
	v_add_co_ci_u32_e64 v33, s3, s23, v11, s3
	global_load_b32 v32, v[32:33], off
.LBB71_55:
	s_or_b32 exec_lo, exec_lo, s9
	v_add_nc_u32_e32 v29, 24, v3
	s_waitcnt vmcnt(0)
	ds_store_b32 v30, v32 offset:2112
	v_cmp_gt_i32_e64 s3, s6, v29
	s_delay_alu instid0(VALU_DEP_1)
	s_and_saveexec_b32 s6, s3
	s_cbranch_execz .LBB71_57
; %bb.56:
	s_mul_i32 s22, s12, 24
	s_delay_alu instid0(SALU_CYCLE_1) | instskip(NEXT) | instid1(SALU_CYCLE_1)
	s_ashr_i32 s23, s22, 31
	s_lshl_b64 s[22:23], s[22:23], 2
	s_delay_alu instid0(SALU_CYCLE_1) | instskip(NEXT) | instid1(VALU_DEP_1)
	v_add_co_u32 v31, s3, v10, s22
	v_add_co_ci_u32_e64 v32, s3, s23, v11, s3
	global_load_b32 v31, v[31:32], off
.LBB71_57:
	s_or_b32 exec_lo, exec_lo, s6
	v_add_co_u32 v10, s3, v10, v15
	s_delay_alu instid0(VALU_DEP_1) | instskip(SKIP_3) | instid1(VALU_DEP_1)
	v_add_co_ci_u32_e64 v11, s3, 0, v11, s3
	s_waitcnt vmcnt(0)
	ds_store_b32 v30, v31 offset:3168
	v_sub_co_u32 v10, s3, v10, s4
	v_subrev_co_ci_u32_e64 v11, s3, s5, v11, s3
	s_delay_alu instid0(VALU_DEP_2) | instskip(NEXT) | instid1(VALU_DEP_1)
	v_add_co_u32 v10, s3, v10, 4
	v_add_co_ci_u32_e64 v11, s3, 0, v11, s3
	s_delay_alu instid0(VALU_DEP_1)
	v_dual_cndmask_b32 v10, v10, v12 :: v_dual_cndmask_b32 v11, v11, v13
	s_branch .LBB71_63
.LBB71_58:
	ds_load_b32 v10, v24
	s_waitcnt lgkmcnt(0)
	ds_store_b32 v26, v10
	s_or_b32 exec_lo, exec_lo, s6
	s_and_saveexec_b32 s1, s3
	s_cbranch_execz .LBB71_43
.LBB71_59:
	ds_load_b32 v10, v25
	s_waitcnt lgkmcnt(0)
	ds_store_b32 v26, v10 offset:4
	s_or_b32 exec_lo, exec_lo, s1
	s_and_saveexec_b32 s1, s4
	s_cbranch_execz .LBB71_44
.LBB71_60:
	ds_load_b32 v10, v25 offset:132
	s_waitcnt lgkmcnt(0)
	ds_store_b32 v26, v10 offset:8
	s_or_b32 exec_lo, exec_lo, s1
	v_add_nc_u32_e32 v27, 0x11c0, v27
	s_and_saveexec_b32 s1, s5
	s_cbranch_execnz .LBB71_45
	s_branch .LBB71_46
.LBB71_61:
                                        ; implicit-def: $vgpr10_vgpr11
                                        ; implicit-def: $vgpr26
                                        ; implicit-def: $vgpr28
                                        ; implicit-def: $vgpr29
	s_cbranch_execz .LBB71_63
; %bb.62:
	s_lshl_b32 s4, s12, 3
	s_ashr_i32 s13, s12, 31
	s_ashr_i32 s5, s4, 31
	v_add_lshl_u32 v0, v16, v0, 2
	s_lshl_b64 s[4:5], s[4:5], 2
	v_add_nc_u32_e32 v26, 8, v3
	v_add_co_u32 v10, vcc_lo, v1, s4
	v_add_co_ci_u32_e32 v11, vcc_lo, s5, v2, vcc_lo
	s_lshl_b64 s[4:5], s[12:13], 5
	s_delay_alu instid0(VALU_DEP_2) | instid1(SALU_CYCLE_1)
	v_add_co_u32 v28, vcc_lo, v10, s4
	s_delay_alu instid0(VALU_DEP_2) | instskip(NEXT) | instid1(VALU_DEP_2)
	v_add_co_ci_u32_e32 v29, vcc_lo, s5, v11, vcc_lo
	v_add_co_u32 v30, vcc_lo, v28, s4
	s_delay_alu instid0(VALU_DEP_2)
	v_add_co_ci_u32_e32 v31, vcc_lo, s5, v29, vcc_lo
	s_clause 0x3
	global_load_b32 v1, v[1:2], off offset:-128
	global_load_b32 v2, v[10:11], off offset:-128
	global_load_b32 v15, v[28:29], off offset:-128
	global_load_b32 v30, v[30:31], off offset:-128
	v_dual_mov_b32 v10, v12 :: v_dual_add_nc_u32 v29, 24, v3
	v_dual_mov_b32 v11, v13 :: v_dual_add_nc_u32 v28, 16, v3
	s_waitcnt vmcnt(3)
	ds_store_b32 v0, v1
	s_waitcnt vmcnt(2)
	ds_store_b32 v0, v2 offset:1056
	s_waitcnt vmcnt(1)
	ds_store_b32 v0, v15 offset:2112
	;; [unrolled: 2-line block ×3, first 2 shown]
.LBB71_63:
	s_waitcnt lgkmcnt(0)
	s_barrier
	buffer_gl0_inv
	ds_load_b32 v12, v22
	ds_load_b32 v13, v20 offset:4544
	v_add_lshl_u32 v0, v26, v17, 2
	v_lshlrev_b32_e32 v1, 2, v26
	ds_load_b32 v20, v0
	ds_load_b32 v26, v1 offset:4544
	v_add_lshl_u32 v2, v28, v17, 2
	v_lshlrev_b32_e32 v3, 2, v28
	v_add_lshl_u32 v0, v29, v17, 2
	v_lshlrev_b32_e32 v1, 2, v29
	ds_load_b32 v17, v2
	ds_load_b32 v28, v3 offset:4544
	ds_load_b32 v29, v0
	ds_load_b32 v30, v1 offset:4544
	ds_load_b32 v15, v24
	ds_load_b128 v[0:3], v27 offset:128
	s_waitcnt lgkmcnt(8)
	v_fma_f32 v24, v12, v13, 0
	ds_load_2addr_b32 v[12:13], v25 offset1:33
	ds_load_b32 v16, v23
	s_waitcnt lgkmcnt(0)
	s_barrier
	buffer_gl0_inv
	v_fmac_f32_e32 v24, v20, v26
	s_delay_alu instid0(VALU_DEP_1) | instskip(NEXT) | instid1(VALU_DEP_1)
	v_fmac_f32_e32 v24, v17, v28
	v_fmac_f32_e32 v24, v29, v30
	ds_store_b32 v22, v24
	s_waitcnt lgkmcnt(0)
	s_barrier
	buffer_gl0_inv
	s_and_saveexec_b32 s3, s1
	s_cbranch_execz .LBB71_65
; %bb.64:
	ds_load_2addr_b32 v[23:24], v21 offset1:1
	ds_load_2addr_b32 v[25:26], v21 offset0:2 offset1:3
	ds_load_2addr_b32 v[27:28], v21 offset0:4 offset1:5
	;; [unrolled: 1-line block ×3, first 2 shown]
	s_waitcnt lgkmcnt(3)
	v_add_f32_e32 v17, v19, v23
	s_delay_alu instid0(VALU_DEP_1) | instskip(SKIP_1) | instid1(VALU_DEP_1)
	v_add_f32_e32 v17, v17, v24
	s_waitcnt lgkmcnt(2)
	v_add_f32_e32 v17, v17, v25
	s_delay_alu instid0(VALU_DEP_1) | instskip(SKIP_1) | instid1(VALU_DEP_1)
	v_add_f32_e32 v17, v17, v26
	;; [unrolled: 4-line block ×3, first 2 shown]
	s_waitcnt lgkmcnt(0)
	v_add_f32_e32 v17, v17, v29
	s_delay_alu instid0(VALU_DEP_1)
	v_add_f32_e32 v19, v17, v30
.LBB71_65:
	s_or_b32 exec_lo, exec_lo, s3
	v_fma_f32 v0, v15, v0, 0
	s_barrier
	buffer_gl0_inv
	v_fmac_f32_e32 v0, v12, v1
	s_delay_alu instid0(VALU_DEP_1) | instskip(NEXT) | instid1(VALU_DEP_1)
	v_fmac_f32_e32 v0, v13, v2
	v_fmac_f32_e32 v0, v16, v3
	ds_store_b32 v22, v0
	s_waitcnt lgkmcnt(0)
	s_barrier
	buffer_gl0_inv
	s_and_saveexec_b32 s1, s0
	s_cbranch_execz .LBB71_67
; %bb.66:
	ds_load_2addr_b32 v[0:1], v21 offset1:1
	ds_load_2addr_b32 v[2:3], v21 offset0:2 offset1:3
	ds_load_2addr_b32 v[12:13], v21 offset0:4 offset1:5
	;; [unrolled: 1-line block ×3, first 2 shown]
	s_waitcnt lgkmcnt(3)
	v_add_f32_e32 v0, v19, v0
	s_delay_alu instid0(VALU_DEP_1) | instskip(SKIP_1) | instid1(VALU_DEP_1)
	v_add_f32_e32 v0, v0, v1
	s_waitcnt lgkmcnt(2)
	v_add_f32_e32 v0, v0, v2
	s_delay_alu instid0(VALU_DEP_1) | instskip(SKIP_1) | instid1(VALU_DEP_1)
	v_add_f32_e32 v0, v0, v3
	;; [unrolled: 4-line block ×3, first 2 shown]
	s_waitcnt lgkmcnt(0)
	v_add_f32_e32 v0, v0, v15
	s_delay_alu instid0(VALU_DEP_1)
	v_add_f32_e32 v19, v0, v16
.LBB71_67:
	s_or_b32 exec_lo, exec_lo, s1
	s_mul_hi_u32 s0, s24, s15
	s_mul_i32 s25, s25, s15
	s_mul_i32 s1, s24, s15
	s_add_i32 s0, s0, s25
	s_mul_hi_u32 s4, s1, s28
	s_mul_i32 s3, s0, s28
	s_mul_i32 s0, s1, s28
	s_add_i32 s1, s4, s3
	s_mul_hi_i32 s5, s24, s14
	s_lshl_b64 s[0:1], s[0:1], 2
	s_mul_i32 s4, s24, s14
	s_add_u32 s3, s10, s0
	s_addc_u32 s6, s11, s1
	s_lshl_b64 s[0:1], s[4:5], 2
	v_lshlrev_b32_e32 v3, 2, v5
	s_add_u32 s3, s3, s0
	s_addc_u32 s9, s6, s1
	s_add_i32 s1, s14, 1
	s_delay_alu instid0(SALU_CYCLE_1)
	s_cmp_ge_u32 s1, s28
	s_barrier
	buffer_gl0_inv
	s_cbranch_scc1 .LBB71_124
; %bb.68:
	s_mul_i32 s4, s18, s7
	v_lshlrev_b32_e32 v20, 2, v18
	s_ashr_i32 s5, s4, 31
	v_and_b32_e32 v0, 15, v5
	s_lshl_b64 s[4:5], s[4:5], 2
	v_or_b32_e32 v13, 60, v3
	v_mad_u64_u32 v[1:2], null, v20, s12, v[5:6]
	v_sub_co_u32 v21, vcc_lo, v6, s4
	v_subrev_co_ci_u32_e32 v22, vcc_lo, s5, v7, vcc_lo
	v_and_b32_e32 v7, 48, v5
	v_lshrrev_b32_e32 v6, 4, v14
	v_add_co_u32 v23, vcc_lo, v10, s16
	v_ashrrev_i32_e32 v2, 31, v1
	s_delay_alu instid0(VALU_DEP_4)
	v_lshlrev_b32_e32 v12, 2, v7
	v_and_b32_e32 v15, 0x1fff0, v14
	v_add_nc_u32_e32 v7, s18, v7
	v_add_co_ci_u32_e32 v24, vcc_lo, s17, v11, vcc_lo
	v_sub_co_u32 v47, vcc_lo, 0, v8
	v_cmp_gt_u32_e64 s0, 64, v14
	v_mad_u32_u24 v27, 0x10c, v0, v12
	v_mad_u32_u24 v28, 0x10c, v0, v13
	;; [unrolled: 1-line block ×3, first 2 shown]
	v_mul_i32_i24_e32 v14, -12, v6
	v_add3_u32 v0, v7, v0, 64
	v_lshlrev_b64 v[6:7], 2, v[1:2]
	v_sub_co_ci_u32_e32 v48, vcc_lo, 0, v9, vcc_lo
	v_add_co_u32 v12, vcc_lo, s20, v1
	v_add_co_ci_u32_e32 v13, vcc_lo, s21, v2, vcc_lo
	s_delay_alu instid0(VALU_DEP_4) | instskip(SKIP_1) | instid1(VALU_DEP_3)
	v_sub_co_u32 v49, vcc_lo, v6, v8
	v_sub_co_ci_u32_e32 v50, vcc_lo, v7, v9, vcc_lo
	v_lshlrev_b64 v[6:7], 2, v[12:13]
	s_lshl_b32 s10, s12, 4
	s_ashr_i32 s13, s12, 31
	s_lshl_b32 s31, s7, 6
	s_ashr_i32 s11, s10, 31
	s_lshl_b32 s24, s12, 1
	s_mul_i32 s34, s12, 3
	s_mul_i32 s7, s7, s1
	;; [unrolled: 1-line block ×3, first 2 shown]
	s_lshl_b64 s[22:23], s[12:13], 3
	s_add_i32 s15, s28, -2
	s_ashr_i32 s25, s24, 31
	s_ashr_i32 s35, s34, 31
	s_lshl_b64 s[18:19], s[12:13], 2
	s_lshl_b32 s4, s7, 6
	s_lshl_b64 s[6:7], s[10:11], 4
	s_mul_hi_i32 s33, s12, 12
	v_add_co_u32 v8, vcc_lo, s36, v6
	s_add_u32 s1, s22, s16
	v_add_co_ci_u32_e32 v9, vcc_lo, s33, v7, vcc_lo
	s_addc_u32 s5, s23, s17
	v_add_co_u32 v51, vcc_lo, v10, s1
	v_add_co_ci_u32_e32 v52, vcc_lo, s5, v11, vcc_lo
	v_add_co_u32 v53, vcc_lo, v10, v8
	s_add_u32 s37, s18, s16
	v_add_co_ci_u32_e32 v54, vcc_lo, v11, v9, vcc_lo
	s_addc_u32 s38, s19, s17
	s_lshl_b64 s[26:27], s[24:25], 2
	v_add_co_u32 v55, vcc_lo, v10, s37
	s_add_u32 s39, s16, s26
	v_add_co_ci_u32_e32 v56, vcc_lo, s38, v11, vcc_lo
	s_addc_u32 s40, s17, s27
	s_lshl_b64 s[24:25], s[34:35], 2
	v_add_co_u32 v57, vcc_lo, v10, s39
	s_add_u32 s39, s16, s24
	v_add_co_ci_u32_e32 v58, vcc_lo, s40, v11, vcc_lo
	s_addc_u32 s40, s17, s25
	s_lshl_b64 s[34:35], s[10:11], 2
	v_add_co_u32 v59, vcc_lo, v10, s39
	s_add_u32 s39, s16, s34
	v_add_co_ci_u32_e32 v60, vcc_lo, s40, v11, vcc_lo
	s_addc_u32 s40, s17, s35
	v_add_co_u32 v61, vcc_lo, v10, s39
	s_add_u32 s37, s37, s34
	v_add_co_ci_u32_e32 v62, vcc_lo, s40, v11, vcc_lo
	s_addc_u32 s38, s38, s35
	;; [unrolled: 4-line block ×4, first 2 shown]
	s_add_u32 s34, s1, s34
	s_addc_u32 s35, s5, s35
	s_add_u32 s20, s20, s10
	s_addc_u32 s21, s21, s11
	v_add_co_u32 v1, vcc_lo, s20, v1
	v_add_co_ci_u32_e32 v2, vcc_lo, s21, v2, vcc_lo
	v_add_co_u32 v67, vcc_lo, v10, s37
	v_add_co_ci_u32_e32 v68, vcc_lo, s38, v11, vcc_lo
	s_delay_alu instid0(VALU_DEP_3) | instskip(SKIP_3) | instid1(VALU_DEP_3)
	v_lshlrev_b64 v[1:2], 2, v[1:2]
	v_add_co_u32 v69, vcc_lo, v10, s34
	v_add_co_ci_u32_e32 v70, vcc_lo, s35, v11, vcc_lo
	s_lshl_b64 s[20:21], s[10:11], 3
	v_add_co_u32 v1, vcc_lo, s36, v1
	s_delay_alu instid0(VALU_DEP_4) | instskip(SKIP_1) | instid1(VALU_DEP_2)
	v_add_co_ci_u32_e32 v2, vcc_lo, s33, v2, vcc_lo
	s_add_u32 s16, s20, s16
	v_add_co_u32 v71, vcc_lo, v10, v1
	s_delay_alu instid0(VALU_DEP_2)
	v_add_co_ci_u32_e32 v72, vcc_lo, v11, v2, vcc_lo
	s_addc_u32 s17, s21, s17
	v_add_co_u32 v73, vcc_lo, v10, s16
	s_add_u32 s34, s16, s18
	v_add_co_ci_u32_e32 v74, vcc_lo, s17, v11, vcc_lo
	s_addc_u32 s35, s17, s19
	v_add_co_u32 v75, vcc_lo, v10, s34
	s_add_u32 s34, s16, s26
	;; [unrolled: 4-line block ×5, first 2 shown]
	v_add_co_ci_u32_e32 v82, vcc_lo, s5, v11, vcc_lo
	s_addc_u32 s5, s33, s21
	v_add_co_u32 v8, vcc_lo, s1, v6
	v_mad_i64_i32 v[1:2], null, s10, 12, v[6:7]
	v_add_co_ci_u32_e32 v9, vcc_lo, s5, v7, vcc_lo
	s_delay_alu instid0(VALU_DEP_3) | instskip(SKIP_1) | instid1(VALU_DEP_2)
	v_add_co_u32 v83, vcc_lo, v10, v8
	s_mul_i32 s1, s12, 0xc0
	v_add_co_ci_u32_e32 v84, vcc_lo, v11, v9, vcc_lo
	s_delay_alu instid0(VALU_DEP_4)
	v_add_co_u32 v85, vcc_lo, v10, v1
	v_add_co_ci_u32_e32 v86, vcc_lo, v11, v2, vcc_lo
	v_add_co_u32 v12, vcc_lo, v1, s18
	v_add_co_ci_u32_e32 v13, vcc_lo, s19, v2, vcc_lo
	;; [unrolled: 2-line block ×3, first 2 shown]
	s_mul_hi_i32 s5, s10, 12
	v_add_co_u32 v87, vcc_lo, v10, v12
	s_add_u32 s1, s1, s22
	s_addc_u32 s5, s5, s23
	v_add_co_ci_u32_e32 v88, vcc_lo, v11, v13, vcc_lo
	s_add_u32 s10, s12, s10
	v_add_co_u32 v89, vcc_lo, v10, v15
	v_mad_u64_u32 v[8:9], null, s10, 12, v[6:7]
	v_add_co_ci_u32_e32 v90, vcc_lo, v11, v16, vcc_lo
	v_add_co_u32 v12, vcc_lo, v1, s24
	v_add_co_ci_u32_e32 v13, vcc_lo, s25, v2, vcc_lo
	s_addc_u32 s10, s13, s11
	s_delay_alu instid0(VALU_DEP_2) | instskip(SKIP_1) | instid1(VALU_DEP_3)
	v_add_co_u32 v91, vcc_lo, v10, v12
	v_mad_u64_u32 v[1:2], null, s10, 12, v[9:10]
	v_add_co_ci_u32_e32 v92, vcc_lo, v11, v13, vcc_lo
	v_add_co_u32 v2, vcc_lo, s1, v6
	v_add_co_ci_u32_e32 v6, vcc_lo, s5, v7, vcc_lo
	v_add_nc_u32_e32 v25, 0x10c0, v3
	s_delay_alu instid0(VALU_DEP_3) | instskip(NEXT) | instid1(VALU_DEP_3)
	v_add_co_u32 v93, vcc_lo, v10, v2
	v_add_co_ci_u32_e32 v94, vcc_lo, v11, v6, vcc_lo
	v_add_co_u32 v95, vcc_lo, v10, v8
	v_add_nc_u32_e32 v26, 0x11c0, v3
	v_or_b32_e32 v30, 1, v20
	v_or_b32_e32 v31, 2, v20
	;; [unrolled: 1-line block ×3, first 2 shown]
	v_lshl_add_u32 v33, v18, 4, 0x10c0
	v_mad_u32_u24 v34, 0x430, v18, v3
	v_add_nc_u32_e32 v35, 16, v20
	v_add_nc_u32_e32 v36, 17, v20
	;; [unrolled: 1-line block ×12, first 2 shown]
	v_add_co_ci_u32_e32 v96, vcc_lo, v11, v1, vcc_lo
	v_add_nc_u32_e32 v97, v29, v14
	s_cmp_eq_u32 s15, s14
	s_cselect_b32 s10, s29, 0
	s_and_saveexec_b32 s1, s2
	s_cbranch_execz .LBB71_72
.LBB71_69:
	v_cmp_gt_i32_e32 vcc_lo, s10, v5
	s_cmp_eq_u32 s10, 0
	v_mov_b32_e32 v1, 0
	s_cselect_b32 s5, -1, 0
	s_delay_alu instid0(SALU_CYCLE_1) | instskip(NEXT) | instid1(SALU_CYCLE_1)
	s_or_b32 s5, s5, vcc_lo
	s_and_saveexec_b32 s11, s5
	s_cbranch_execz .LBB71_71
; %bb.70:
	s_ashr_i32 s5, s4, 31
	s_delay_alu instid0(SALU_CYCLE_1) | instskip(NEXT) | instid1(SALU_CYCLE_1)
	s_lshl_b64 s[12:13], s[4:5], 2
	v_add_co_u32 v1, vcc_lo, v21, s12
	v_add_co_ci_u32_e32 v2, vcc_lo, s13, v22, vcc_lo
	global_load_b32 v1, v[1:2], off
.LBB71_71:
	s_or_b32 exec_lo, exec_lo, s11
	s_waitcnt vmcnt(0)
	ds_store_b32 v25, v1
.LBB71_72:                              ; =>This Inner Loop Header: Depth=1
	s_or_b32 exec_lo, exec_lo, s1
	s_cmp_eq_u32 s10, 0
	v_add_co_u32 v1, vcc_lo, v23, v49
	s_cselect_b32 s5, -1, 0
	s_cmp_lg_u32 s10, 0
	v_add_co_ci_u32_e32 v2, vcc_lo, v24, v50, vcc_lo
	s_cselect_b32 s1, -1, 0
	s_waitcnt lgkmcnt(0)
	s_and_b32 vcc_lo, exec_lo, s1
	s_barrier
	buffer_gl0_inv
	s_cbranch_vccz .LBB71_120
; %bb.73:                               ;   in Loop: Header=BB71_72 Depth=1
	v_dual_mov_b32 v98, 0 :: v_dual_mov_b32 v101, 0
	s_mov_b32 s11, exec_lo
	v_cmpx_gt_i32_e64 s10, v20
	s_cbranch_execz .LBB71_75
; %bb.74:                               ;   in Loop: Header=BB71_72 Depth=1
	global_load_b32 v101, v[1:2], off
.LBB71_75:                              ;   in Loop: Header=BB71_72 Depth=1
	s_or_b32 exec_lo, exec_lo, s11
	s_delay_alu instid0(SALU_CYCLE_1)
	s_mov_b32 s11, exec_lo
	v_cmpx_gt_i32_e64 s10, v30
	s_cbranch_execz .LBB71_77
; %bb.76:                               ;   in Loop: Header=BB71_72 Depth=1
	v_add_co_u32 v6, vcc_lo, v55, v49
	v_add_co_ci_u32_e32 v7, vcc_lo, v56, v50, vcc_lo
	global_load_b32 v98, v[6:7], off
.LBB71_77:                              ;   in Loop: Header=BB71_72 Depth=1
	s_or_b32 exec_lo, exec_lo, s11
	v_dual_mov_b32 v99, 0 :: v_dual_mov_b32 v100, 0
	s_mov_b32 s11, exec_lo
	v_cmpx_gt_i32_e64 s10, v31
	s_cbranch_execz .LBB71_79
; %bb.78:                               ;   in Loop: Header=BB71_72 Depth=1
	v_add_co_u32 v6, vcc_lo, v57, v49
	v_add_co_ci_u32_e32 v7, vcc_lo, v58, v50, vcc_lo
	global_load_b32 v100, v[6:7], off
.LBB71_79:                              ;   in Loop: Header=BB71_72 Depth=1
	s_or_b32 exec_lo, exec_lo, s11
	s_delay_alu instid0(SALU_CYCLE_1)
	s_mov_b32 s11, exec_lo
	v_cmpx_gt_i32_e64 s10, v32
	s_cbranch_execz .LBB71_81
; %bb.80:                               ;   in Loop: Header=BB71_72 Depth=1
	v_add_co_u32 v6, vcc_lo, v59, v49
	v_add_co_ci_u32_e32 v7, vcc_lo, v60, v50, vcc_lo
	global_load_b32 v99, v[6:7], off
.LBB71_81:                              ;   in Loop: Header=BB71_72 Depth=1
	s_or_b32 exec_lo, exec_lo, s11
	s_branch .LBB71_83
.LBB71_82:                              ;   in Loop: Header=BB71_72 Depth=1
	v_add_co_u32 v6, vcc_lo, v55, v49
	v_add_co_ci_u32_e32 v7, vcc_lo, v56, v50, vcc_lo
	v_add_co_u32 v8, vcc_lo, v51, v49
	v_add_co_ci_u32_e32 v9, vcc_lo, v52, v50, vcc_lo
	;; [unrolled: 2-line block ×3, first 2 shown]
	global_load_b32 v101, v[1:2], off
	global_load_b32 v98, v[6:7], off
	global_load_b32 v100, v[8:9], off
	global_load_b32 v99, v[10:11], off
.LBB71_83:                              ;   in Loop: Header=BB71_72 Depth=1
	ds_load_b32 v1, v26
	ds_load_b32 v105, v33
	v_add_co_u32 v8, vcc_lo, v61, v49
	v_cndmask_b32_e64 v16, 0, 1, s1
	v_add_co_ci_u32_e32 v9, vcc_lo, v62, v50, vcc_lo
	s_and_not1_b32 vcc_lo, exec_lo, s1
	s_waitcnt vmcnt(0) lgkmcnt(1)
	v_mul_f32_e32 v2, v101, v1
	v_mul_f32_e32 v6, v98, v1
	;; [unrolled: 1-line block ×4, first 2 shown]
	ds_store_b32 v34, v2
	ds_load_b32 v104, v33 offset:4
	ds_store_b32 v34, v6 offset:268
	ds_load_b32 v103, v33 offset:8
	ds_store_b32 v34, v7 offset:536
	ds_load_b32 v102, v33 offset:12
	ds_store_b32 v34, v1 offset:804
	s_waitcnt lgkmcnt(0)
	s_barrier
	buffer_gl0_inv
	ds_load_2addr_b32 v[6:7], v29 offset1:1
	ds_load_2addr_b32 v[1:2], v29 offset0:2 offset1:3
	s_waitcnt lgkmcnt(0)
	s_barrier
	buffer_gl0_inv
	s_cbranch_vccnz .LBB71_121
; %bb.84:                               ;   in Loop: Header=BB71_72 Depth=1
	v_dual_mov_b32 v106, 0 :: v_dual_mov_b32 v107, 0
	s_mov_b32 s1, exec_lo
	v_cmpx_gt_i32_e64 s10, v35
	s_cbranch_execz .LBB71_86
; %bb.85:                               ;   in Loop: Header=BB71_72 Depth=1
	global_load_b32 v107, v[8:9], off
.LBB71_86:                              ;   in Loop: Header=BB71_72 Depth=1
	s_or_b32 exec_lo, exec_lo, s1
	s_delay_alu instid0(SALU_CYCLE_1)
	s_mov_b32 s1, exec_lo
	v_cmpx_gt_i32_e64 s10, v36
	s_cbranch_execz .LBB71_88
; %bb.87:                               ;   in Loop: Header=BB71_72 Depth=1
	v_add_co_u32 v10, vcc_lo, v63, v49
	v_add_co_ci_u32_e32 v11, vcc_lo, v64, v50, vcc_lo
	global_load_b32 v106, v[10:11], off
.LBB71_88:                              ;   in Loop: Header=BB71_72 Depth=1
	s_or_b32 exec_lo, exec_lo, s1
	v_dual_mov_b32 v108, 0 :: v_dual_mov_b32 v109, 0
	s_mov_b32 s1, exec_lo
	v_cmpx_gt_i32_e64 s10, v37
	s_cbranch_execz .LBB71_90
; %bb.89:                               ;   in Loop: Header=BB71_72 Depth=1
	v_add_co_u32 v10, vcc_lo, v65, v49
	v_add_co_ci_u32_e32 v11, vcc_lo, v66, v50, vcc_lo
	global_load_b32 v109, v[10:11], off
.LBB71_90:                              ;   in Loop: Header=BB71_72 Depth=1
	s_or_b32 exec_lo, exec_lo, s1
	s_delay_alu instid0(SALU_CYCLE_1)
	s_mov_b32 s1, exec_lo
	v_cmpx_gt_i32_e64 s10, v38
	s_cbranch_execz .LBB71_92
; %bb.91:                               ;   in Loop: Header=BB71_72 Depth=1
	v_add_co_u32 v10, vcc_lo, v67, v49
	v_add_co_ci_u32_e32 v11, vcc_lo, v68, v50, vcc_lo
	global_load_b32 v108, v[10:11], off
.LBB71_92:                              ;   in Loop: Header=BB71_72 Depth=1
	s_or_b32 exec_lo, exec_lo, s1
	s_branch .LBB71_94
.LBB71_93:                              ;   in Loop: Header=BB71_72 Depth=1
	v_add_co_u32 v10, vcc_lo, v63, v49
	v_add_co_ci_u32_e32 v11, vcc_lo, v64, v50, vcc_lo
	v_add_co_u32 v12, vcc_lo, v69, v49
	v_add_co_ci_u32_e32 v13, vcc_lo, v70, v50, vcc_lo
	;; [unrolled: 2-line block ×3, first 2 shown]
	global_load_b32 v107, v[8:9], off
	global_load_b32 v106, v[10:11], off
	;; [unrolled: 1-line block ×4, first 2 shown]
.LBB71_94:                              ;   in Loop: Header=BB71_72 Depth=1
	ds_load_b32 v8, v26
	ds_load_b32 v110, v33 offset:64
	v_cmp_ne_u32_e32 vcc_lo, 1, v16
	v_add_co_u32 v12, s1, v73, v49
	s_delay_alu instid0(VALU_DEP_1)
	v_add_co_ci_u32_e64 v13, s1, v74, v50, s1
	s_and_b32 vcc_lo, exec_lo, vcc_lo
	s_waitcnt vmcnt(0) lgkmcnt(1)
	v_mul_f32_e32 v9, v107, v8
	v_mul_f32_e32 v10, v106, v8
	;; [unrolled: 1-line block ×4, first 2 shown]
	ds_store_b32 v34, v9
	ds_load_b32 v113, v33 offset:68
	ds_store_b32 v34, v10 offset:268
	ds_load_b32 v112, v33 offset:72
	ds_store_b32 v34, v11 offset:536
	;; [unrolled: 2-line block ×3, first 2 shown]
	s_waitcnt lgkmcnt(0)
	s_barrier
	buffer_gl0_inv
	ds_load_2addr_b32 v[10:11], v29 offset1:1
	ds_load_2addr_b32 v[8:9], v29 offset0:2 offset1:3
	s_waitcnt lgkmcnt(0)
	s_barrier
	buffer_gl0_inv
	s_cbranch_vccnz .LBB71_122
; %bb.95:                               ;   in Loop: Header=BB71_72 Depth=1
	v_dual_mov_b32 v114, 0 :: v_dual_mov_b32 v115, 0
	s_mov_b32 s1, exec_lo
	v_cmpx_gt_i32_e64 s10, v39
	s_cbranch_execz .LBB71_97
; %bb.96:                               ;   in Loop: Header=BB71_72 Depth=1
	global_load_b32 v115, v[12:13], off
.LBB71_97:                              ;   in Loop: Header=BB71_72 Depth=1
	s_or_b32 exec_lo, exec_lo, s1
	s_delay_alu instid0(SALU_CYCLE_1)
	s_mov_b32 s1, exec_lo
	v_cmpx_gt_i32_e64 s10, v40
	s_cbranch_execz .LBB71_99
; %bb.98:                               ;   in Loop: Header=BB71_72 Depth=1
	v_add_co_u32 v14, vcc_lo, v75, v49
	v_add_co_ci_u32_e32 v15, vcc_lo, v76, v50, vcc_lo
	global_load_b32 v114, v[14:15], off
.LBB71_99:                              ;   in Loop: Header=BB71_72 Depth=1
	s_or_b32 exec_lo, exec_lo, s1
	v_dual_mov_b32 v116, 0 :: v_dual_mov_b32 v117, 0
	s_mov_b32 s1, exec_lo
	v_cmpx_gt_i32_e64 s10, v41
	s_cbranch_execz .LBB71_101
; %bb.100:                              ;   in Loop: Header=BB71_72 Depth=1
	v_add_co_u32 v14, vcc_lo, v77, v49
	v_add_co_ci_u32_e32 v15, vcc_lo, v78, v50, vcc_lo
	global_load_b32 v117, v[14:15], off
.LBB71_101:                             ;   in Loop: Header=BB71_72 Depth=1
	s_or_b32 exec_lo, exec_lo, s1
	s_delay_alu instid0(SALU_CYCLE_1)
	s_mov_b32 s1, exec_lo
	v_cmpx_gt_i32_e64 s10, v42
	s_cbranch_execz .LBB71_103
; %bb.102:                              ;   in Loop: Header=BB71_72 Depth=1
	v_add_co_u32 v14, vcc_lo, v79, v49
	v_add_co_ci_u32_e32 v15, vcc_lo, v80, v50, vcc_lo
	global_load_b32 v116, v[14:15], off
.LBB71_103:                             ;   in Loop: Header=BB71_72 Depth=1
	s_or_b32 exec_lo, exec_lo, s1
	s_branch .LBB71_105
.LBB71_104:                             ;   in Loop: Header=BB71_72 Depth=1
	v_add_co_u32 v14, vcc_lo, v75, v49
	v_add_co_ci_u32_e32 v15, vcc_lo, v76, v50, vcc_lo
	s_waitcnt vmcnt(0)
	v_add_co_u32 v116, vcc_lo, v81, v49
	v_add_co_ci_u32_e32 v117, vcc_lo, v82, v50, vcc_lo
	v_add_co_u32 v118, vcc_lo, v83, v47
	v_add_co_ci_u32_e32 v119, vcc_lo, v84, v48, vcc_lo
	global_load_b32 v115, v[12:13], off
	global_load_b32 v114, v[14:15], off
	;; [unrolled: 1-line block ×4, first 2 shown]
.LBB71_105:                             ;   in Loop: Header=BB71_72 Depth=1
	ds_load_b32 v12, v26
	ds_load_b32 v118, v33 offset:128
	v_cmp_ne_u32_e32 vcc_lo, 1, v16
	v_add_co_u32 v16, s1, v85, v47
	s_delay_alu instid0(VALU_DEP_1)
	v_add_co_ci_u32_e64 v17, s1, v86, v48, s1
	s_and_b32 vcc_lo, exec_lo, vcc_lo
	s_waitcnt vmcnt(0) lgkmcnt(1)
	v_mul_f32_e32 v13, v115, v12
	v_mul_f32_e32 v14, v114, v12
	;; [unrolled: 1-line block ×4, first 2 shown]
	ds_store_b32 v34, v13
	ds_load_b32 v121, v33 offset:132
	ds_store_b32 v34, v14 offset:268
	ds_load_b32 v120, v33 offset:136
	ds_store_b32 v34, v15 offset:536
	;; [unrolled: 2-line block ×3, first 2 shown]
	s_waitcnt lgkmcnt(0)
	s_barrier
	buffer_gl0_inv
	ds_load_2addr_b32 v[14:15], v29 offset1:1
	ds_load_2addr_b32 v[12:13], v29 offset0:2 offset1:3
	s_waitcnt lgkmcnt(0)
	s_barrier
	buffer_gl0_inv
	s_cbranch_vccnz .LBB71_123
; %bb.106:                              ;   in Loop: Header=BB71_72 Depth=1
	v_dual_mov_b32 v122, 0 :: v_dual_mov_b32 v123, 0
	s_mov_b32 s1, exec_lo
	v_cmpx_gt_i32_e64 s10, v43
	s_cbranch_execz .LBB71_108
; %bb.107:                              ;   in Loop: Header=BB71_72 Depth=1
	global_load_b32 v123, v[16:17], off
.LBB71_108:                             ;   in Loop: Header=BB71_72 Depth=1
	s_or_b32 exec_lo, exec_lo, s1
	s_delay_alu instid0(SALU_CYCLE_1)
	s_mov_b32 s1, exec_lo
	v_cmpx_gt_i32_e64 s10, v44
	s_cbranch_execz .LBB71_110
; %bb.109:                              ;   in Loop: Header=BB71_72 Depth=1
	v_add_co_u32 v124, vcc_lo, v87, v47
	v_add_co_ci_u32_e32 v125, vcc_lo, v88, v48, vcc_lo
	global_load_b32 v122, v[124:125], off
.LBB71_110:                             ;   in Loop: Header=BB71_72 Depth=1
	s_or_b32 exec_lo, exec_lo, s1
	v_dual_mov_b32 v124, 0 :: v_dual_mov_b32 v125, 0
	s_mov_b32 s1, exec_lo
	v_cmpx_gt_i32_e64 s10, v45
	s_cbranch_execz .LBB71_112
; %bb.111:                              ;   in Loop: Header=BB71_72 Depth=1
	v_add_co_u32 v125, vcc_lo, v89, v47
	v_add_co_ci_u32_e32 v126, vcc_lo, v90, v48, vcc_lo
	global_load_b32 v125, v[125:126], off
.LBB71_112:                             ;   in Loop: Header=BB71_72 Depth=1
	s_or_b32 exec_lo, exec_lo, s1
	s_delay_alu instid0(SALU_CYCLE_1)
	s_mov_b32 s1, exec_lo
	v_cmpx_gt_i32_e64 s10, v46
	s_cbranch_execz .LBB71_114
; %bb.113:                              ;   in Loop: Header=BB71_72 Depth=1
	v_add_co_u32 v126, vcc_lo, v91, v47
	v_add_co_ci_u32_e32 v127, vcc_lo, v92, v48, vcc_lo
	global_load_b32 v124, v[126:127], off
.LBB71_114:                             ;   in Loop: Header=BB71_72 Depth=1
	s_or_b32 exec_lo, exec_lo, s1
	s_branch .LBB71_116
.LBB71_115:                             ;   in Loop: Header=BB71_72 Depth=1
	s_waitcnt vmcnt(0)
	v_add_co_u32 v124, vcc_lo, v87, v47
	v_add_co_ci_u32_e32 v125, vcc_lo, v88, v48, vcc_lo
	v_add_co_u32 v126, vcc_lo, v93, v47
	v_add_co_ci_u32_e32 v127, vcc_lo, v94, v48, vcc_lo
	;; [unrolled: 2-line block ×3, first 2 shown]
	global_load_b32 v123, v[16:17], off
	global_load_b32 v122, v[124:125], off
	;; [unrolled: 1-line block ×4, first 2 shown]
.LBB71_116:                             ;   in Loop: Header=BB71_72 Depth=1
	ds_load_b32 v17, v26
	ds_load_b32 v16, v33 offset:192
	v_add_f32_e32 v10, 0, v10
	v_cmp_gt_i32_e32 vcc_lo, s10, v5
	v_add_f32_e32 v14, 0, v14
	s_delay_alu instid0(VALU_DEP_3) | instskip(SKIP_1) | instid1(VALU_DEP_2)
	v_add_f32_e32 v10, v10, v11
	s_or_b32 s1, s5, vcc_lo
	v_add_f32_e32 v14, v14, v15
	s_and_b32 s5, s0, s1
	s_delay_alu instid0(VALU_DEP_2) | instskip(NEXT) | instid1(VALU_DEP_2)
	v_add_f32_e32 v8, v10, v8
	v_dual_add_f32 v11, v14, v12 :: v_dual_add_f32 v6, 0, v6
	s_delay_alu instid0(VALU_DEP_2)
	v_add_f32_e32 v8, v8, v9
	s_waitcnt vmcnt(0) lgkmcnt(1)
	v_mul_f32_e32 v129, v125, v17
	v_mul_f32_e32 v126, v123, v17
	;; [unrolled: 1-line block ×3, first 2 shown]
	v_add_f32_e32 v6, v6, v7
	ds_store_b32 v34, v126
	ds_load_b32 v127, v33 offset:196
	v_add_f32_e32 v1, v6, v1
	s_delay_alu instid0(VALU_DEP_1)
	v_dual_mul_f32 v128, v122, v17 :: v_dual_add_f32 v1, v1, v2
	ds_store_b32 v34, v128 offset:268
	ds_load_b32 v126, v33 offset:200
	ds_store_b32 v34, v129 offset:536
	ds_load_b32 v17, v33 offset:204
	ds_store_b32 v34, v130 offset:804
	s_waitcnt lgkmcnt(0)
	s_barrier
	buffer_gl0_inv
	ds_load_2addr_b32 v[128:129], v29 offset1:1
	ds_load_2addr_b32 v[130:131], v29 offset0:2 offset1:3
	s_waitcnt lgkmcnt(0)
	s_barrier
	buffer_gl0_inv
	v_add_f32_e32 v128, 0, v128
	s_delay_alu instid0(VALU_DEP_1) | instskip(NEXT) | instid1(VALU_DEP_1)
	v_add_f32_e32 v7, v128, v129
	v_add_f32_e32 v6, v7, v130
	s_delay_alu instid0(VALU_DEP_1)
	v_dual_add_f32 v7, v11, v13 :: v_dual_add_f32 v2, v6, v131
	ds_store_2addr_b32 v97, v1, v8 offset1:16
	ds_store_2addr_b32 v97, v7, v2 offset0:32 offset1:48
	s_waitcnt lgkmcnt(0)
	s_barrier
	buffer_gl0_inv
	s_and_saveexec_b32 s1, s5
	s_cbranch_execz .LBB71_118
; %bb.117:                              ;   in Loop: Header=BB71_72 Depth=1
	ds_load_2addr_b32 v[1:2], v27 offset1:1
	ds_load_2addr_b32 v[6:7], v27 offset0:2 offset1:3
	ds_load_2addr_b32 v[8:9], v27 offset0:4 offset1:5
	;; [unrolled: 1-line block ×3, first 2 shown]
	s_waitcnt lgkmcnt(3)
	v_add_f32_e32 v1, v1, v2
	s_waitcnt lgkmcnt(2)
	s_delay_alu instid0(VALU_DEP_1) | instskip(NEXT) | instid1(VALU_DEP_1)
	v_add_f32_e32 v1, v1, v6
	v_add_f32_e32 v1, v1, v7
	s_waitcnt lgkmcnt(1)
	s_delay_alu instid0(VALU_DEP_1) | instskip(SKIP_3) | instid1(VALU_DEP_1)
	v_add_f32_e32 v6, v1, v8
	ds_load_2addr_b32 v[1:2], v27 offset0:8 offset1:9
	v_add_f32_e32 v6, v6, v9
	s_waitcnt lgkmcnt(1)
	v_add_f32_e32 v8, v6, v10
	ds_load_2addr_b32 v[6:7], v27 offset0:10 offset1:11
	v_add_f32_e32 v10, v8, v11
	ds_load_2addr_b32 v[8:9], v27 offset0:12 offset1:13
	ds_load_b32 v11, v27 offset:56
	s_waitcnt lgkmcnt(3)
	v_add_f32_e32 v1, v10, v1
	s_delay_alu instid0(VALU_DEP_1) | instskip(SKIP_1) | instid1(VALU_DEP_1)
	v_add_f32_e32 v1, v1, v2
	s_waitcnt lgkmcnt(2)
	v_add_f32_e32 v1, v1, v6
	ds_load_b32 v6, v28
	v_add_f32_e32 v1, v1, v7
	s_waitcnt lgkmcnt(2)
	s_delay_alu instid0(VALU_DEP_1) | instskip(NEXT) | instid1(VALU_DEP_1)
	v_add_f32_e32 v1, v1, v8
	v_add_f32_e32 v2, v1, v9
	v_ashrrev_i32_e32 v1, 31, v0
	s_waitcnt lgkmcnt(1)
	s_delay_alu instid0(VALU_DEP_2) | instskip(NEXT) | instid1(VALU_DEP_2)
	v_add_f32_e32 v7, v2, v11
	v_lshlrev_b64 v[1:2], 2, v[0:1]
	s_waitcnt lgkmcnt(0)
	s_delay_alu instid0(VALU_DEP_2) | instskip(NEXT) | instid1(VALU_DEP_2)
	v_add_f32_e32 v6, v7, v6
	v_add_co_u32 v1, vcc_lo, s3, v1
	s_delay_alu instid0(VALU_DEP_3)
	v_add_co_ci_u32_e32 v2, vcc_lo, s9, v2, vcc_lo
	global_store_b32 v[1:2], v6, off
.LBB71_118:                             ;   in Loop: Header=BB71_72 Depth=1
	s_or_b32 exec_lo, exec_lo, s1
	v_dual_fmac_f32 v19, v101, v105 :: v_dual_add_nc_u32 v0, 64, v0
	v_add_co_u32 v23, vcc_lo, v23, s6
	v_add_co_ci_u32_e32 v24, vcc_lo, s7, v24, vcc_lo
	s_delay_alu instid0(VALU_DEP_3) | instskip(SKIP_2) | instid1(VALU_DEP_3)
	v_fmac_f32_e32 v19, v98, v104
	v_add_co_u32 v51, vcc_lo, v51, s6
	v_add_co_ci_u32_e32 v52, vcc_lo, s7, v52, vcc_lo
	v_fmac_f32_e32 v19, v100, v103
	v_add_co_u32 v53, vcc_lo, v53, s6
	v_add_co_ci_u32_e32 v54, vcc_lo, s7, v54, vcc_lo
	v_add_co_u32 v55, vcc_lo, v55, s6
	s_delay_alu instid0(VALU_DEP_4)
	v_fmac_f32_e32 v19, v99, v102
	v_add_co_ci_u32_e32 v56, vcc_lo, s7, v56, vcc_lo
	v_add_co_u32 v57, vcc_lo, v57, s6
	v_add_co_ci_u32_e32 v58, vcc_lo, s7, v58, vcc_lo
	v_add_co_u32 v59, vcc_lo, v59, s6
	v_fmac_f32_e32 v19, v107, v110
	v_add_co_ci_u32_e32 v60, vcc_lo, s7, v60, vcc_lo
	v_add_co_u32 v61, vcc_lo, v61, s6
	v_add_co_ci_u32_e32 v62, vcc_lo, s7, v62, vcc_lo
	s_delay_alu instid0(VALU_DEP_4) | instskip(SKIP_3) | instid1(VALU_DEP_4)
	v_fmac_f32_e32 v19, v106, v113
	v_add_co_u32 v63, vcc_lo, v63, s6
	v_add_co_ci_u32_e32 v64, vcc_lo, s7, v64, vcc_lo
	v_add_co_u32 v65, vcc_lo, v65, s6
	v_fmac_f32_e32 v19, v109, v112
	v_add_co_ci_u32_e32 v66, vcc_lo, s7, v66, vcc_lo
	v_add_co_u32 v67, vcc_lo, v67, s6
	v_add_co_ci_u32_e32 v68, vcc_lo, s7, v68, vcc_lo
	v_add_co_u32 v69, vcc_lo, v69, s6
	v_fmac_f32_e32 v19, v108, v111
	v_add_co_ci_u32_e32 v70, vcc_lo, s7, v70, vcc_lo
	v_add_co_u32 v71, vcc_lo, v71, s6
	v_add_co_ci_u32_e32 v72, vcc_lo, s7, v72, vcc_lo
	s_delay_alu instid0(VALU_DEP_4) | instskip(SKIP_3) | instid1(VALU_DEP_4)
	v_fmac_f32_e32 v19, v115, v118
	v_add_co_u32 v73, vcc_lo, v73, s6
	v_add_co_ci_u32_e32 v74, vcc_lo, s7, v74, vcc_lo
	v_add_co_u32 v75, vcc_lo, v75, s6
	;; [unrolled: 14-line block ×4, first 2 shown]
	v_fmac_f32_e32 v19, v124, v17
	v_add_co_ci_u32_e32 v96, vcc_lo, s7, v96, vcc_lo
	s_add_i32 s5, s14, 2
	s_add_i32 s1, s14, 1
	;; [unrolled: 1-line block ×3, first 2 shown]
	s_cmp_ge_u32 s5, s28
	s_waitcnt_vscnt null, 0x0
	s_barrier
	buffer_gl0_inv
	s_cbranch_scc1 .LBB71_124
; %bb.119:                              ;   in Loop: Header=BB71_72 Depth=1
	s_mov_b32 s14, s1
	s_delay_alu instid0(SALU_CYCLE_1)
	s_cmp_eq_u32 s15, s14
	s_cselect_b32 s10, s29, 0
	s_and_saveexec_b32 s1, s2
	s_cbranch_execnz .LBB71_69
	s_branch .LBB71_72
.LBB71_120:                             ;   in Loop: Header=BB71_72 Depth=1
                                        ; implicit-def: $vgpr99
                                        ; implicit-def: $vgpr100
                                        ; implicit-def: $vgpr98
                                        ; implicit-def: $vgpr101
	s_cbranch_execnz .LBB71_82
	s_branch .LBB71_83
.LBB71_121:                             ;   in Loop: Header=BB71_72 Depth=1
                                        ; implicit-def: $vgpr108
                                        ; implicit-def: $vgpr109
                                        ; implicit-def: $vgpr106
                                        ; implicit-def: $vgpr107
	s_cbranch_execnz .LBB71_93
	s_branch .LBB71_94
.LBB71_122:                             ;   in Loop: Header=BB71_72 Depth=1
                                        ; implicit-def: $vgpr116
                                        ; implicit-def: $vgpr117
                                        ; implicit-def: $vgpr114
                                        ; implicit-def: $vgpr115
	s_cbranch_execnz .LBB71_104
	s_branch .LBB71_105
.LBB71_123:                             ;   in Loop: Header=BB71_72 Depth=1
                                        ; implicit-def: $vgpr124
                                        ; implicit-def: $vgpr125
                                        ; implicit-def: $vgpr122
                                        ; implicit-def: $vgpr123
	s_cbranch_execnz .LBB71_115
	s_branch .LBB71_116
.LBB71_124:
	v_cmp_gt_i32_e32 vcc_lo, s8, v5
	v_mad_u32_u24 v0, 0x10c, v18, v3
	s_or_b32 s0, s30, vcc_lo
	ds_store_b32 v0, v19
	s_and_b32 s0, s2, s0
	s_waitcnt lgkmcnt(0)
	s_barrier
	buffer_gl0_inv
	s_and_saveexec_b32 s1, s0
	s_cbranch_execz .LBB71_126
; %bb.125:
	ds_load_2addr_b32 v[0:1], v3 offset1:67
	ds_load_2addr_b32 v[2:3], v3 offset0:134 offset1:201
	v_ashrrev_i32_e32 v5, 31, v4
	s_waitcnt lgkmcnt(1)
	v_add_f32_e32 v0, v0, v1
	s_waitcnt lgkmcnt(0)
	s_delay_alu instid0(VALU_DEP_1) | instskip(SKIP_1) | instid1(VALU_DEP_2)
	v_add_f32_e32 v2, v0, v2
	v_lshlrev_b64 v[0:1], 2, v[4:5]
	v_add_f32_e32 v2, v2, v3
	s_delay_alu instid0(VALU_DEP_2) | instskip(NEXT) | instid1(VALU_DEP_3)
	v_add_co_u32 v0, vcc_lo, s3, v0
	v_add_co_ci_u32_e32 v1, vcc_lo, s9, v1, vcc_lo
	global_store_b32 v[0:1], v2, off
.LBB71_126:
	s_nop 0
	s_sendmsg sendmsg(MSG_DEALLOC_VGPRS)
	s_endpgm
	.section	.rodata,"a",@progbits
	.p2align	6, 0x0
	.amdhsa_kernel _ZL26rocblas_hemvn_kernel_upperILb0ELi64ELi4ELi33ELi32ELi16EiPKfS1_PfEviT6_lT7_lT5_lS4_lS5_lS3_lT8_i
		.amdhsa_group_segment_fixed_size 4800
		.amdhsa_private_segment_fixed_size 0
		.amdhsa_kernarg_size 376
		.amdhsa_user_sgpr_count 14
		.amdhsa_user_sgpr_dispatch_ptr 0
		.amdhsa_user_sgpr_queue_ptr 0
		.amdhsa_user_sgpr_kernarg_segment_ptr 1
		.amdhsa_user_sgpr_dispatch_id 0
		.amdhsa_user_sgpr_private_segment_size 0
		.amdhsa_wavefront_size32 1
		.amdhsa_uses_dynamic_stack 0
		.amdhsa_enable_private_segment 0
		.amdhsa_system_sgpr_workgroup_id_x 1
		.amdhsa_system_sgpr_workgroup_id_y 0
		.amdhsa_system_sgpr_workgroup_id_z 1
		.amdhsa_system_sgpr_workgroup_info 0
		.amdhsa_system_vgpr_workitem_id 1
		.amdhsa_next_free_vgpr 132
		.amdhsa_next_free_sgpr 41
		.amdhsa_reserve_vcc 1
		.amdhsa_float_round_mode_32 0
		.amdhsa_float_round_mode_16_64 0
		.amdhsa_float_denorm_mode_32 3
		.amdhsa_float_denorm_mode_16_64 3
		.amdhsa_dx10_clamp 1
		.amdhsa_ieee_mode 1
		.amdhsa_fp16_overflow 0
		.amdhsa_workgroup_processor_mode 1
		.amdhsa_memory_ordered 1
		.amdhsa_forward_progress 0
		.amdhsa_shared_vgpr_count 0
		.amdhsa_exception_fp_ieee_invalid_op 0
		.amdhsa_exception_fp_denorm_src 0
		.amdhsa_exception_fp_ieee_div_zero 0
		.amdhsa_exception_fp_ieee_overflow 0
		.amdhsa_exception_fp_ieee_underflow 0
		.amdhsa_exception_fp_ieee_inexact 0
		.amdhsa_exception_int_div_zero 0
	.end_amdhsa_kernel
	.section	.text._ZL26rocblas_hemvn_kernel_upperILb0ELi64ELi4ELi33ELi32ELi16EiPKfS1_PfEviT6_lT7_lT5_lS4_lS5_lS3_lT8_i,"axG",@progbits,_ZL26rocblas_hemvn_kernel_upperILb0ELi64ELi4ELi33ELi32ELi16EiPKfS1_PfEviT6_lT7_lT5_lS4_lS5_lS3_lT8_i,comdat
.Lfunc_end71:
	.size	_ZL26rocblas_hemvn_kernel_upperILb0ELi64ELi4ELi33ELi32ELi16EiPKfS1_PfEviT6_lT7_lT5_lS4_lS5_lS3_lT8_i, .Lfunc_end71-_ZL26rocblas_hemvn_kernel_upperILb0ELi64ELi4ELi33ELi32ELi16EiPKfS1_PfEviT6_lT7_lT5_lS4_lS5_lS3_lT8_i
                                        ; -- End function
	.section	.AMDGPU.csdata,"",@progbits
; Kernel info:
; codeLenInByte = 7988
; NumSgprs: 43
; NumVgprs: 132
; ScratchSize: 0
; MemoryBound: 0
; FloatMode: 240
; IeeeMode: 1
; LDSByteSize: 4800 bytes/workgroup (compile time only)
; SGPRBlocks: 5
; VGPRBlocks: 16
; NumSGPRsForWavesPerEU: 43
; NumVGPRsForWavesPerEU: 132
; Occupancy: 10
; WaveLimiterHint : 1
; COMPUTE_PGM_RSRC2:SCRATCH_EN: 0
; COMPUTE_PGM_RSRC2:USER_SGPR: 14
; COMPUTE_PGM_RSRC2:TRAP_HANDLER: 0
; COMPUTE_PGM_RSRC2:TGID_X_EN: 1
; COMPUTE_PGM_RSRC2:TGID_Y_EN: 0
; COMPUTE_PGM_RSRC2:TGID_Z_EN: 1
; COMPUTE_PGM_RSRC2:TIDIG_COMP_CNT: 1
	.section	.text._ZL36rocblas_hemvn_kernel_upper_block_sumILi64EiPKfPffEviT1_lS3_lT2_lT0_lPT3_i,"axG",@progbits,_ZL36rocblas_hemvn_kernel_upper_block_sumILi64EiPKfPffEviT1_lS3_lT2_lT0_lPT3_i,comdat
	.globl	_ZL36rocblas_hemvn_kernel_upper_block_sumILi64EiPKfPffEviT1_lS3_lT2_lT0_lPT3_i ; -- Begin function _ZL36rocblas_hemvn_kernel_upper_block_sumILi64EiPKfPffEviT1_lS3_lT2_lT0_lPT3_i
	.p2align	8
	.type	_ZL36rocblas_hemvn_kernel_upper_block_sumILi64EiPKfPffEviT1_lS3_lT2_lT0_lPT3_i,@function
_ZL36rocblas_hemvn_kernel_upper_block_sumILi64EiPKfPffEviT1_lS3_lT2_lT0_lPT3_i: ; @_ZL36rocblas_hemvn_kernel_upper_block_sumILi64EiPKfPffEviT1_lS3_lT2_lT0_lPT3_i
; %bb.0:
	s_load_b256 s[4:11], s[0:1], 0x8
	s_waitcnt lgkmcnt(0)
	s_mul_i32 s3, s15, s7
	s_mul_hi_u32 s7, s15, s6
	s_mul_i32 s2, s15, s6
	s_add_i32 s3, s7, s3
	s_mul_i32 s6, s15, s11
	s_lshl_b64 s[2:3], s[2:3], 2
	s_mul_hi_u32 s7, s15, s10
	s_add_u32 s2, s4, s2
	s_addc_u32 s3, s5, s3
	s_add_i32 s5, s7, s6
	s_mul_i32 s4, s15, s10
	s_mov_b32 s11, 0
	s_lshl_b64 s[4:5], s[4:5], 2
	s_delay_alu instid0(SALU_CYCLE_1)
	s_add_u32 s4, s8, s4
	s_addc_u32 s5, s9, s5
	s_load_b32 s3, s[2:3], 0x0
	s_load_b32 s10, s[4:5], 0x0
	s_waitcnt lgkmcnt(0)
	v_cmp_eq_f32_e64 s2, s3, 0
	v_cmp_eq_f32_e64 s4, s10, 1.0
	s_delay_alu instid0(VALU_DEP_1) | instskip(NEXT) | instid1(SALU_CYCLE_1)
	s_and_b32 s2, s2, s4
	s_and_b32 vcc_lo, exec_lo, s2
	s_cbranch_vccnz .LBB72_19
; %bb.1:
	s_clause 0x3
	s_load_b128 s[4:7], s[0:1], 0x40
	s_load_b128 s[16:19], s[0:1], 0x28
	s_load_b32 s12, s[0:1], 0x38
	s_load_b32 s8, s[0:1], 0x0
	v_lshl_or_b32 v0, s14, 6, v0
	s_waitcnt lgkmcnt(0)
	s_mul_i32 s2, s15, s5
	s_mul_hi_u32 s5, s15, s4
	s_mul_i32 s4, s15, s4
	s_add_i32 s5, s5, s2
	v_cmp_neq_f32_e64 s2, s3, 0
	s_lshl_b64 s[4:5], s[4:5], 2
	s_delay_alu instid0(SALU_CYCLE_1) | instskip(SKIP_2) | instid1(SALU_CYCLE_1)
	s_add_u32 s9, s16, s4
	s_addc_u32 s13, s17, s5
	s_lshl_b64 s[4:5], s[18:19], 2
	s_add_u32 s4, s9, s4
	s_addc_u32 s5, s13, s5
	s_and_b32 vcc_lo, exec_lo, s2
	v_cmp_gt_i32_e64 s2, s8, v0
	s_cbranch_vccnz .LBB72_6
; %bb.2:
	s_mov_b32 s9, 0
                                        ; implicit-def: $vgpr4
                                        ; implicit-def: $vgpr2_vgpr3
	s_delay_alu instid0(VALU_DEP_1)
	s_and_saveexec_b32 s13, s2
	s_cbranch_execz .LBB72_7
; %bb.3:
	v_mul_lo_u32 v2, v0, s12
	v_cmp_eq_f32_e64 s2, s10, 0
	v_mov_b32_e32 v4, 0
	s_delay_alu instid0(VALU_DEP_2) | instskip(NEXT) | instid1(VALU_DEP_3)
	s_and_b32 vcc_lo, exec_lo, s2
	v_ashrrev_i32_e32 v3, 31, v2
	s_cbranch_vccnz .LBB72_5
; %bb.4:
	s_delay_alu instid0(VALU_DEP_1) | instskip(NEXT) | instid1(VALU_DEP_1)
	v_lshlrev_b64 v[4:5], 2, v[2:3]
	v_add_co_u32 v4, vcc_lo, s4, v4
	s_delay_alu instid0(VALU_DEP_2)
	v_add_co_ci_u32_e32 v5, vcc_lo, s5, v5, vcc_lo
	global_load_b32 v1, v[4:5], off
	s_waitcnt vmcnt(0)
	v_mul_f32_e32 v4, s10, v1
.LBB72_5:
	s_mov_b32 s11, exec_lo
	s_or_b32 exec_lo, exec_lo, s13
	s_delay_alu instid0(SALU_CYCLE_1)
	s_and_b32 vcc_lo, exec_lo, s9
	s_cbranch_vccnz .LBB72_8
	s_branch .LBB72_17
.LBB72_6:
                                        ; implicit-def: $vgpr4
                                        ; implicit-def: $vgpr2_vgpr3
	s_cbranch_execnz .LBB72_8
	s_branch .LBB72_17
.LBB72_7:
	s_or_b32 exec_lo, exec_lo, s13
	s_delay_alu instid0(SALU_CYCLE_1)
	s_and_b32 vcc_lo, exec_lo, s9
	s_cbranch_vccz .LBB72_17
.LBB72_8:
	s_mov_b32 s2, exec_lo
                                        ; implicit-def: $vgpr4
                                        ; implicit-def: $vgpr2_vgpr3
	v_cmpx_gt_i32_e64 s8, v0
	s_cbranch_execz .LBB72_16
; %bb.9:
	v_mov_b32_e32 v1, 0
	s_cmp_lt_i32 s14, 0
	s_cbranch_scc1 .LBB72_12
; %bb.10:
	s_load_b32 s0, s[0:1], 0x58
	s_ashr_i32 s9, s8, 31
	s_mul_hi_u32 s1, s8, s15
	s_mul_i32 s13, s9, s15
	v_mov_b32_e32 v1, 0
	s_mul_i32 s15, s8, s15
	s_add_i32 s1, s1, s13
	s_delay_alu instid0(VALU_DEP_1)
	v_lshlrev_b64 v[2:3], 2, v[0:1]
	s_waitcnt lgkmcnt(0)
	s_mul_i32 s1, s1, s0
	s_mul_hi_u32 s13, s15, s0
	s_mul_i32 s0, s15, s0
	s_add_i32 s1, s13, s1
	s_delay_alu instid0(SALU_CYCLE_1) | instskip(NEXT) | instid1(SALU_CYCLE_1)
	s_lshl_b64 s[0:1], s[0:1], 2
	s_add_u32 s0, s6, s0
	s_addc_u32 s1, s7, s1
	v_add_co_u32 v2, vcc_lo, s0, v2
	v_add_co_ci_u32_e32 v3, vcc_lo, s1, v3, vcc_lo
	s_add_i32 s6, s14, 1
	s_lshl_b64 s[0:1], s[8:9], 2
.LBB72_11:                              ; =>This Inner Loop Header: Depth=1
	global_load_b32 v4, v[2:3], off
	v_add_co_u32 v2, vcc_lo, v2, s0
	v_add_co_ci_u32_e32 v3, vcc_lo, s1, v3, vcc_lo
	s_add_i32 s6, s6, -1
	s_delay_alu instid0(SALU_CYCLE_1)
	s_cmp_eq_u32 s6, 0
	s_waitcnt vmcnt(0)
	v_add_f32_e32 v1, v1, v4
	s_cbranch_scc0 .LBB72_11
.LBB72_12:
	v_mul_lo_u32 v2, v0, s12
	v_cmp_eq_f32_e64 s0, s10, 0
	s_delay_alu instid0(VALU_DEP_1) | instskip(SKIP_1) | instid1(VALU_DEP_2)
	s_and_b32 vcc_lo, exec_lo, s0
	s_mov_b32 s0, 0
	v_ashrrev_i32_e32 v3, 31, v2
	s_cbranch_vccz .LBB72_20
; %bb.13:
	v_mul_f32_e32 v4, s3, v1
	s_and_not1_b32 vcc_lo, exec_lo, s0
	s_cbranch_vccnz .LBB72_15
.LBB72_14:
	s_delay_alu instid0(VALU_DEP_1) | instskip(NEXT) | instid1(VALU_DEP_1)
	v_lshlrev_b64 v[4:5], 2, v[2:3]
	v_add_co_u32 v4, vcc_lo, s4, v4
	s_delay_alu instid0(VALU_DEP_2) | instskip(SKIP_3) | instid1(VALU_DEP_1)
	v_add_co_ci_u32_e32 v5, vcc_lo, s5, v5, vcc_lo
	global_load_b32 v0, v[4:5], off
	s_waitcnt vmcnt(0)
	v_mul_f32_e32 v4, s10, v0
	v_fmac_f32_e32 v4, s3, v1
.LBB72_15:
	s_or_b32 s11, s11, exec_lo
.LBB72_16:
	s_or_b32 exec_lo, exec_lo, s2
.LBB72_17:
	s_and_saveexec_b32 s0, s11
	s_cbranch_execz .LBB72_19
; %bb.18:
	v_lshlrev_b64 v[0:1], 2, v[2:3]
	s_delay_alu instid0(VALU_DEP_1) | instskip(NEXT) | instid1(VALU_DEP_2)
	v_add_co_u32 v0, vcc_lo, s4, v0
	v_add_co_ci_u32_e32 v1, vcc_lo, s5, v1, vcc_lo
	global_store_b32 v[0:1], v4, off
.LBB72_19:
	s_nop 0
	s_sendmsg sendmsg(MSG_DEALLOC_VGPRS)
	s_endpgm
.LBB72_20:
                                        ; implicit-def: $vgpr4
	s_branch .LBB72_14
	.section	.rodata,"a",@progbits
	.p2align	6, 0x0
	.amdhsa_kernel _ZL36rocblas_hemvn_kernel_upper_block_sumILi64EiPKfPffEviT1_lS3_lT2_lT0_lPT3_i
		.amdhsa_group_segment_fixed_size 0
		.amdhsa_private_segment_fixed_size 0
		.amdhsa_kernarg_size 344
		.amdhsa_user_sgpr_count 14
		.amdhsa_user_sgpr_dispatch_ptr 0
		.amdhsa_user_sgpr_queue_ptr 0
		.amdhsa_user_sgpr_kernarg_segment_ptr 1
		.amdhsa_user_sgpr_dispatch_id 0
		.amdhsa_user_sgpr_private_segment_size 0
		.amdhsa_wavefront_size32 1
		.amdhsa_uses_dynamic_stack 0
		.amdhsa_enable_private_segment 0
		.amdhsa_system_sgpr_workgroup_id_x 1
		.amdhsa_system_sgpr_workgroup_id_y 0
		.amdhsa_system_sgpr_workgroup_id_z 1
		.amdhsa_system_sgpr_workgroup_info 0
		.amdhsa_system_vgpr_workitem_id 0
		.amdhsa_next_free_vgpr 6
		.amdhsa_next_free_sgpr 20
		.amdhsa_reserve_vcc 1
		.amdhsa_float_round_mode_32 0
		.amdhsa_float_round_mode_16_64 0
		.amdhsa_float_denorm_mode_32 3
		.amdhsa_float_denorm_mode_16_64 3
		.amdhsa_dx10_clamp 1
		.amdhsa_ieee_mode 1
		.amdhsa_fp16_overflow 0
		.amdhsa_workgroup_processor_mode 1
		.amdhsa_memory_ordered 1
		.amdhsa_forward_progress 0
		.amdhsa_shared_vgpr_count 0
		.amdhsa_exception_fp_ieee_invalid_op 0
		.amdhsa_exception_fp_denorm_src 0
		.amdhsa_exception_fp_ieee_div_zero 0
		.amdhsa_exception_fp_ieee_overflow 0
		.amdhsa_exception_fp_ieee_underflow 0
		.amdhsa_exception_fp_ieee_inexact 0
		.amdhsa_exception_int_div_zero 0
	.end_amdhsa_kernel
	.section	.text._ZL36rocblas_hemvn_kernel_upper_block_sumILi64EiPKfPffEviT1_lS3_lT2_lT0_lPT3_i,"axG",@progbits,_ZL36rocblas_hemvn_kernel_upper_block_sumILi64EiPKfPffEviT1_lS3_lT2_lT0_lPT3_i,comdat
.Lfunc_end72:
	.size	_ZL36rocblas_hemvn_kernel_upper_block_sumILi64EiPKfPffEviT1_lS3_lT2_lT0_lPT3_i, .Lfunc_end72-_ZL36rocblas_hemvn_kernel_upper_block_sumILi64EiPKfPffEviT1_lS3_lT2_lT0_lPT3_i
                                        ; -- End function
	.section	.AMDGPU.csdata,"",@progbits
; Kernel info:
; codeLenInByte = 720
; NumSgprs: 22
; NumVgprs: 6
; ScratchSize: 0
; MemoryBound: 0
; FloatMode: 240
; IeeeMode: 1
; LDSByteSize: 0 bytes/workgroup (compile time only)
; SGPRBlocks: 2
; VGPRBlocks: 0
; NumSGPRsForWavesPerEU: 22
; NumVGPRsForWavesPerEU: 6
; Occupancy: 16
; WaveLimiterHint : 0
; COMPUTE_PGM_RSRC2:SCRATCH_EN: 0
; COMPUTE_PGM_RSRC2:USER_SGPR: 14
; COMPUTE_PGM_RSRC2:TRAP_HANDLER: 0
; COMPUTE_PGM_RSRC2:TGID_X_EN: 1
; COMPUTE_PGM_RSRC2:TGID_Y_EN: 0
; COMPUTE_PGM_RSRC2:TGID_Z_EN: 1
; COMPUTE_PGM_RSRC2:TIDIG_COMP_CNT: 0
	.section	.text._ZL26rocblas_hemvn_kernel_upperILb0ELi64ELi4ELi33ELi32ELi16ElfPKfPfEviT6_lT7_lT5_lS4_lS5_lS3_lT8_i,"axG",@progbits,_ZL26rocblas_hemvn_kernel_upperILb0ELi64ELi4ELi33ELi32ELi16ElfPKfPfEviT6_lT7_lT5_lS4_lS5_lS3_lT8_i,comdat
	.globl	_ZL26rocblas_hemvn_kernel_upperILb0ELi64ELi4ELi33ELi32ELi16ElfPKfPfEviT6_lT7_lT5_lS4_lS5_lS3_lT8_i ; -- Begin function _ZL26rocblas_hemvn_kernel_upperILb0ELi64ELi4ELi33ELi32ELi16ElfPKfPfEviT6_lT7_lT5_lS4_lS5_lS3_lT8_i
	.p2align	8
	.type	_ZL26rocblas_hemvn_kernel_upperILb0ELi64ELi4ELi33ELi32ELi16ElfPKfPfEviT6_lT7_lT5_lS4_lS5_lS3_lT8_i,@function
_ZL26rocblas_hemvn_kernel_upperILb0ELi64ELi4ELi33ELi32ELi16ElfPKfPfEviT6_lT7_lT5_lS4_lS5_lS3_lT8_i: ; @_ZL26rocblas_hemvn_kernel_upperILb0ELi64ELi4ELi33ELi32ELi16ElfPKfPfEviT6_lT7_lT5_lS4_lS5_lS3_lT8_i
; %bb.0:
	s_load_b64 s[4:5], s[0:1], 0x7c
	s_add_u32 s2, s0, 0x70
	s_addc_u32 s3, s1, 0
	s_waitcnt lgkmcnt(0)
	s_lshr_b32 s6, s4, 16
	s_and_b32 s4, s4, 0xffff
	s_and_b32 s5, s5, 0xffff
	s_mul_i32 s4, s6, s4
	s_delay_alu instid0(SALU_CYCLE_1) | instskip(NEXT) | instid1(SALU_CYCLE_1)
	s_mul_i32 s4, s4, s5
	s_cmpk_lg_i32 s4, 0x100
	s_cbranch_scc1 .LBB73_126
; %bb.1:
	s_clause 0x1
	s_load_b64 s[34:35], s[0:1], 0x0
	s_load_b32 s5, s[0:1], 0x50
	s_waitcnt lgkmcnt(0)
	v_cmp_eq_f32_e64 s4, s35, 0
	v_cmp_eq_f32_e64 s5, s5, 1.0
	s_delay_alu instid0(VALU_DEP_1) | instskip(NEXT) | instid1(SALU_CYCLE_1)
	s_and_b32 s5, s4, s5
	s_and_b32 vcc_lo, exec_lo, s5
	s_cbranch_vccnz .LBB73_126
; %bb.2:
	s_and_b32 vcc_lo, exec_lo, s4
	s_cbranch_vccnz .LBB73_126
; %bb.3:
	s_load_b512 s[16:31], s[0:1], 0x10
	v_and_b32_e32 v16, 0x3ff, v0
	s_load_b32 s9, s[2:3], 0x0
	v_bfe_u32 v17, v0, 10, 10
	s_waitcnt lgkmcnt(0)
	s_mul_i32 s5, s15, s31
	s_mul_hi_u32 s6, s15, s30
	s_mul_i32 s4, s15, s30
	s_add_i32 s5, s6, s5
	s_delay_alu instid0(SALU_CYCLE_1) | instskip(NEXT) | instid1(SALU_CYCLE_1)
	s_lshl_b64 s[4:5], s[4:5], 2
	s_add_u32 s6, s24, s4
	s_addc_u32 s7, s25, s5
	s_lshl_b64 s[4:5], s[26:27], 2
	s_delay_alu instid0(SALU_CYCLE_1)
	s_add_u32 s4, s6, s4
	s_addc_u32 s5, s7, s5
	s_lshl_b32 s12, s14, 6
	s_ashr_i32 s25, s34, 31
	v_add_nc_u32_e32 v4, s12, v16
	s_lshr_b32 s2, s25, 26
	s_add_i32 s3, s9, -1
	s_add_i32 s2, s34, s2
	s_delay_alu instid0(VALU_DEP_1) | instskip(SKIP_3) | instid1(VALU_DEP_3)
	v_ashrrev_i32_e32 v5, 31, v4
	v_mul_lo_u32 v3, v4, s29
	v_mad_u64_u32 v[1:2], null, v4, s28, 0
	s_and_not1_b32 s2, s2, 63
	v_mul_lo_u32 v6, v5, s28
	s_sub_i32 s24, s34, s2
	v_cmp_eq_u32_e64 s2, 0, v17
	s_cmp_eq_u32 s14, s3
	s_cselect_b32 s10, s24, 0
	s_delay_alu instid0(VALU_DEP_2) | instskip(NEXT) | instid1(VALU_DEP_1)
	v_add3_u32 v2, v2, v3, v6
	v_lshlrev_b64 v[1:2], 2, v[1:2]
	s_delay_alu instid0(VALU_DEP_1) | instskip(NEXT) | instid1(VALU_DEP_2)
	v_add_co_u32 v8, vcc_lo, s4, v1
	v_add_co_ci_u32_e32 v9, vcc_lo, s5, v2, vcc_lo
	s_and_saveexec_b32 s3, s2
	s_cbranch_execz .LBB73_7
; %bb.4:
	v_cmp_gt_i32_e32 vcc_lo, s10, v16
	s_cmp_eq_u32 s10, 0
	v_mov_b32_e32 v0, 0
	s_cselect_b32 s4, -1, 0
	s_delay_alu instid0(SALU_CYCLE_1) | instskip(NEXT) | instid1(SALU_CYCLE_1)
	s_or_b32 s5, s4, vcc_lo
	s_and_saveexec_b32 s4, s5
	s_cbranch_execz .LBB73_6
; %bb.5:
	global_load_b32 v0, v[8:9], off
.LBB73_6:
	s_or_b32 exec_lo, exec_lo, s4
	v_lshlrev_b32_e32 v1, 2, v16
	s_waitcnt vmcnt(0)
	ds_store_b32 v1, v0 offset:4544
.LBB73_7:
	s_or_b32 exec_lo, exec_lo, s3
	v_lshl_add_u32 v14, v17, 6, v16
	v_dual_mov_b32 v1, 0 :: v_dual_and_b32 v0, 31, v16
	s_mul_i32 s3, s15, s23
	s_mul_hi_u32 s4, s15, s22
	s_delay_alu instid0(VALU_DEP_2)
	v_lshrrev_b32_e32 v15, 5, v14
	s_add_i32 s5, s4, s3
	s_mul_i32 s4, s15, s22
	v_lshlrev_b32_e32 v19, 2, v0
	s_lshl_b64 s[4:5], s[4:5], 2
	v_mad_u64_u32 v[2:3], null, v15, s20, v[0:1]
	s_add_u32 s3, s16, s4
	s_addc_u32 s6, s17, s5
	s_lshl_b64 s[4:5], s[18:19], 2
	s_delay_alu instid0(SALU_CYCLE_1) | instskip(SKIP_1) | instid1(VALU_DEP_1)
	s_add_u32 s3, s3, s4
	s_addc_u32 s6, s6, s5
	v_mad_u64_u32 v[6:7], null, v15, s21, v[3:4]
	s_ashr_i32 s13, s12, 31
	s_delay_alu instid0(SALU_CYCLE_1) | instskip(NEXT) | instid1(SALU_CYCLE_1)
	s_lshl_b64 s[4:5], s[12:13], 2
	s_add_u32 s3, s3, s4
	s_addc_u32 s6, s6, s5
	s_delay_alu instid0(VALU_DEP_1) | instskip(SKIP_2) | instid1(SALU_CYCLE_1)
	v_mov_b32_e32 v3, v6
	s_mul_i32 s4, s12, s21
	s_mul_hi_u32 s5, s12, s20
	s_add_i32 s4, s5, s4
	s_mul_i32 s5, s13, s20
	v_lshlrev_b64 v[6:7], 2, v[2:3]
	s_add_i32 s5, s4, s5
	s_mul_i32 s4, s12, s20
	s_delay_alu instid0(SALU_CYCLE_1) | instskip(NEXT) | instid1(SALU_CYCLE_1)
	s_lshl_b64 s[4:5], s[4:5], 2
	s_add_u32 s3, s4, s3
	s_addc_u32 s4, s5, s6
	s_cmp_eq_u32 s10, 0
	v_add_co_u32 v10, s3, s3, v6
	s_cselect_b32 s22, -1, 0
	s_cmp_lg_u32 s10, 0
	v_add_co_ci_u32_e64 v11, s3, s4, v7, s3
	v_cmp_gt_i32_e64 s3, s10, v0
	s_cselect_b32 s23, -1, 0
	s_delay_alu instid0(SALU_CYCLE_1)
	s_and_b32 vcc_lo, exec_lo, s23
	s_cbranch_vccz .LBB73_17
; %bb.8:
	v_sub_co_u32 v2, vcc_lo, v10, v19
	s_ashr_i32 s11, s10, 31
	v_subrev_co_ci_u32_e32 v3, vcc_lo, 0, v11, vcc_lo
	s_lshl_b64 s[4:5], s[10:11], 2
	s_mov_b32 s6, exec_lo
	v_add_co_u32 v2, vcc_lo, v2, s4
	s_delay_alu instid0(VALU_DEP_2) | instskip(NEXT) | instid1(VALU_DEP_2)
	v_add_co_ci_u32_e32 v3, vcc_lo, s5, v3, vcc_lo
	v_add_co_u32 v2, vcc_lo, v2, -4
	s_delay_alu instid0(VALU_DEP_2) | instskip(NEXT) | instid1(VALU_DEP_2)
	v_add_co_ci_u32_e32 v3, vcc_lo, -1, v3, vcc_lo
	v_cndmask_b32_e64 v2, v2, v10, s3
	s_delay_alu instid0(VALU_DEP_2)
	v_cndmask_b32_e64 v3, v3, v11, s3
	v_cmpx_gt_i32_e64 s10, v15
	s_cbranch_execz .LBB73_10
; %bb.9:
	global_load_b32 v1, v[2:3], off
.LBB73_10:
	s_or_b32 exec_lo, exec_lo, s6
	v_mul_u32_u24_e32 v12, 33, v15
	v_dual_mov_b32 v18, 0 :: v_dual_add_nc_u32 v13, 8, v15
	s_delay_alu instid0(VALU_DEP_2) | instskip(NEXT) | instid1(VALU_DEP_2)
	v_add_lshl_u32 v12, v12, v0, 2
	v_cmp_gt_i32_e32 vcc_lo, s10, v13
	v_mov_b32_e32 v13, 0
	s_waitcnt vmcnt(0)
	ds_store_b32 v12, v1
	s_and_saveexec_b32 s6, vcc_lo
	s_cbranch_execz .LBB73_12
; %bb.11:
	s_lshl_b64 s[16:17], s[20:21], 5
	s_delay_alu instid0(SALU_CYCLE_1)
	v_add_co_u32 v20, vcc_lo, v2, s16
	v_add_co_ci_u32_e32 v21, vcc_lo, s17, v3, vcc_lo
	global_load_b32 v18, v[20:21], off
.LBB73_12:
	s_or_b32 exec_lo, exec_lo, s6
	v_add_nc_u32_e32 v1, 16, v15
	s_mov_b32 s6, exec_lo
	s_waitcnt vmcnt(0)
	ds_store_b32 v12, v18 offset:1056
	v_cmpx_gt_i32_e64 s10, v1
	s_cbranch_execz .LBB73_14
; %bb.13:
	s_lshl_b64 s[16:17], s[20:21], 6
	s_delay_alu instid0(SALU_CYCLE_1)
	v_add_co_u32 v20, vcc_lo, v2, s16
	v_add_co_ci_u32_e32 v21, vcc_lo, s17, v3, vcc_lo
	global_load_b32 v13, v[20:21], off
.LBB73_14:
	s_or_b32 exec_lo, exec_lo, s6
	v_dual_mov_b32 v18, 0 :: v_dual_add_nc_u32 v1, 24, v15
	s_mov_b32 s6, exec_lo
	s_waitcnt vmcnt(0)
	ds_store_b32 v12, v13 offset:2112
	v_cmpx_gt_i32_e64 s10, v1
	s_cbranch_execz .LBB73_16
; %bb.15:
	v_mad_u64_u32 v[20:21], null, 0x60, s20, v[2:3]
	s_delay_alu instid0(VALU_DEP_1) | instskip(NEXT) | instid1(VALU_DEP_1)
	v_mov_b32_e32 v1, v21
	v_mad_u64_u32 v[21:22], null, 0x60, s21, v[1:2]
	global_load_b32 v18, v[20:21], off
.LBB73_16:
	s_or_b32 exec_lo, exec_lo, s6
	v_add_co_u32 v1, vcc_lo, v2, v19
	v_add_co_ci_u32_e32 v2, vcc_lo, 0, v3, vcc_lo
	s_waitcnt vmcnt(0)
	ds_store_b32 v12, v18 offset:3168
	v_sub_co_u32 v1, vcc_lo, v1, s4
	v_subrev_co_ci_u32_e32 v2, vcc_lo, s5, v2, vcc_lo
	s_delay_alu instid0(VALU_DEP_2) | instskip(NEXT) | instid1(VALU_DEP_2)
	v_add_co_u32 v1, vcc_lo, v1, 4
	v_add_co_ci_u32_e32 v2, vcc_lo, 0, v2, vcc_lo
	s_delay_alu instid0(VALU_DEP_2) | instskip(NEXT) | instid1(VALU_DEP_2)
	v_cndmask_b32_e64 v1, v1, v10, s3
	v_cndmask_b32_e64 v2, v2, v11, s3
	v_mul_u32_u24_e32 v3, 33, v15
	s_branch .LBB73_19
.LBB73_17:
                                        ; implicit-def: $vgpr1_vgpr2
	v_mul_u32_u24_e32 v3, 33, v15
	s_cbranch_execz .LBB73_19
; %bb.18:
	v_mad_u64_u32 v[1:2], null, 0x60, s20, v[10:11]
	s_lshl_b64 s[4:5], s[20:21], 5
	s_delay_alu instid0(SALU_CYCLE_1) | instskip(SKIP_1) | instid1(VALU_DEP_3)
	v_add_co_u32 v20, vcc_lo, v10, s4
	v_add_co_ci_u32_e32 v21, vcc_lo, s5, v11, vcc_lo
	v_mad_u64_u32 v[12:13], null, 0x60, s21, v[2:3]
	s_delay_alu instid0(VALU_DEP_3) | instskip(NEXT) | instid1(VALU_DEP_3)
	v_add_co_u32 v22, vcc_lo, v20, s4
	v_add_co_ci_u32_e32 v23, vcc_lo, s5, v21, vcc_lo
	s_delay_alu instid0(VALU_DEP_3)
	v_mov_b32_e32 v2, v12
	s_clause 0x1
	global_load_b32 v12, v[10:11], off
	global_load_b32 v13, v[20:21], off
	;; [unrolled: 1-line block ×4, first 2 shown]
	v_add_lshl_u32 v21, v3, v0, 2
	v_dual_mov_b32 v1, v10 :: v_dual_mov_b32 v2, v11
	s_waitcnt vmcnt(3)
	ds_store_b32 v21, v12
	s_waitcnt vmcnt(2)
	ds_store_b32 v21, v13 offset:1056
	s_waitcnt vmcnt(1)
	ds_store_b32 v21, v18 offset:2112
	;; [unrolled: 2-line block ×3, first 2 shown]
.LBB73_19:
	v_lshlrev_b32_e32 v21, 2, v15
	v_mul_u32_u24_e32 v20, 33, v0
	v_mul_u32_u24_e32 v10, 0x84, v15
	s_waitcnt lgkmcnt(0)
	s_barrier
	v_cmp_gt_u32_e64 s4, v21, v0
	v_add_lshl_u32 v27, v21, v20, 2
	buffer_gl0_inv
	s_and_saveexec_b32 s3, s4
	s_cbranch_execz .LBB73_21
; %bb.20:
	v_add_lshl_u32 v11, v10, v0, 2
	ds_load_b32 v11, v11
	s_waitcnt lgkmcnt(0)
	ds_store_b32 v27, v11
.LBB73_21:
	s_or_b32 exec_lo, exec_lo, s3
	v_cmp_ge_u32_e64 s5, v21, v0
	s_delay_alu instid0(VALU_DEP_1)
	s_and_saveexec_b32 s3, s5
	s_cbranch_execz .LBB73_23
; %bb.22:
	v_or_b32_e32 v11, 1, v21
	s_delay_alu instid0(VALU_DEP_1) | instskip(NEXT) | instid1(VALU_DEP_1)
	v_mul_u32_u24_e32 v11, 33, v11
	v_add_lshl_u32 v11, v11, v0, 2
	ds_load_b32 v11, v11
	s_waitcnt lgkmcnt(0)
	ds_store_b32 v27, v11 offset:4
.LBB73_23:
	s_or_b32 exec_lo, exec_lo, s3
	v_or_b32_e32 v11, 2, v21
	s_delay_alu instid0(VALU_DEP_1) | instskip(NEXT) | instid1(VALU_DEP_1)
	v_cmp_gt_u32_e64 s6, v11, v0
	s_and_saveexec_b32 s3, s6
	s_cbranch_execz .LBB73_25
; %bb.24:
	v_mul_u32_u24_e32 v11, 33, v11
	s_delay_alu instid0(VALU_DEP_1)
	v_add_lshl_u32 v11, v11, v0, 2
	ds_load_b32 v11, v11
	s_waitcnt lgkmcnt(0)
	ds_store_b32 v27, v11 offset:8
.LBB73_25:
	s_or_b32 exec_lo, exec_lo, s3
	v_or_b32_e32 v11, 3, v21
	s_delay_alu instid0(VALU_DEP_1) | instskip(SKIP_1) | instid1(VALU_DEP_2)
	v_mad_u32_u24 v12, v11, 33, v0
	v_cmp_gt_u32_e64 s7, v11, v0
	v_lshlrev_b32_e32 v24, 2, v12
	s_delay_alu instid0(VALU_DEP_2)
	s_and_saveexec_b32 s3, s7
	s_cbranch_execz .LBB73_27
; %bb.26:
	ds_load_b32 v11, v24
	s_waitcnt lgkmcnt(0)
	ds_store_b32 v27, v11 offset:12
.LBB73_27:
	s_or_b32 exec_lo, exec_lo, s3
	v_add_lshl_u32 v25, v10, v0, 2
	v_lshlrev_b32_e32 v28, 2, v21
	v_add_nc_u32_e32 v26, 0xfffffef8, v24
	s_waitcnt lgkmcnt(0)
	s_barrier
	buffer_gl0_inv
	ds_load_b32 v18, v25
	ds_load_b128 v[10:13], v28 offset:4544
	ds_load_2addr_b32 v[22:23], v26 offset1:33
	ds_load_b32 v29, v24
	v_cmp_gt_u32_e64 s3, 32, v14
	s_waitcnt lgkmcnt(0)
	s_barrier
	buffer_gl0_inv
	v_fma_f32 v10, v18, v10, 0
	v_mov_b32_e32 v18, 0
	s_delay_alu instid0(VALU_DEP_2) | instskip(SKIP_1) | instid1(VALU_DEP_2)
	v_fmac_f32_e32 v10, v22, v11
	v_lshlrev_b32_e32 v22, 2, v20
	v_fmac_f32_e32 v10, v23, v12
	v_add_lshl_u32 v23, v15, v20, 2
	s_delay_alu instid0(VALU_DEP_2)
	v_fmac_f32_e32 v10, v29, v13
	ds_store_b32 v23, v10
	s_waitcnt lgkmcnt(0)
	s_barrier
	buffer_gl0_inv
	s_and_saveexec_b32 s8, s3
	s_cbranch_execz .LBB73_29
; %bb.28:
	ds_load_2addr_b32 v[10:11], v22 offset1:1
	ds_load_2addr_b32 v[12:13], v22 offset0:2 offset1:3
	ds_load_2addr_b32 v[29:30], v22 offset0:4 offset1:5
	;; [unrolled: 1-line block ×3, first 2 shown]
	s_waitcnt lgkmcnt(3)
	v_add_f32_e32 v10, v10, v11
	s_waitcnt lgkmcnt(2)
	s_delay_alu instid0(VALU_DEP_1) | instskip(NEXT) | instid1(VALU_DEP_1)
	v_add_f32_e32 v10, v10, v12
	v_add_f32_e32 v10, v10, v13
	s_waitcnt lgkmcnt(1)
	s_delay_alu instid0(VALU_DEP_1) | instskip(NEXT) | instid1(VALU_DEP_1)
	v_add_f32_e32 v10, v10, v29
	;; [unrolled: 4-line block ×3, first 2 shown]
	v_add_f32_e32 v18, v10, v32
.LBB73_29:
	s_or_b32 exec_lo, exec_lo, s8
	s_lshl_b64 s[16:17], s[20:21], 7
	s_delay_alu instid0(SALU_CYCLE_1) | instskip(SKIP_2) | instid1(VALU_DEP_2)
	v_add_co_u32 v12, vcc_lo, v1, s16
	v_add_co_ci_u32_e32 v13, vcc_lo, s17, v2, vcc_lo
	s_lshl_b64 s[16:17], s[20:21], 5
	v_add_co_u32 v10, vcc_lo, 0x80, v12
	s_delay_alu instid0(VALU_DEP_2)
	v_add_co_ci_u32_e32 v11, vcc_lo, 0, v13, vcc_lo
	s_and_b32 vcc_lo, exec_lo, s23
	s_barrier
	buffer_gl0_inv
	s_cbranch_vccz .LBB73_39
; %bb.30:
	v_sub_co_u32 v1, vcc_lo, v10, v19
	s_ashr_i32 s11, s10, 31
	v_subrev_co_ci_u32_e32 v2, vcc_lo, 0, v11, vcc_lo
	s_lshl_b64 s[18:19], s[10:11], 2
	v_or_b32_e32 v29, 32, v0
	v_add_co_u32 v1, vcc_lo, v1, s18
	s_delay_alu instid0(VALU_DEP_3) | instskip(SKIP_1) | instid1(VALU_DEP_2)
	v_add_co_ci_u32_e32 v2, vcc_lo, s19, v2, vcc_lo
	s_sub_i32 s11, s10, 32
	v_add_co_u32 v1, vcc_lo, 0xffffff7c, v1
	s_delay_alu instid0(VALU_DEP_2) | instskip(SKIP_3) | instid1(VALU_DEP_3)
	v_add_co_ci_u32_e32 v2, vcc_lo, -1, v2, vcc_lo
	v_cmp_gt_i32_e32 vcc_lo, s10, v29
	v_dual_mov_b32 v31, 0 :: v_dual_mov_b32 v30, 0
	s_mov_b32 s26, exec_lo
	v_dual_cndmask_b32 v2, v2, v11 :: v_dual_cndmask_b32 v1, v1, v10
	v_cmpx_gt_i32_e64 s11, v15
	s_cbranch_execz .LBB73_32
; %bb.31:
	global_load_b32 v30, v[1:2], off
.LBB73_32:
	s_or_b32 exec_lo, exec_lo, s26
	v_add_nc_u32_e32 v32, 8, v15
	v_add_lshl_u32 v29, v3, v0, 2
	s_mov_b32 s26, exec_lo
	s_waitcnt vmcnt(0)
	ds_store_b32 v29, v30
	v_cmpx_gt_i32_e64 s11, v32
	s_cbranch_execz .LBB73_34
; %bb.33:
	v_add_co_u32 v30, s8, v1, s16
	s_delay_alu instid0(VALU_DEP_1)
	v_add_co_ci_u32_e64 v31, s8, s17, v2, s8
	global_load_b32 v31, v[30:31], off
.LBB73_34:
	s_or_b32 exec_lo, exec_lo, s26
	v_add_nc_u32_e32 v32, 16, v15
	v_mov_b32_e32 v30, 0
	s_waitcnt vmcnt(0)
	ds_store_b32 v29, v31 offset:1056
	v_cmp_gt_i32_e64 s8, s11, v32
	v_mov_b32_e32 v32, 0
	s_delay_alu instid0(VALU_DEP_2)
	s_and_saveexec_b32 s26, s8
	s_cbranch_execz .LBB73_36
; %bb.35:
	s_lshl_b64 s[30:31], s[20:21], 6
	s_delay_alu instid0(SALU_CYCLE_1) | instskip(NEXT) | instid1(VALU_DEP_1)
	v_add_co_u32 v31, s8, v1, s30
	v_add_co_ci_u32_e64 v32, s8, s31, v2, s8
	global_load_b32 v32, v[31:32], off
.LBB73_36:
	s_or_b32 exec_lo, exec_lo, s26
	v_add_nc_u32_e32 v31, 24, v15
	s_waitcnt vmcnt(0)
	ds_store_b32 v29, v32 offset:2112
	v_cmp_gt_i32_e64 s8, s11, v31
	s_delay_alu instid0(VALU_DEP_1)
	s_and_saveexec_b32 s11, s8
	s_cbranch_execz .LBB73_38
; %bb.37:
	v_mad_u64_u32 v[30:31], null, 0x60, s20, v[1:2]
	s_delay_alu instid0(VALU_DEP_1) | instskip(NEXT) | instid1(VALU_DEP_1)
	v_mad_u64_u32 v[32:33], null, 0x60, s21, v[31:32]
	v_mov_b32_e32 v31, v32
	global_load_b32 v30, v[30:31], off
.LBB73_38:
	s_or_b32 exec_lo, exec_lo, s11
	v_add_co_u32 v1, s8, v1, v19
	s_delay_alu instid0(VALU_DEP_1) | instskip(SKIP_3) | instid1(VALU_DEP_1)
	v_add_co_ci_u32_e64 v2, s8, 0, v2, s8
	s_waitcnt vmcnt(0)
	ds_store_b32 v29, v30 offset:3168
	v_sub_co_u32 v1, s8, v1, s18
	v_subrev_co_ci_u32_e64 v2, s8, s19, v2, s8
	s_delay_alu instid0(VALU_DEP_2) | instskip(NEXT) | instid1(VALU_DEP_1)
	v_add_co_u32 v1, s8, 0x84, v1
	v_add_co_ci_u32_e64 v2, s8, 0, v2, s8
	s_delay_alu instid0(VALU_DEP_1)
	v_dual_cndmask_b32 v1, v1, v10 :: v_dual_cndmask_b32 v2, v2, v11
	s_branch .LBB73_41
.LBB73_39:
                                        ; implicit-def: $vgpr1_vgpr2
	s_cbranch_execz .LBB73_41
; %bb.40:
	v_mad_u64_u32 v[1:2], null, 0x60, s20, v[12:13]
	s_delay_alu instid0(VALU_DEP_1) | instskip(SKIP_2) | instid1(VALU_DEP_2)
	v_mad_u64_u32 v[29:30], null, 0x60, s21, v[2:3]
	v_add_co_u32 v30, vcc_lo, v12, s16
	v_add_co_ci_u32_e32 v31, vcc_lo, s17, v13, vcc_lo
	v_add_co_u32 v32, vcc_lo, v30, s16
	s_delay_alu instid0(VALU_DEP_2)
	v_add_co_ci_u32_e32 v33, vcc_lo, s17, v31, vcc_lo
	v_mov_b32_e32 v2, v29
	s_clause 0x3
	global_load_b32 v12, v[12:13], off offset:128
	global_load_b32 v13, v[30:31], off offset:128
	;; [unrolled: 1-line block ×4, first 2 shown]
	v_add_lshl_u32 v31, v3, v0, 2
	v_dual_mov_b32 v1, v10 :: v_dual_mov_b32 v2, v11
	s_waitcnt vmcnt(3)
	ds_store_b32 v31, v12
	s_waitcnt vmcnt(2)
	ds_store_b32 v31, v13 offset:1056
	s_waitcnt vmcnt(1)
	ds_store_b32 v31, v29 offset:2112
	;; [unrolled: 2-line block ×3, first 2 shown]
.LBB73_41:
	s_waitcnt lgkmcnt(0)
	s_barrier
	buffer_gl0_inv
	s_and_saveexec_b32 s8, s4
	s_cbranch_execnz .LBB73_58
; %bb.42:
	s_or_b32 exec_lo, exec_lo, s8
	s_and_saveexec_b32 s4, s5
	s_cbranch_execnz .LBB73_59
.LBB73_43:
	s_or_b32 exec_lo, exec_lo, s4
	s_and_saveexec_b32 s4, s6
	s_cbranch_execnz .LBB73_60
.LBB73_44:
	s_or_b32 exec_lo, exec_lo, s4
	v_add_nc_u32_e32 v28, 0x11c0, v28
	s_and_saveexec_b32 s4, s7
	s_cbranch_execz .LBB73_46
.LBB73_45:
	ds_load_b32 v10, v24
	s_waitcnt lgkmcnt(0)
	ds_store_b32 v27, v10 offset:12
.LBB73_46:
	s_or_b32 exec_lo, exec_lo, s4
	s_waitcnt lgkmcnt(0)
	s_barrier
	buffer_gl0_inv
	ds_load_b32 v27, v25
	ds_load_b128 v[10:13], v28 offset:128
	ds_load_2addr_b32 v[29:30], v26 offset1:33
	ds_load_b32 v31, v24
	v_cmp_eq_u32_e64 s4, 1, v15
	s_waitcnt lgkmcnt(0)
	s_barrier
	buffer_gl0_inv
	v_fma_f32 v10, v27, v10, 0
	s_delay_alu instid0(VALU_DEP_1) | instskip(NEXT) | instid1(VALU_DEP_1)
	v_fmac_f32_e32 v10, v29, v11
	v_fmac_f32_e32 v10, v30, v12
	s_delay_alu instid0(VALU_DEP_1)
	v_fmac_f32_e32 v10, v31, v13
	ds_store_b32 v23, v10
	s_waitcnt lgkmcnt(0)
	s_barrier
	buffer_gl0_inv
	s_and_saveexec_b32 s5, s4
	s_cbranch_execz .LBB73_48
; %bb.47:
	ds_load_2addr_b32 v[10:11], v22 offset1:1
	ds_load_2addr_b32 v[12:13], v22 offset0:2 offset1:3
	ds_load_2addr_b32 v[29:30], v22 offset0:4 offset1:5
	;; [unrolled: 1-line block ×3, first 2 shown]
	s_waitcnt lgkmcnt(3)
	v_add_f32_e32 v10, v10, v11
	s_waitcnt lgkmcnt(2)
	s_delay_alu instid0(VALU_DEP_1) | instskip(NEXT) | instid1(VALU_DEP_1)
	v_add_f32_e32 v10, v10, v12
	v_add_f32_e32 v10, v10, v13
	s_waitcnt lgkmcnt(1)
	s_delay_alu instid0(VALU_DEP_1) | instskip(NEXT) | instid1(VALU_DEP_1)
	v_add_f32_e32 v10, v10, v29
	;; [unrolled: 4-line block ×3, first 2 shown]
	v_add_f32_e32 v18, v10, v32
.LBB73_48:
	s_or_b32 exec_lo, exec_lo, s5
	v_add_co_u32 v12, vcc_lo, 0xffffff80, v1
	v_add_co_ci_u32_e32 v13, vcc_lo, -1, v2, vcc_lo
	s_and_b32 vcc_lo, exec_lo, s23
	s_barrier
	buffer_gl0_inv
	s_cbranch_vccz .LBB73_61
; %bb.49:
	v_sub_co_u32 v10, vcc_lo, v1, v19
	s_ashr_i32 s11, s10, 31
	v_subrev_co_ci_u32_e32 v11, vcc_lo, 0, v2, vcc_lo
	s_lshl_b64 s[6:7], s[10:11], 2
	s_sub_i32 s8, s10, 32
	v_add_co_u32 v10, vcc_lo, v10, s6
	s_delay_alu instid0(VALU_DEP_2) | instskip(SKIP_1) | instid1(VALU_DEP_2)
	v_add_co_ci_u32_e32 v11, vcc_lo, s7, v11, vcc_lo
	s_mov_b32 s11, exec_lo
	v_add_co_u32 v10, vcc_lo, 0xffffff7c, v10
	s_delay_alu instid0(VALU_DEP_2) | instskip(SKIP_2) | instid1(VALU_DEP_3)
	v_add_co_ci_u32_e32 v11, vcc_lo, -1, v11, vcc_lo
	v_cmp_gt_i32_e32 vcc_lo, s10, v0
	v_dual_mov_b32 v30, 0 :: v_dual_mov_b32 v29, 0
	v_dual_cndmask_b32 v11, v11, v13 :: v_dual_cndmask_b32 v10, v10, v12
	v_cmpx_gt_i32_e64 s8, v15
	s_cbranch_execz .LBB73_51
; %bb.50:
	global_load_b32 v29, v[10:11], off
.LBB73_51:
	s_or_b32 exec_lo, exec_lo, s11
	v_add_nc_u32_e32 v27, 8, v15
	v_add_lshl_u32 v31, v3, v0, 2
	s_mov_b32 s11, exec_lo
	s_waitcnt vmcnt(0)
	ds_store_b32 v31, v29
	v_cmpx_gt_i32_e64 s8, v27
	s_cbranch_execz .LBB73_53
; %bb.52:
	v_add_co_u32 v29, s5, v10, s16
	s_delay_alu instid0(VALU_DEP_1)
	v_add_co_ci_u32_e64 v30, s5, s17, v11, s5
	global_load_b32 v30, v[29:30], off
.LBB73_53:
	s_or_b32 exec_lo, exec_lo, s11
	v_dual_mov_b32 v32, 0 :: v_dual_add_nc_u32 v29, 16, v15
	v_mov_b32_e32 v33, 0
	s_mov_b32 s11, exec_lo
	s_waitcnt vmcnt(0)
	ds_store_b32 v31, v30 offset:1056
	v_cmpx_gt_i32_e64 s8, v29
	s_cbranch_execz .LBB73_55
; %bb.54:
	s_lshl_b64 s[18:19], s[20:21], 6
	s_delay_alu instid0(SALU_CYCLE_1) | instskip(NEXT) | instid1(VALU_DEP_1)
	v_add_co_u32 v33, s5, v10, s18
	v_add_co_ci_u32_e64 v34, s5, s19, v11, s5
	global_load_b32 v33, v[33:34], off
.LBB73_55:
	s_or_b32 exec_lo, exec_lo, s11
	v_add_nc_u32_e32 v30, 24, v15
	s_waitcnt vmcnt(0)
	ds_store_b32 v31, v33 offset:2112
	v_cmp_gt_i32_e64 s5, s8, v30
	s_delay_alu instid0(VALU_DEP_1)
	s_and_saveexec_b32 s8, s5
	s_cbranch_execz .LBB73_57
; %bb.56:
	v_mad_u64_u32 v[32:33], null, 0x60, s20, v[10:11]
	s_delay_alu instid0(VALU_DEP_1) | instskip(NEXT) | instid1(VALU_DEP_1)
	v_mad_u64_u32 v[34:35], null, 0x60, s21, v[33:34]
	v_mov_b32_e32 v33, v34
	global_load_b32 v32, v[32:33], off
.LBB73_57:
	s_or_b32 exec_lo, exec_lo, s8
	v_add_co_u32 v10, s5, v10, v19
	s_delay_alu instid0(VALU_DEP_1) | instskip(SKIP_3) | instid1(VALU_DEP_1)
	v_add_co_ci_u32_e64 v11, s5, 0, v11, s5
	s_waitcnt vmcnt(0)
	ds_store_b32 v31, v32 offset:3168
	v_sub_co_u32 v10, s5, v10, s6
	v_subrev_co_ci_u32_e64 v11, s5, s7, v11, s5
	s_delay_alu instid0(VALU_DEP_2) | instskip(NEXT) | instid1(VALU_DEP_1)
	v_add_co_u32 v10, s5, v10, 4
	v_add_co_ci_u32_e64 v11, s5, 0, v11, s5
	s_delay_alu instid0(VALU_DEP_1)
	v_dual_cndmask_b32 v10, v10, v12 :: v_dual_cndmask_b32 v11, v11, v13
	s_branch .LBB73_63
.LBB73_58:
	ds_load_b32 v10, v25
	s_waitcnt lgkmcnt(0)
	ds_store_b32 v27, v10
	s_or_b32 exec_lo, exec_lo, s8
	s_and_saveexec_b32 s4, s5
	s_cbranch_execz .LBB73_43
.LBB73_59:
	ds_load_b32 v10, v26
	s_waitcnt lgkmcnt(0)
	ds_store_b32 v27, v10 offset:4
	s_or_b32 exec_lo, exec_lo, s4
	s_and_saveexec_b32 s4, s6
	s_cbranch_execz .LBB73_44
.LBB73_60:
	ds_load_b32 v10, v26 offset:132
	s_waitcnt lgkmcnt(0)
	ds_store_b32 v27, v10 offset:8
	s_or_b32 exec_lo, exec_lo, s4
	v_add_nc_u32_e32 v28, 0x11c0, v28
	s_and_saveexec_b32 s4, s7
	s_cbranch_execnz .LBB73_45
	s_branch .LBB73_46
.LBB73_61:
                                        ; implicit-def: $vgpr10_vgpr11
                                        ; implicit-def: $vgpr27
                                        ; implicit-def: $vgpr29
                                        ; implicit-def: $vgpr30
	s_cbranch_execz .LBB73_63
; %bb.62:
	v_mad_u64_u32 v[10:11], null, 0x60, s20, v[1:2]
	v_add_nc_u32_e32 v27, 8, v15
	v_add_lshl_u32 v0, v3, v0, 2
	s_delay_alu instid0(VALU_DEP_3) | instskip(SKIP_2) | instid1(VALU_DEP_2)
	v_mad_u64_u32 v[29:30], null, 0x60, s21, v[11:12]
	v_add_co_u32 v30, vcc_lo, v1, s16
	v_add_co_ci_u32_e32 v31, vcc_lo, s17, v2, vcc_lo
	v_add_co_u32 v32, vcc_lo, v30, s16
	s_delay_alu instid0(VALU_DEP_2)
	v_add_co_ci_u32_e32 v33, vcc_lo, s17, v31, vcc_lo
	v_mov_b32_e32 v11, v29
	s_clause 0x3
	global_load_b32 v1, v[1:2], off offset:-128
	global_load_b32 v2, v[30:31], off offset:-128
	;; [unrolled: 1-line block ×4, first 2 shown]
	v_add_nc_u32_e32 v30, 24, v15
	v_dual_mov_b32 v10, v12 :: v_dual_add_nc_u32 v29, 16, v15
	v_mov_b32_e32 v11, v13
	s_waitcnt vmcnt(3)
	ds_store_b32 v0, v1
	s_waitcnt vmcnt(2)
	ds_store_b32 v0, v2 offset:1056
	s_waitcnt vmcnt(1)
	ds_store_b32 v0, v19 offset:2112
	;; [unrolled: 2-line block ×3, first 2 shown]
.LBB73_63:
	s_waitcnt lgkmcnt(0)
	s_barrier
	buffer_gl0_inv
	ds_load_b32 v12, v23
	ds_load_b32 v13, v21 offset:4544
	v_add_lshl_u32 v0, v27, v20, 2
	v_lshlrev_b32_e32 v1, 2, v27
	ds_load_b32 v21, v0
	ds_load_b32 v27, v1 offset:4544
	v_add_lshl_u32 v2, v29, v20, 2
	v_lshlrev_b32_e32 v3, 2, v29
	v_add_lshl_u32 v0, v30, v20, 2
	v_lshlrev_b32_e32 v1, 2, v30
	ds_load_b32 v20, v2
	ds_load_b32 v29, v3 offset:4544
	ds_load_b32 v30, v0
	ds_load_b32 v31, v1 offset:4544
	ds_load_b32 v15, v25
	ds_load_b128 v[0:3], v28 offset:128
	s_waitcnt lgkmcnt(8)
	v_fma_f32 v25, v12, v13, 0
	ds_load_2addr_b32 v[12:13], v26 offset1:33
	ds_load_b32 v19, v24
	s_waitcnt lgkmcnt(0)
	s_barrier
	buffer_gl0_inv
	v_fmac_f32_e32 v25, v21, v27
	s_delay_alu instid0(VALU_DEP_1) | instskip(NEXT) | instid1(VALU_DEP_1)
	v_fmac_f32_e32 v25, v20, v29
	v_fmac_f32_e32 v25, v30, v31
	ds_store_b32 v23, v25
	s_waitcnt lgkmcnt(0)
	s_barrier
	buffer_gl0_inv
	s_and_saveexec_b32 s5, s4
	s_cbranch_execz .LBB73_65
; %bb.64:
	ds_load_2addr_b32 v[20:21], v22 offset1:1
	ds_load_2addr_b32 v[24:25], v22 offset0:2 offset1:3
	ds_load_2addr_b32 v[26:27], v22 offset0:4 offset1:5
	;; [unrolled: 1-line block ×3, first 2 shown]
	s_waitcnt lgkmcnt(3)
	v_add_f32_e32 v18, v18, v20
	s_delay_alu instid0(VALU_DEP_1) | instskip(SKIP_1) | instid1(VALU_DEP_1)
	v_add_f32_e32 v18, v18, v21
	s_waitcnt lgkmcnt(2)
	v_add_f32_e32 v18, v18, v24
	s_delay_alu instid0(VALU_DEP_1) | instskip(SKIP_1) | instid1(VALU_DEP_1)
	v_add_f32_e32 v18, v18, v25
	s_waitcnt lgkmcnt(1)
	v_add_f32_e32 v18, v18, v26
	s_delay_alu instid0(VALU_DEP_1) | instskip(SKIP_1) | instid1(VALU_DEP_1)
	v_add_f32_e32 v18, v18, v27
	s_waitcnt lgkmcnt(0)
	v_add_f32_e32 v18, v18, v28
	s_delay_alu instid0(VALU_DEP_1)
	v_add_f32_e32 v18, v18, v29
.LBB73_65:
	s_or_b32 exec_lo, exec_lo, s5
	v_fma_f32 v0, v15, v0, 0
	s_barrier
	buffer_gl0_inv
	v_fmac_f32_e32 v0, v12, v1
	s_delay_alu instid0(VALU_DEP_1) | instskip(NEXT) | instid1(VALU_DEP_1)
	v_fmac_f32_e32 v0, v13, v2
	v_fmac_f32_e32 v0, v19, v3
	ds_store_b32 v23, v0
	s_waitcnt lgkmcnt(0)
	s_barrier
	buffer_gl0_inv
	s_and_saveexec_b32 s4, s3
	s_cbranch_execz .LBB73_67
; %bb.66:
	ds_load_2addr_b32 v[0:1], v22 offset1:1
	ds_load_2addr_b32 v[2:3], v22 offset0:2 offset1:3
	ds_load_2addr_b32 v[12:13], v22 offset0:4 offset1:5
	;; [unrolled: 1-line block ×3, first 2 shown]
	s_waitcnt lgkmcnt(3)
	v_add_f32_e32 v0, v18, v0
	s_delay_alu instid0(VALU_DEP_1) | instskip(SKIP_1) | instid1(VALU_DEP_1)
	v_add_f32_e32 v0, v0, v1
	s_waitcnt lgkmcnt(2)
	v_add_f32_e32 v0, v0, v2
	s_delay_alu instid0(VALU_DEP_1) | instskip(SKIP_1) | instid1(VALU_DEP_1)
	v_add_f32_e32 v0, v0, v3
	;; [unrolled: 4-line block ×3, first 2 shown]
	s_waitcnt lgkmcnt(0)
	v_add_f32_e32 v0, v0, v19
	s_delay_alu instid0(VALU_DEP_1)
	v_add_f32_e32 v18, v0, v20
.LBB73_67:
	s_or_b32 exec_lo, exec_lo, s4
	s_load_b64 s[0:1], s[0:1], 0x60
	s_mul_hi_u32 s3, s34, s15
	s_mul_i32 s25, s25, s15
	s_mul_i32 s4, s34, s15
	s_add_i32 s3, s3, s25
	s_mul_hi_u32 s5, s4, s9
	s_mul_i32 s3, s3, s9
	s_mul_i32 s4, s4, s9
	s_add_i32 s5, s5, s3
	s_mul_hi_i32 s7, s34, s14
	s_lshl_b64 s[4:5], s[4:5], 2
	s_mul_i32 s6, s34, s14
	v_lshlrev_b32_e32 v19, 2, v16
	s_waitcnt lgkmcnt(0)
	s_barrier
	buffer_gl0_inv
	s_add_u32 s3, s0, s4
	s_addc_u32 s4, s1, s5
	s_lshl_b64 s[0:1], s[6:7], 2
	s_delay_alu instid0(SALU_CYCLE_1) | instskip(SKIP_2) | instid1(SALU_CYCLE_1)
	s_add_u32 s3, s3, s0
	s_addc_u32 s6, s4, s1
	s_add_i32 s0, s14, 1
	s_cmp_ge_u32 s0, s9
	s_cbranch_scc1 .LBB73_124
; %bb.68:
	s_mul_i32 s0, s12, s29
	s_mul_hi_u32 s1, s12, s28
	s_mul_i32 s4, s13, s28
	s_add_i32 s0, s1, s0
	v_and_b32_e32 v12, 48, v16
	v_lshlrev_b32_e32 v68, 4, v17
	s_add_i32 s1, s0, s4
	s_mul_i32 s0, s12, s28
	v_and_b32_e32 v13, 15, v16
	s_lshl_b64 s[0:1], s[0:1], 2
	v_lshrrev_b32_e32 v15, 4, v14
	v_sub_co_u32 v21, vcc_lo, v8, s0
	v_lshlrev_b32_e32 v0, 2, v12
	v_or_b32_e32 v1, 60, v19
	v_and_b32_e32 v2, 0x1fff0, v14
	v_cmp_gt_u32_e64 s0, 64, v14
	v_add_nc_u32_e32 v14, 0x80, v68
	v_add_nc_u32_e32 v46, 0x88, v68
	v_mad_u32_u24 v25, 0x10c, v13, v0
	v_mad_u32_u24 v26, 0x10c, v13, v1
	v_mad_u32_u24 v27, 0x10c, v13, v2
	v_mad_u64_u32 v[0:1], null, s20, v14, 0
	v_mad_u64_u32 v[2:3], null, s20, v46, 0
	v_subrev_co_ci_u32_e32 v22, vcc_lo, s1, v9, vcc_lo
	v_lshlrev_b32_e32 v20, 2, v17
	v_add_nc_u32_e32 v52, 0xc0, v68
	v_add_nc_u32_e32 v53, 0xc4, v68
	v_mul_i32_i24_e32 v78, -12, v15
	v_mad_u64_u32 v[8:9], null, s21, v14, v[1:2]
	v_dual_mov_b32 v1, v3 :: v_dual_add_nc_u32 v14, 0x84, v68
	v_or_b32_e32 v28, 1, v20
	v_or_b32_e32 v29, 2, v20
	;; [unrolled: 1-line block ×3, first 2 shown]
	v_mad_u32_u24 v32, 0x430, v17, v19
	v_mov_b32_e32 v3, v8
	v_mad_u64_u32 v[8:9], null, s21, v46, v[1:2]
	v_sub_co_u32 v1, vcc_lo, v0, v6
	s_delay_alu instid0(VALU_DEP_3) | instskip(SKIP_2) | instid1(VALU_DEP_4)
	v_sub_co_ci_u32_e32 v3, vcc_lo, v3, v7, vcc_lo
	v_or_b32_e32 v45, v12, v13
	v_mad_u64_u32 v[12:13], null, s20, v14, 0
	v_add_co_u32 v46, vcc_lo, v10, v1
	s_delay_alu instid0(VALU_DEP_4) | instskip(SKIP_4) | instid1(VALU_DEP_4)
	v_add_co_ci_u32_e32 v47, vcc_lo, v11, v3, vcc_lo
	v_mov_b32_e32 v3, v8
	v_sub_co_u32 v2, vcc_lo, v2, v6
	v_dual_mov_b32 v0, v13 :: v_dual_add_nc_u32 v23, 0x10c0, v19
	v_add_nc_u32_e32 v13, 0x8c, v68
	v_sub_co_ci_u32_e32 v3, vcc_lo, v3, v7, vcc_lo
	s_delay_alu instid0(VALU_DEP_4) | instskip(NEXT) | instid1(VALU_DEP_4)
	v_add_co_u32 v48, vcc_lo, v10, v2
	v_mad_u64_u32 v[8:9], null, s21, v14, v[0:1]
	s_delay_alu instid0(VALU_DEP_4) | instskip(NEXT) | instid1(VALU_DEP_4)
	v_mad_u64_u32 v[0:1], null, s20, v13, 0
	v_add_co_ci_u32_e32 v49, vcc_lo, v11, v3, vcc_lo
	v_mad_u64_u32 v[2:3], null, s20, v52, 0
	v_sub_co_u32 v14, vcc_lo, v12, v6
	v_sub_co_ci_u32_e32 v15, vcc_lo, v8, v7, vcc_lo
	v_add_nc_u32_e32 v24, 0x11c0, v19
	s_delay_alu instid0(VALU_DEP_3) | instskip(SKIP_4) | instid1(VALU_DEP_3)
	v_add_co_u32 v50, vcc_lo, v10, v14
	v_mad_u64_u32 v[8:9], null, s21, v13, v[1:2]
	v_mov_b32_e32 v1, v3
	v_mad_u64_u32 v[12:13], null, s20, v53, 0
	v_add_co_ci_u32_e32 v51, vcc_lo, v11, v15, vcc_lo
	v_mad_u64_u32 v[14:15], null, s21, v52, v[1:2]
	v_mov_b32_e32 v3, v8
	v_add_nc_u32_e32 v37, 32, v20
	v_mov_b32_e32 v1, v13
	v_sub_co_u32 v13, vcc_lo, v0, v6
	v_add_nc_u32_e32 v15, 0xc8, v68
	v_sub_co_ci_u32_e32 v3, vcc_lo, v3, v7, vcc_lo
	s_delay_alu instid0(VALU_DEP_4)
	v_mad_u64_u32 v[8:9], null, s21, v53, v[1:2]
	v_add_nc_u32_e32 v58, 0xcc, v68
	v_add_co_u32 v52, vcc_lo, v10, v13
	v_mad_u64_u32 v[0:1], null, s20, v15, 0
	v_add_co_ci_u32_e32 v53, vcc_lo, v11, v3, vcc_lo
	v_sub_co_u32 v13, vcc_lo, v2, v6
	v_mov_b32_e32 v2, v8
	v_mad_u64_u32 v[8:9], null, s20, v58, 0
	v_sub_co_ci_u32_e32 v14, vcc_lo, v14, v7, vcc_lo
	v_sub_co_u32 v12, vcc_lo, v12, v6
	s_delay_alu instid0(VALU_DEP_4)
	v_sub_co_ci_u32_e32 v57, vcc_lo, v2, v7, vcc_lo
	v_mad_u64_u32 v[2:3], null, s21, v15, v[1:2]
	v_add_co_u32 v54, vcc_lo, v10, v13
	v_add_co_ci_u32_e32 v55, vcc_lo, v11, v14, vcc_lo
	v_add_co_u32 v56, vcc_lo, v10, v12
	v_mov_b32_e32 v1, v9
	v_add_nc_u32_e32 v9, 0x100, v68
	v_add_co_ci_u32_e32 v57, vcc_lo, v11, v57, vcc_lo
	v_sub_co_u32 v0, vcc_lo, v0, v6
	v_sub_co_ci_u32_e32 v14, vcc_lo, v2, v7, vcc_lo
	s_delay_alu instid0(VALU_DEP_4)
	v_mad_u64_u32 v[2:3], null, s20, v9, 0
	v_add_nc_u32_e32 v31, 0x10c0, v68
	v_add_nc_u32_e32 v66, 0x10c, v68
	;; [unrolled: 1-line block ×6, first 2 shown]
	v_mad_u64_u32 v[12:13], null, s21, v58, v[1:2]
	v_add_nc_u32_e32 v1, 0x104, v68
	v_add_co_u32 v58, vcc_lo, v10, v0
	v_mov_b32_e32 v0, v3
	v_add_nc_u32_e32 v34, 17, v20
	v_add_co_ci_u32_e32 v59, vcc_lo, v11, v14, vcc_lo
	v_mov_b32_e32 v3, v12
	s_delay_alu instid0(VALU_DEP_4) | instskip(SKIP_1) | instid1(VALU_DEP_3)
	v_mad_u64_u32 v[62:63], null, s21, v9, v[0:1]
	v_sub_co_u32 v8, vcc_lo, v8, v6
	v_sub_co_ci_u32_e32 v3, vcc_lo, v3, v7, vcc_lo
	v_mad_u64_u32 v[13:14], null, s20, v1, 0
	s_delay_alu instid0(VALU_DEP_3) | instskip(SKIP_1) | instid1(VALU_DEP_4)
	v_add_co_u32 v60, vcc_lo, v10, v8
	v_add_nc_u32_e32 v36, 19, v20
	v_add_co_ci_u32_e32 v61, vcc_lo, v11, v3, vcc_lo
	v_mov_b32_e32 v3, v62
	v_sub_co_u32 v2, vcc_lo, v2, v6
	v_dual_mov_b32 v0, v14 :: v_dual_add_nc_u32 v33, 16, v20
	v_add_nc_u32_e32 v12, 0x108, v68
	s_delay_alu instid0(VALU_DEP_4) | instskip(NEXT) | instid1(VALU_DEP_4)
	v_sub_co_ci_u32_e32 v3, vcc_lo, v3, v7, vcc_lo
	v_add_co_u32 v62, vcc_lo, v10, v2
	s_delay_alu instid0(VALU_DEP_4) | instskip(NEXT) | instid1(VALU_DEP_4)
	v_mad_u64_u32 v[8:9], null, s21, v1, v[0:1]
	v_mad_u64_u32 v[0:1], null, s20, v12, 0
	s_delay_alu instid0(VALU_DEP_4) | instskip(SKIP_4) | instid1(VALU_DEP_3)
	v_add_co_ci_u32_e32 v63, vcc_lo, v11, v3, vcc_lo
	v_mad_u64_u32 v[2:3], null, s20, v66, 0
	v_sub_co_u32 v14, vcc_lo, v13, v6
	v_sub_co_ci_u32_e32 v15, vcc_lo, v8, v7, vcc_lo
	v_add_nc_u32_e32 v38, 33, v20
	v_add_co_u32 v64, vcc_lo, v10, v14
	v_mad_u64_u32 v[8:9], null, s21, v12, v[1:2]
	v_mov_b32_e32 v1, v3
	v_mad_u64_u32 v[12:13], null, s20, v67, 0
	v_add_co_ci_u32_e32 v65, vcc_lo, v11, v15, vcc_lo
	s_delay_alu instid0(VALU_DEP_3) | instskip(SKIP_1) | instid1(VALU_DEP_4)
	v_mad_u64_u32 v[14:15], null, s21, v66, v[1:2]
	v_dual_mov_b32 v3, v8 :: v_dual_add_nc_u32 v40, 35, v20
	v_mov_b32_e32 v1, v13
	v_add_nc_u32_e32 v15, 0x144, v68
	v_sub_co_u32 v13, vcc_lo, v0, v6
	s_delay_alu instid0(VALU_DEP_4) | instskip(NEXT) | instid1(VALU_DEP_4)
	v_sub_co_ci_u32_e32 v3, vcc_lo, v3, v7, vcc_lo
	v_mad_u64_u32 v[8:9], null, s21, v67, v[1:2]
	s_delay_alu instid0(VALU_DEP_4) | instskip(NEXT) | instid1(VALU_DEP_4)
	v_mad_u64_u32 v[0:1], null, s20, v15, 0
	v_add_co_u32 v66, vcc_lo, v10, v13
	s_delay_alu instid0(VALU_DEP_4)
	v_add_co_ci_u32_e32 v67, vcc_lo, v11, v3, vcc_lo
	v_sub_co_u32 v69, vcc_lo, v2, v6
	v_dual_mov_b32 v71, v8 :: v_dual_add_nc_u32 v42, 49, v20
	v_sub_co_ci_u32_e32 v70, vcc_lo, v14, v7, vcc_lo
	v_mad_u64_u32 v[2:3], null, s21, v15, v[1:2]
	v_mad_u64_u32 v[8:9], null, s20, v72, 0
	;; [unrolled: 1-line block ×3, first 2 shown]
	v_add_co_u32 v68, vcc_lo, v10, v69
	v_add_co_ci_u32_e32 v69, vcc_lo, v11, v70, vcc_lo
	v_add_nc_u32_e32 v35, 18, v20
	v_dual_mov_b32 v15, v2 :: v_dual_add_nc_u32 v44, 51, v20
	v_sub_co_u32 v3, vcc_lo, v12, v6
	v_dual_mov_b32 v1, v9 :: v_dual_mov_b32 v2, v14
	v_sub_co_ci_u32_e32 v12, vcc_lo, v71, v7, vcc_lo
	v_sub_co_u32 v9, vcc_lo, v0, v6
	v_sub_co_ci_u32_e32 v74, vcc_lo, v15, v7, vcc_lo
	s_delay_alu instid0(VALU_DEP_4)
	v_mad_u64_u32 v[14:15], null, s21, v72, v[1:2]
	v_add_co_u32 v70, vcc_lo, v10, v3
	v_mad_u64_u32 v[0:1], null, s21, v73, v[2:3]
	v_add_co_ci_u32_e32 v71, vcc_lo, v11, v12, vcc_lo
	v_add_co_u32 v72, vcc_lo, v10, v9
	v_mov_b32_e32 v1, v14
	v_add_co_ci_u32_e32 v73, vcc_lo, v11, v74, vcc_lo
	v_sub_co_u32 v2, vcc_lo, v8, v6
	s_delay_alu instid0(VALU_DEP_3) | instskip(SKIP_2) | instid1(VALU_DEP_4)
	v_sub_co_ci_u32_e32 v1, vcc_lo, v1, v7, vcc_lo
	v_sub_co_u32 v3, vcc_lo, v13, v6
	v_sub_co_ci_u32_e32 v0, vcc_lo, v0, v7, vcc_lo
	v_add_co_u32 v74, vcc_lo, v10, v2
	s_delay_alu instid0(VALU_DEP_4) | instskip(NEXT) | instid1(VALU_DEP_4)
	v_add_co_ci_u32_e32 v75, vcc_lo, v11, v1, vcc_lo
	v_add_co_u32 v76, vcc_lo, v10, v3
	v_add_nc_u32_e32 v41, 48, v20
	v_add_nc_u32_e32 v43, 50, v20
	v_add_co_ci_u32_e32 v77, vcc_lo, v11, v0, vcc_lo
	v_add_nc_u32_e32 v78, v27, v78
	s_add_i32 s7, s9, -2
	s_add_i32 s8, s12, 64
	s_lshl_b64 s[4:5], s[20:21], 8
	s_cmp_eq_u32 s7, s14
	s_cselect_b32 s11, s24, 0
	s_and_saveexec_b32 s1, s2
	s_cbranch_execz .LBB73_72
.LBB73_69:
	v_cmp_gt_i32_e32 vcc_lo, s11, v16
	s_cmp_eq_u32 s11, 0
	v_mov_b32_e32 v0, 0
	s_cselect_b32 s12, -1, 0
	s_delay_alu instid0(SALU_CYCLE_1) | instskip(NEXT) | instid1(SALU_CYCLE_1)
	s_or_b32 s13, s12, vcc_lo
	s_and_saveexec_b32 s12, s13
	s_cbranch_execz .LBB73_71
; %bb.70:
	s_mul_i32 s13, s8, s29
	s_mul_hi_u32 s15, s8, s28
	s_ashr_i32 s16, s8, 31
	s_add_i32 s13, s15, s13
	s_mul_i32 s16, s16, s28
	s_delay_alu instid0(SALU_CYCLE_1) | instskip(SKIP_1) | instid1(SALU_CYCLE_1)
	s_add_i32 s17, s13, s16
	s_mul_i32 s16, s8, s28
	s_lshl_b64 s[16:17], s[16:17], 2
	s_delay_alu instid0(SALU_CYCLE_1)
	v_add_co_u32 v0, vcc_lo, v21, s16
	v_add_co_ci_u32_e32 v1, vcc_lo, s17, v22, vcc_lo
	global_load_b32 v0, v[0:1], off
.LBB73_71:
	s_or_b32 exec_lo, exec_lo, s12
	s_waitcnt vmcnt(0)
	ds_store_b32 v23, v0
.LBB73_72:                              ; =>This Inner Loop Header: Depth=1
	s_or_b32 exec_lo, exec_lo, s1
	s_cmp_eq_u32 s11, 0
	v_add_co_u32 v0, vcc_lo, v46, v19
	s_cselect_b32 s12, -1, 0
	s_cmp_lg_u32 s11, 0
	v_add_co_ci_u32_e32 v1, vcc_lo, 0, v47, vcc_lo
	s_cselect_b32 s1, -1, 0
	s_waitcnt lgkmcnt(0)
	s_and_b32 vcc_lo, exec_lo, s1
	s_barrier
	buffer_gl0_inv
	s_cbranch_vccz .LBB73_120
; %bb.73:                               ;   in Loop: Header=BB73_72 Depth=1
	v_dual_mov_b32 v79, 0 :: v_dual_mov_b32 v82, 0
	s_mov_b32 s13, exec_lo
	v_cmpx_gt_i32_e64 s11, v20
	s_cbranch_execz .LBB73_75
; %bb.74:                               ;   in Loop: Header=BB73_72 Depth=1
	global_load_b32 v82, v[0:1], off
.LBB73_75:                              ;   in Loop: Header=BB73_72 Depth=1
	s_or_b32 exec_lo, exec_lo, s13
	s_delay_alu instid0(SALU_CYCLE_1)
	s_mov_b32 s13, exec_lo
	v_cmpx_gt_i32_e64 s11, v28
	s_cbranch_execz .LBB73_77
; %bb.76:                               ;   in Loop: Header=BB73_72 Depth=1
	v_add_co_u32 v2, vcc_lo, v50, v19
	v_add_co_ci_u32_e32 v3, vcc_lo, 0, v51, vcc_lo
	global_load_b32 v79, v[2:3], off
.LBB73_77:                              ;   in Loop: Header=BB73_72 Depth=1
	s_or_b32 exec_lo, exec_lo, s13
	v_dual_mov_b32 v80, 0 :: v_dual_mov_b32 v81, 0
	s_mov_b32 s13, exec_lo
	v_cmpx_gt_i32_e64 s11, v29
	s_cbranch_execz .LBB73_79
; %bb.78:                               ;   in Loop: Header=BB73_72 Depth=1
	v_add_co_u32 v2, vcc_lo, v48, v19
	v_add_co_ci_u32_e32 v3, vcc_lo, 0, v49, vcc_lo
	global_load_b32 v81, v[2:3], off
.LBB73_79:                              ;   in Loop: Header=BB73_72 Depth=1
	s_or_b32 exec_lo, exec_lo, s13
	s_delay_alu instid0(SALU_CYCLE_1)
	s_mov_b32 s13, exec_lo
	v_cmpx_gt_i32_e64 s11, v30
	s_cbranch_execz .LBB73_81
; %bb.80:                               ;   in Loop: Header=BB73_72 Depth=1
	v_add_co_u32 v2, vcc_lo, v52, v19
	v_add_co_ci_u32_e32 v3, vcc_lo, 0, v53, vcc_lo
	global_load_b32 v80, v[2:3], off
.LBB73_81:                              ;   in Loop: Header=BB73_72 Depth=1
	s_or_b32 exec_lo, exec_lo, s13
	s_branch .LBB73_83
.LBB73_82:                              ;   in Loop: Header=BB73_72 Depth=1
	v_add_co_u32 v2, vcc_lo, v50, v19
	v_add_co_ci_u32_e32 v3, vcc_lo, 0, v51, vcc_lo
	v_add_co_u32 v6, vcc_lo, v48, v19
	v_add_co_ci_u32_e32 v7, vcc_lo, 0, v49, vcc_lo
	v_add_co_u32 v8, vcc_lo, v52, v19
	v_add_co_ci_u32_e32 v9, vcc_lo, 0, v53, vcc_lo
	global_load_b32 v82, v[0:1], off
	global_load_b32 v79, v[2:3], off
	;; [unrolled: 1-line block ×4, first 2 shown]
.LBB73_83:                              ;   in Loop: Header=BB73_72 Depth=1
	ds_load_b32 v0, v24
	ds_load_b32 v86, v31
	v_add_co_u32 v6, vcc_lo, v54, v19
	v_cndmask_b32_e64 v14, 0, 1, s1
	v_add_co_ci_u32_e32 v7, vcc_lo, 0, v55, vcc_lo
	s_and_not1_b32 vcc_lo, exec_lo, s1
	s_waitcnt vmcnt(0) lgkmcnt(1)
	v_mul_f32_e32 v1, v82, v0
	v_mul_f32_e32 v2, v79, v0
	v_mul_f32_e32 v3, v81, v0
	v_mul_f32_e32 v0, v80, v0
	ds_store_b32 v32, v1
	ds_load_b32 v85, v31 offset:4
	ds_store_b32 v32, v2 offset:268
	ds_load_b32 v84, v31 offset:8
	ds_store_b32 v32, v3 offset:536
	;; [unrolled: 2-line block ×3, first 2 shown]
	s_waitcnt lgkmcnt(0)
	s_barrier
	buffer_gl0_inv
	ds_load_2addr_b32 v[2:3], v27 offset1:1
	ds_load_2addr_b32 v[0:1], v27 offset0:2 offset1:3
	s_waitcnt lgkmcnt(0)
	s_barrier
	buffer_gl0_inv
	s_cbranch_vccnz .LBB73_121
; %bb.84:                               ;   in Loop: Header=BB73_72 Depth=1
	v_dual_mov_b32 v87, 0 :: v_dual_mov_b32 v88, 0
	s_mov_b32 s1, exec_lo
	v_cmpx_gt_i32_e64 s11, v33
	s_cbranch_execz .LBB73_86
; %bb.85:                               ;   in Loop: Header=BB73_72 Depth=1
	global_load_b32 v88, v[6:7], off
.LBB73_86:                              ;   in Loop: Header=BB73_72 Depth=1
	s_or_b32 exec_lo, exec_lo, s1
	s_delay_alu instid0(SALU_CYCLE_1)
	s_mov_b32 s1, exec_lo
	v_cmpx_gt_i32_e64 s11, v34
	s_cbranch_execz .LBB73_88
; %bb.87:                               ;   in Loop: Header=BB73_72 Depth=1
	v_add_co_u32 v8, vcc_lo, v56, v19
	v_add_co_ci_u32_e32 v9, vcc_lo, 0, v57, vcc_lo
	global_load_b32 v87, v[8:9], off
.LBB73_88:                              ;   in Loop: Header=BB73_72 Depth=1
	s_or_b32 exec_lo, exec_lo, s1
	v_dual_mov_b32 v89, 0 :: v_dual_mov_b32 v90, 0
	s_mov_b32 s1, exec_lo
	v_cmpx_gt_i32_e64 s11, v35
	s_cbranch_execz .LBB73_90
; %bb.89:                               ;   in Loop: Header=BB73_72 Depth=1
	v_add_co_u32 v8, vcc_lo, v58, v19
	v_add_co_ci_u32_e32 v9, vcc_lo, 0, v59, vcc_lo
	global_load_b32 v90, v[8:9], off
.LBB73_90:                              ;   in Loop: Header=BB73_72 Depth=1
	s_or_b32 exec_lo, exec_lo, s1
	s_delay_alu instid0(SALU_CYCLE_1)
	s_mov_b32 s1, exec_lo
	v_cmpx_gt_i32_e64 s11, v36
	s_cbranch_execz .LBB73_92
; %bb.91:                               ;   in Loop: Header=BB73_72 Depth=1
	v_add_co_u32 v8, vcc_lo, v60, v19
	v_add_co_ci_u32_e32 v9, vcc_lo, 0, v61, vcc_lo
	global_load_b32 v89, v[8:9], off
.LBB73_92:                              ;   in Loop: Header=BB73_72 Depth=1
	s_or_b32 exec_lo, exec_lo, s1
	s_branch .LBB73_94
.LBB73_93:                              ;   in Loop: Header=BB73_72 Depth=1
	v_add_co_u32 v8, vcc_lo, v56, v19
	v_add_co_ci_u32_e32 v9, vcc_lo, 0, v57, vcc_lo
	v_add_co_u32 v10, vcc_lo, v58, v19
	v_add_co_ci_u32_e32 v11, vcc_lo, 0, v59, vcc_lo
	;; [unrolled: 2-line block ×3, first 2 shown]
	global_load_b32 v88, v[6:7], off
	global_load_b32 v87, v[8:9], off
	;; [unrolled: 1-line block ×4, first 2 shown]
.LBB73_94:                              ;   in Loop: Header=BB73_72 Depth=1
	ds_load_b32 v6, v24
	ds_load_b32 v91, v31 offset:64
	v_cmp_ne_u32_e32 vcc_lo, 1, v14
	v_add_co_u32 v10, s1, v62, v19
	s_delay_alu instid0(VALU_DEP_1)
	v_add_co_ci_u32_e64 v11, s1, 0, v63, s1
	s_and_b32 vcc_lo, exec_lo, vcc_lo
	s_waitcnt vmcnt(0) lgkmcnt(1)
	v_mul_f32_e32 v7, v88, v6
	v_mul_f32_e32 v8, v87, v6
	;; [unrolled: 1-line block ×4, first 2 shown]
	ds_store_b32 v32, v7
	ds_load_b32 v94, v31 offset:68
	ds_store_b32 v32, v8 offset:268
	ds_load_b32 v93, v31 offset:72
	ds_store_b32 v32, v9 offset:536
	;; [unrolled: 2-line block ×3, first 2 shown]
	s_waitcnt lgkmcnt(0)
	s_barrier
	buffer_gl0_inv
	ds_load_2addr_b32 v[8:9], v27 offset1:1
	ds_load_2addr_b32 v[6:7], v27 offset0:2 offset1:3
	s_waitcnt lgkmcnt(0)
	s_barrier
	buffer_gl0_inv
	s_cbranch_vccnz .LBB73_122
; %bb.95:                               ;   in Loop: Header=BB73_72 Depth=1
	v_dual_mov_b32 v95, 0 :: v_dual_mov_b32 v96, 0
	s_mov_b32 s1, exec_lo
	v_cmpx_gt_i32_e64 s11, v37
	s_cbranch_execz .LBB73_97
; %bb.96:                               ;   in Loop: Header=BB73_72 Depth=1
	global_load_b32 v96, v[10:11], off
.LBB73_97:                              ;   in Loop: Header=BB73_72 Depth=1
	s_or_b32 exec_lo, exec_lo, s1
	s_delay_alu instid0(SALU_CYCLE_1)
	s_mov_b32 s1, exec_lo
	v_cmpx_gt_i32_e64 s11, v38
	s_cbranch_execz .LBB73_99
; %bb.98:                               ;   in Loop: Header=BB73_72 Depth=1
	v_add_co_u32 v12, vcc_lo, v64, v19
	v_add_co_ci_u32_e32 v13, vcc_lo, 0, v65, vcc_lo
	global_load_b32 v95, v[12:13], off
.LBB73_99:                              ;   in Loop: Header=BB73_72 Depth=1
	s_or_b32 exec_lo, exec_lo, s1
	v_dual_mov_b32 v97, 0 :: v_dual_mov_b32 v98, 0
	s_mov_b32 s1, exec_lo
	v_cmpx_gt_i32_e64 s11, v39
	s_cbranch_execz .LBB73_101
; %bb.100:                              ;   in Loop: Header=BB73_72 Depth=1
	v_add_co_u32 v12, vcc_lo, v66, v19
	v_add_co_ci_u32_e32 v13, vcc_lo, 0, v67, vcc_lo
	global_load_b32 v98, v[12:13], off
.LBB73_101:                             ;   in Loop: Header=BB73_72 Depth=1
	s_or_b32 exec_lo, exec_lo, s1
	s_delay_alu instid0(SALU_CYCLE_1)
	s_mov_b32 s1, exec_lo
	v_cmpx_gt_i32_e64 s11, v40
	s_cbranch_execz .LBB73_103
; %bb.102:                              ;   in Loop: Header=BB73_72 Depth=1
	v_add_co_u32 v12, vcc_lo, v68, v19
	v_add_co_ci_u32_e32 v13, vcc_lo, 0, v69, vcc_lo
	global_load_b32 v97, v[12:13], off
.LBB73_103:                             ;   in Loop: Header=BB73_72 Depth=1
	s_or_b32 exec_lo, exec_lo, s1
	s_branch .LBB73_105
.LBB73_104:                             ;   in Loop: Header=BB73_72 Depth=1
	v_add_co_u32 v12, vcc_lo, v64, v19
	v_add_co_ci_u32_e32 v13, vcc_lo, 0, v65, vcc_lo
	s_waitcnt vmcnt(0)
	v_add_co_u32 v97, vcc_lo, v66, v19
	v_add_co_ci_u32_e32 v98, vcc_lo, 0, v67, vcc_lo
	v_add_co_u32 v99, vcc_lo, v68, v19
	v_add_co_ci_u32_e32 v100, vcc_lo, 0, v69, vcc_lo
	global_load_b32 v96, v[10:11], off
	global_load_b32 v95, v[12:13], off
	;; [unrolled: 1-line block ×4, first 2 shown]
.LBB73_105:                             ;   in Loop: Header=BB73_72 Depth=1
	ds_load_b32 v10, v24
	ds_load_b32 v99, v31 offset:128
	v_cmp_ne_u32_e32 vcc_lo, 1, v14
	v_add_co_u32 v14, s1, v70, v19
	s_delay_alu instid0(VALU_DEP_1)
	v_add_co_ci_u32_e64 v15, s1, 0, v71, s1
	s_and_b32 vcc_lo, exec_lo, vcc_lo
	s_waitcnt vmcnt(0) lgkmcnt(1)
	v_mul_f32_e32 v11, v96, v10
	v_mul_f32_e32 v12, v95, v10
	v_mul_f32_e32 v13, v98, v10
	v_mul_f32_e32 v10, v97, v10
	ds_store_b32 v32, v11
	ds_load_b32 v102, v31 offset:132
	ds_store_b32 v32, v12 offset:268
	ds_load_b32 v101, v31 offset:136
	ds_store_b32 v32, v13 offset:536
	ds_load_b32 v100, v31 offset:140
	ds_store_b32 v32, v10 offset:804
	s_waitcnt lgkmcnt(0)
	s_barrier
	buffer_gl0_inv
	ds_load_2addr_b32 v[12:13], v27 offset1:1
	ds_load_2addr_b32 v[10:11], v27 offset0:2 offset1:3
	s_waitcnt lgkmcnt(0)
	s_barrier
	buffer_gl0_inv
	s_cbranch_vccnz .LBB73_123
; %bb.106:                              ;   in Loop: Header=BB73_72 Depth=1
	v_dual_mov_b32 v103, 0 :: v_dual_mov_b32 v104, 0
	s_mov_b32 s1, exec_lo
	v_cmpx_gt_i32_e64 s11, v41
	s_cbranch_execz .LBB73_108
; %bb.107:                              ;   in Loop: Header=BB73_72 Depth=1
	global_load_b32 v104, v[14:15], off
.LBB73_108:                             ;   in Loop: Header=BB73_72 Depth=1
	s_or_b32 exec_lo, exec_lo, s1
	s_delay_alu instid0(SALU_CYCLE_1)
	s_mov_b32 s1, exec_lo
	v_cmpx_gt_i32_e64 s11, v42
	s_cbranch_execz .LBB73_110
; %bb.109:                              ;   in Loop: Header=BB73_72 Depth=1
	v_add_co_u32 v105, vcc_lo, v72, v19
	v_add_co_ci_u32_e32 v106, vcc_lo, 0, v73, vcc_lo
	global_load_b32 v103, v[105:106], off
.LBB73_110:                             ;   in Loop: Header=BB73_72 Depth=1
	s_or_b32 exec_lo, exec_lo, s1
	v_dual_mov_b32 v105, 0 :: v_dual_mov_b32 v106, 0
	s_mov_b32 s1, exec_lo
	v_cmpx_gt_i32_e64 s11, v43
	s_cbranch_execz .LBB73_112
; %bb.111:                              ;   in Loop: Header=BB73_72 Depth=1
	v_add_co_u32 v106, vcc_lo, v74, v19
	v_add_co_ci_u32_e32 v107, vcc_lo, 0, v75, vcc_lo
	global_load_b32 v106, v[106:107], off
.LBB73_112:                             ;   in Loop: Header=BB73_72 Depth=1
	s_or_b32 exec_lo, exec_lo, s1
	s_delay_alu instid0(SALU_CYCLE_1)
	s_mov_b32 s1, exec_lo
	v_cmpx_gt_i32_e64 s11, v44
	s_cbranch_execz .LBB73_114
; %bb.113:                              ;   in Loop: Header=BB73_72 Depth=1
	v_add_co_u32 v107, vcc_lo, v76, v19
	v_add_co_ci_u32_e32 v108, vcc_lo, 0, v77, vcc_lo
	global_load_b32 v105, v[107:108], off
.LBB73_114:                             ;   in Loop: Header=BB73_72 Depth=1
	s_or_b32 exec_lo, exec_lo, s1
	s_branch .LBB73_116
.LBB73_115:                             ;   in Loop: Header=BB73_72 Depth=1
	s_waitcnt vmcnt(0)
	v_add_co_u32 v105, vcc_lo, v72, v19
	v_add_co_ci_u32_e32 v106, vcc_lo, 0, v73, vcc_lo
	v_add_co_u32 v107, vcc_lo, v74, v19
	v_add_co_ci_u32_e32 v108, vcc_lo, 0, v75, vcc_lo
	;; [unrolled: 2-line block ×3, first 2 shown]
	global_load_b32 v104, v[14:15], off
	global_load_b32 v103, v[105:106], off
	;; [unrolled: 1-line block ×4, first 2 shown]
.LBB73_116:                             ;   in Loop: Header=BB73_72 Depth=1
	ds_load_b32 v15, v24
	ds_load_b32 v14, v31 offset:192
	v_cmp_gt_i32_e32 vcc_lo, s11, v16
	v_add_f32_e32 v12, 0, v12
	v_add_f32_e32 v8, 0, v8
	v_add_f32_e32 v2, 0, v2
	s_or_b32 s1, s12, vcc_lo
	s_delay_alu instid0(SALU_CYCLE_1) | instskip(NEXT) | instid1(VALU_DEP_2)
	s_and_b32 s11, s0, s1
	v_add_f32_e32 v8, v8, v9
	s_waitcnt vmcnt(0) lgkmcnt(1)
	v_mul_f32_e32 v107, v104, v15
	v_mul_f32_e32 v109, v103, v15
	;; [unrolled: 1-line block ×4, first 2 shown]
	ds_store_b32 v32, v107
	ds_load_b32 v108, v31 offset:196
	ds_store_b32 v32, v109 offset:268
	ds_load_b32 v107, v31 offset:200
	ds_store_b32 v32, v110 offset:536
	;; [unrolled: 2-line block ×3, first 2 shown]
	s_waitcnt lgkmcnt(0)
	s_barrier
	buffer_gl0_inv
	ds_load_2addr_b32 v[109:110], v27 offset1:1
	ds_load_2addr_b32 v[111:112], v27 offset0:2 offset1:3
	s_waitcnt lgkmcnt(0)
	s_barrier
	buffer_gl0_inv
	v_add_f32_e32 v109, 0, v109
	v_add_f32_e32 v12, v12, v13
	s_delay_alu instid0(VALU_DEP_2) | instskip(NEXT) | instid1(VALU_DEP_1)
	v_dual_add_f32 v2, v2, v3 :: v_dual_add_f32 v3, v109, v110
	v_dual_add_f32 v9, v12, v10 :: v_dual_add_f32 v0, v2, v0
	s_delay_alu instid0(VALU_DEP_2) | instskip(NEXT) | instid1(VALU_DEP_2)
	v_add_f32_e32 v2, v3, v111
	v_dual_add_f32 v3, v9, v11 :: v_dual_add_f32 v6, v8, v6
	s_delay_alu instid0(VALU_DEP_2) | instskip(NEXT) | instid1(VALU_DEP_2)
	v_dual_add_f32 v0, v0, v1 :: v_dual_add_f32 v1, v2, v112
	v_add_f32_e32 v6, v6, v7
	ds_store_2addr_b32 v78, v0, v6 offset1:16
	ds_store_2addr_b32 v78, v3, v1 offset0:32 offset1:48
	s_waitcnt lgkmcnt(0)
	s_barrier
	buffer_gl0_inv
	s_and_saveexec_b32 s1, s11
	s_cbranch_execz .LBB73_118
; %bb.117:                              ;   in Loop: Header=BB73_72 Depth=1
	ds_load_2addr_b32 v[0:1], v25 offset1:1
	ds_load_2addr_b32 v[2:3], v25 offset0:2 offset1:3
	ds_load_2addr_b32 v[6:7], v25 offset0:4 offset1:5
	;; [unrolled: 1-line block ×3, first 2 shown]
	s_waitcnt lgkmcnt(3)
	v_add_f32_e32 v0, v0, v1
	s_waitcnt lgkmcnt(2)
	s_delay_alu instid0(VALU_DEP_1) | instskip(NEXT) | instid1(VALU_DEP_1)
	v_add_f32_e32 v0, v0, v2
	v_add_f32_e32 v0, v0, v3
	s_waitcnt lgkmcnt(1)
	s_delay_alu instid0(VALU_DEP_1) | instskip(SKIP_3) | instid1(VALU_DEP_1)
	v_add_f32_e32 v2, v0, v6
	ds_load_2addr_b32 v[0:1], v25 offset0:8 offset1:9
	v_add_f32_e32 v2, v2, v7
	s_waitcnt lgkmcnt(1)
	v_add_f32_e32 v6, v2, v8
	ds_load_2addr_b32 v[2:3], v25 offset0:10 offset1:11
	v_add_f32_e32 v8, v6, v9
	ds_load_2addr_b32 v[6:7], v25 offset0:12 offset1:13
	ds_load_b32 v9, v25 offset:56
	s_waitcnt lgkmcnt(3)
	v_add_f32_e32 v0, v8, v0
	s_delay_alu instid0(VALU_DEP_1) | instskip(SKIP_1) | instid1(VALU_DEP_1)
	v_add_f32_e32 v0, v0, v1
	s_waitcnt lgkmcnt(2)
	v_add_f32_e32 v0, v0, v2
	ds_load_b32 v2, v26
	v_add_f32_e32 v0, v0, v3
	s_waitcnt lgkmcnt(2)
	s_delay_alu instid0(VALU_DEP_1) | instskip(NEXT) | instid1(VALU_DEP_1)
	v_dual_add_f32 v1, v0, v6 :: v_dual_add_nc_u32 v0, s8, v45
	v_add_f32_e32 v3, v1, v7
	s_delay_alu instid0(VALU_DEP_2) | instskip(SKIP_1) | instid1(VALU_DEP_2)
	v_ashrrev_i32_e32 v1, 31, v0
	s_waitcnt lgkmcnt(1)
	v_add_f32_e32 v3, v3, v9
	s_delay_alu instid0(VALU_DEP_2) | instskip(SKIP_1) | instid1(VALU_DEP_2)
	v_lshlrev_b64 v[0:1], 2, v[0:1]
	s_waitcnt lgkmcnt(0)
	v_add_f32_e32 v2, v3, v2
	s_delay_alu instid0(VALU_DEP_2) | instskip(NEXT) | instid1(VALU_DEP_3)
	v_add_co_u32 v0, vcc_lo, s3, v0
	v_add_co_ci_u32_e32 v1, vcc_lo, s6, v1, vcc_lo
	global_store_b32 v[0:1], v2, off
.LBB73_118:                             ;   in Loop: Header=BB73_72 Depth=1
	s_or_b32 exec_lo, exec_lo, s1
	v_fmac_f32_e32 v18, v82, v86
	v_add_co_u32 v46, vcc_lo, v46, s4
	v_add_co_ci_u32_e32 v47, vcc_lo, s5, v47, vcc_lo
	s_delay_alu instid0(VALU_DEP_3) | instskip(SKIP_2) | instid1(VALU_DEP_3)
	v_fmac_f32_e32 v18, v79, v85
	v_add_co_u32 v48, vcc_lo, v48, s4
	v_add_co_ci_u32_e32 v49, vcc_lo, s5, v49, vcc_lo
	v_fmac_f32_e32 v18, v81, v84
	v_add_co_u32 v50, vcc_lo, v50, s4
	v_add_co_ci_u32_e32 v51, vcc_lo, s5, v51, vcc_lo
	s_delay_alu instid0(VALU_DEP_3) | instskip(SKIP_2) | instid1(VALU_DEP_3)
	v_fmac_f32_e32 v18, v80, v83
	v_add_co_u32 v52, vcc_lo, v52, s4
	v_add_co_ci_u32_e32 v53, vcc_lo, s5, v53, vcc_lo
	;; [unrolled: 7-line block ×7, first 2 shown]
	v_fmac_f32_e32 v18, v106, v107
	v_add_co_u32 v74, vcc_lo, v74, s4
	v_add_co_ci_u32_e32 v75, vcc_lo, s5, v75, vcc_lo
	v_add_co_u32 v76, vcc_lo, v76, s4
	s_delay_alu instid0(VALU_DEP_4)
	v_fmac_f32_e32 v18, v105, v15
	v_add_co_ci_u32_e32 v77, vcc_lo, s5, v77, vcc_lo
	s_add_i32 s11, s14, 2
	s_add_i32 s1, s14, 1
	;; [unrolled: 1-line block ×3, first 2 shown]
	s_cmp_ge_u32 s11, s9
	s_waitcnt_vscnt null, 0x0
	s_barrier
	buffer_gl0_inv
	s_cbranch_scc1 .LBB73_124
; %bb.119:                              ;   in Loop: Header=BB73_72 Depth=1
	s_mov_b32 s14, s1
	s_delay_alu instid0(SALU_CYCLE_1)
	s_cmp_eq_u32 s7, s14
	s_cselect_b32 s11, s24, 0
	s_and_saveexec_b32 s1, s2
	s_cbranch_execnz .LBB73_69
	s_branch .LBB73_72
.LBB73_120:                             ;   in Loop: Header=BB73_72 Depth=1
                                        ; implicit-def: $vgpr80
                                        ; implicit-def: $vgpr81
                                        ; implicit-def: $vgpr79
                                        ; implicit-def: $vgpr82
	s_cbranch_execnz .LBB73_82
	s_branch .LBB73_83
.LBB73_121:                             ;   in Loop: Header=BB73_72 Depth=1
                                        ; implicit-def: $vgpr89
                                        ; implicit-def: $vgpr90
                                        ; implicit-def: $vgpr87
                                        ; implicit-def: $vgpr88
	s_cbranch_execnz .LBB73_93
	s_branch .LBB73_94
.LBB73_122:                             ;   in Loop: Header=BB73_72 Depth=1
                                        ; implicit-def: $vgpr97
                                        ; implicit-def: $vgpr98
                                        ; implicit-def: $vgpr95
                                        ; implicit-def: $vgpr96
	s_cbranch_execnz .LBB73_104
	s_branch .LBB73_105
.LBB73_123:                             ;   in Loop: Header=BB73_72 Depth=1
                                        ; implicit-def: $vgpr105
                                        ; implicit-def: $vgpr106
                                        ; implicit-def: $vgpr103
                                        ; implicit-def: $vgpr104
	s_cbranch_execnz .LBB73_115
	s_branch .LBB73_116
.LBB73_124:
	v_cmp_gt_i32_e32 vcc_lo, s10, v16
	v_mad_u32_u24 v0, 0x10c, v17, v19
	s_or_b32 s0, s22, vcc_lo
	ds_store_b32 v0, v18
	s_and_b32 s0, s2, s0
	s_waitcnt lgkmcnt(0)
	s_barrier
	buffer_gl0_inv
	s_and_saveexec_b32 s1, s0
	s_cbranch_execz .LBB73_126
; %bb.125:
	ds_load_2addr_b32 v[0:1], v19 offset1:67
	ds_load_2addr_b32 v[2:3], v19 offset0:134 offset1:201
	s_waitcnt lgkmcnt(1)
	v_add_f32_e32 v0, v0, v1
	s_waitcnt lgkmcnt(0)
	s_delay_alu instid0(VALU_DEP_1) | instskip(SKIP_1) | instid1(VALU_DEP_2)
	v_add_f32_e32 v2, v0, v2
	v_lshlrev_b64 v[0:1], 2, v[4:5]
	v_add_f32_e32 v2, v2, v3
	s_delay_alu instid0(VALU_DEP_2) | instskip(NEXT) | instid1(VALU_DEP_3)
	v_add_co_u32 v0, vcc_lo, s3, v0
	v_add_co_ci_u32_e32 v1, vcc_lo, s6, v1, vcc_lo
	global_store_b32 v[0:1], v2, off
.LBB73_126:
	s_nop 0
	s_sendmsg sendmsg(MSG_DEALLOC_VGPRS)
	s_endpgm
	.section	.rodata,"a",@progbits
	.p2align	6, 0x0
	.amdhsa_kernel _ZL26rocblas_hemvn_kernel_upperILb0ELi64ELi4ELi33ELi32ELi16ElfPKfPfEviT6_lT7_lT5_lS4_lS5_lS3_lT8_i
		.amdhsa_group_segment_fixed_size 4800
		.amdhsa_private_segment_fixed_size 0
		.amdhsa_kernarg_size 368
		.amdhsa_user_sgpr_count 14
		.amdhsa_user_sgpr_dispatch_ptr 0
		.amdhsa_user_sgpr_queue_ptr 0
		.amdhsa_user_sgpr_kernarg_segment_ptr 1
		.amdhsa_user_sgpr_dispatch_id 0
		.amdhsa_user_sgpr_private_segment_size 0
		.amdhsa_wavefront_size32 1
		.amdhsa_uses_dynamic_stack 0
		.amdhsa_enable_private_segment 0
		.amdhsa_system_sgpr_workgroup_id_x 1
		.amdhsa_system_sgpr_workgroup_id_y 0
		.amdhsa_system_sgpr_workgroup_id_z 1
		.amdhsa_system_sgpr_workgroup_info 0
		.amdhsa_system_vgpr_workitem_id 1
		.amdhsa_next_free_vgpr 113
		.amdhsa_next_free_sgpr 36
		.amdhsa_reserve_vcc 1
		.amdhsa_float_round_mode_32 0
		.amdhsa_float_round_mode_16_64 0
		.amdhsa_float_denorm_mode_32 3
		.amdhsa_float_denorm_mode_16_64 3
		.amdhsa_dx10_clamp 1
		.amdhsa_ieee_mode 1
		.amdhsa_fp16_overflow 0
		.amdhsa_workgroup_processor_mode 1
		.amdhsa_memory_ordered 1
		.amdhsa_forward_progress 0
		.amdhsa_shared_vgpr_count 0
		.amdhsa_exception_fp_ieee_invalid_op 0
		.amdhsa_exception_fp_denorm_src 0
		.amdhsa_exception_fp_ieee_div_zero 0
		.amdhsa_exception_fp_ieee_overflow 0
		.amdhsa_exception_fp_ieee_underflow 0
		.amdhsa_exception_fp_ieee_inexact 0
		.amdhsa_exception_int_div_zero 0
	.end_amdhsa_kernel
	.section	.text._ZL26rocblas_hemvn_kernel_upperILb0ELi64ELi4ELi33ELi32ELi16ElfPKfPfEviT6_lT7_lT5_lS4_lS5_lS3_lT8_i,"axG",@progbits,_ZL26rocblas_hemvn_kernel_upperILb0ELi64ELi4ELi33ELi32ELi16ElfPKfPfEviT6_lT7_lT5_lS4_lS5_lS3_lT8_i,comdat
.Lfunc_end73:
	.size	_ZL26rocblas_hemvn_kernel_upperILb0ELi64ELi4ELi33ELi32ELi16ElfPKfPfEviT6_lT7_lT5_lS4_lS5_lS3_lT8_i, .Lfunc_end73-_ZL26rocblas_hemvn_kernel_upperILb0ELi64ELi4ELi33ELi32ELi16ElfPKfPfEviT6_lT7_lT5_lS4_lS5_lS3_lT8_i
                                        ; -- End function
	.section	.AMDGPU.csdata,"",@progbits
; Kernel info:
; codeLenInByte = 7936
; NumSgprs: 38
; NumVgprs: 113
; ScratchSize: 0
; MemoryBound: 0
; FloatMode: 240
; IeeeMode: 1
; LDSByteSize: 4800 bytes/workgroup (compile time only)
; SGPRBlocks: 4
; VGPRBlocks: 14
; NumSGPRsForWavesPerEU: 38
; NumVGPRsForWavesPerEU: 113
; Occupancy: 12
; WaveLimiterHint : 1
; COMPUTE_PGM_RSRC2:SCRATCH_EN: 0
; COMPUTE_PGM_RSRC2:USER_SGPR: 14
; COMPUTE_PGM_RSRC2:TRAP_HANDLER: 0
; COMPUTE_PGM_RSRC2:TGID_X_EN: 1
; COMPUTE_PGM_RSRC2:TGID_Y_EN: 0
; COMPUTE_PGM_RSRC2:TGID_Z_EN: 1
; COMPUTE_PGM_RSRC2:TIDIG_COMP_CNT: 1
	.section	.text._ZL36rocblas_hemvn_kernel_upper_block_sumILi64ElfPffEviT1_lS1_lT2_lT0_lPT3_i,"axG",@progbits,_ZL36rocblas_hemvn_kernel_upper_block_sumILi64ElfPffEviT1_lS1_lT2_lT0_lPT3_i,comdat
	.globl	_ZL36rocblas_hemvn_kernel_upper_block_sumILi64ElfPffEviT1_lS1_lT2_lT0_lPT3_i ; -- Begin function _ZL36rocblas_hemvn_kernel_upper_block_sumILi64ElfPffEviT1_lS1_lT2_lT0_lPT3_i
	.p2align	8
	.type	_ZL36rocblas_hemvn_kernel_upper_block_sumILi64ElfPffEviT1_lS1_lT2_lT0_lPT3_i,@function
_ZL36rocblas_hemvn_kernel_upper_block_sumILi64ElfPffEviT1_lS1_lT2_lT0_lPT3_i: ; @_ZL36rocblas_hemvn_kernel_upper_block_sumILi64ElfPffEviT1_lS1_lT2_lT0_lPT3_i
; %bb.0:
	s_clause 0x1
	s_load_b64 s[12:13], s[0:1], 0x0
	s_load_b32 s16, s[0:1], 0x10
	s_mov_b32 s17, 0
	s_waitcnt lgkmcnt(0)
	v_cmp_eq_f32_e64 s2, s13, 0
	v_cmp_eq_f32_e64 s3, s16, 1.0
	s_delay_alu instid0(VALU_DEP_1) | instskip(NEXT) | instid1(SALU_CYCLE_1)
	s_and_b32 s2, s2, s3
	s_and_b32 vcc_lo, exec_lo, s2
	s_cbranch_vccnz .LBB74_19
; %bb.1:
	s_clause 0x1
	s_load_b256 s[4:11], s[0:1], 0x28
	s_load_b64 s[2:3], s[0:1], 0x20
	v_lshl_or_b32 v0, s14, 6, v0
	s_waitcnt lgkmcnt(0)
	s_mul_i32 s9, s15, s9
	s_mul_hi_u32 s18, s15, s8
	s_mul_i32 s8, s15, s8
	s_add_i32 s9, s18, s9
	v_cmp_neq_f32_e64 s18, s13, 0
	s_lshl_b64 s[8:9], s[8:9], 2
	s_delay_alu instid0(SALU_CYCLE_1) | instskip(SKIP_2) | instid1(SALU_CYCLE_1)
	s_add_u32 s2, s2, s8
	s_addc_u32 s8, s3, s9
	s_lshl_b64 s[4:5], s[4:5], 2
	s_add_u32 s3, s2, s4
	v_cmp_gt_i32_e64 s2, s12, v0
	s_addc_u32 s4, s8, s5
	s_and_b32 vcc_lo, exec_lo, s18
	s_cbranch_vccnz .LBB74_6
; %bb.2:
	s_mov_b32 s5, 0
                                        ; implicit-def: $vgpr3
                                        ; implicit-def: $vgpr1_vgpr2
	s_and_saveexec_b32 s8, s2
	s_cbranch_execz .LBB74_7
; %bb.3:
	v_ashrrev_i32_e32 v3, 31, v0
	v_mul_lo_u32 v4, v0, s7
	v_mad_u64_u32 v[1:2], null, v0, s6, 0
	v_cmp_eq_f32_e64 s2, s16, 0
	s_delay_alu instid0(VALU_DEP_4) | instskip(NEXT) | instid1(VALU_DEP_2)
	v_mul_lo_u32 v3, v3, s6
	s_and_b32 vcc_lo, exec_lo, s2
	s_delay_alu instid0(VALU_DEP_1)
	v_add3_u32 v2, v2, v4, v3
	v_mov_b32_e32 v3, 0
	s_cbranch_vccnz .LBB74_5
; %bb.4:
	s_delay_alu instid0(VALU_DEP_2) | instskip(NEXT) | instid1(VALU_DEP_1)
	v_lshlrev_b64 v[3:4], 2, v[1:2]
	v_add_co_u32 v3, vcc_lo, s3, v3
	s_delay_alu instid0(VALU_DEP_2)
	v_add_co_ci_u32_e32 v4, vcc_lo, s4, v4, vcc_lo
	global_load_b32 v3, v[3:4], off
	s_waitcnt vmcnt(0)
	v_mul_f32_e32 v3, s16, v3
.LBB74_5:
	s_mov_b32 s17, exec_lo
	s_or_b32 exec_lo, exec_lo, s8
	s_delay_alu instid0(SALU_CYCLE_1)
	s_and_b32 vcc_lo, exec_lo, s5
	s_cbranch_vccnz .LBB74_8
	s_branch .LBB74_17
.LBB74_6:
                                        ; implicit-def: $vgpr3
                                        ; implicit-def: $vgpr1_vgpr2
	s_cbranch_execnz .LBB74_8
	s_branch .LBB74_17
.LBB74_7:
	s_or_b32 exec_lo, exec_lo, s8
	s_delay_alu instid0(SALU_CYCLE_1)
	s_and_b32 vcc_lo, exec_lo, s5
	s_cbranch_vccz .LBB74_17
.LBB74_8:
	s_mov_b32 s2, exec_lo
                                        ; implicit-def: $vgpr3
                                        ; implicit-def: $vgpr1_vgpr2
	v_cmpx_gt_i32_e64 s12, v0
	s_cbranch_execz .LBB74_16
; %bb.9:
	v_ashrrev_i32_e32 v1, 31, v0
	v_mov_b32_e32 v4, 0
	s_cmp_lt_i32 s14, 0
	s_cbranch_scc1 .LBB74_12
; %bb.10:
	s_load_b32 s0, s[0:1], 0x50
	s_ashr_i32 s1, s12, 31
	s_mul_hi_u32 s5, s12, s15
	s_mul_i32 s8, s1, s15
	v_lshlrev_b64 v[2:3], 2, v[0:1]
	s_add_i32 s5, s5, s8
	s_mul_i32 s8, s12, s15
	v_mov_b32_e32 v4, 0
	s_waitcnt lgkmcnt(0)
	s_mul_i32 s5, s5, s0
	s_mul_hi_u32 s9, s8, s0
	s_mul_i32 s8, s8, s0
	s_add_i32 s9, s9, s5
	s_delay_alu instid0(SALU_CYCLE_1) | instskip(NEXT) | instid1(SALU_CYCLE_1)
	s_lshl_b64 s[8:9], s[8:9], 2
	s_add_u32 s0, s10, s8
	s_addc_u32 s5, s11, s9
	v_add_co_u32 v2, vcc_lo, s0, v2
	v_add_co_ci_u32_e32 v3, vcc_lo, s5, v3, vcc_lo
	s_mov_b32 s0, s12
	s_add_i32 s5, s14, 1
	s_lshl_b64 s[0:1], s[0:1], 2
.LBB74_11:                              ; =>This Inner Loop Header: Depth=1
	global_load_b32 v5, v[2:3], off
	v_add_co_u32 v2, vcc_lo, v2, s0
	v_add_co_ci_u32_e32 v3, vcc_lo, s1, v3, vcc_lo
	s_add_i32 s5, s5, -1
	s_delay_alu instid0(SALU_CYCLE_1)
	s_cmp_eq_u32 s5, 0
	s_waitcnt vmcnt(0)
	v_add_f32_e32 v4, v4, v5
	s_cbranch_scc0 .LBB74_11
.LBB74_12:
	s_delay_alu instid0(VALU_DEP_2) | instskip(SKIP_2) | instid1(VALU_DEP_1)
	v_mul_lo_u32 v5, v1, s6
	v_mul_lo_u32 v6, v0, s7
	v_cmp_eq_f32_e64 s0, s16, 0
	s_and_b32 vcc_lo, exec_lo, s0
	s_mov_b32 s0, 0
	s_cbranch_vccz .LBB74_20
; %bb.13:
	v_mad_u64_u32 v[1:2], null, v0, s6, 0
	v_mul_f32_e32 v3, s13, v4
	s_delay_alu instid0(VALU_DEP_2)
	v_add3_u32 v2, v2, v6, v5
	s_and_not1_b32 vcc_lo, exec_lo, s0
	s_cbranch_vccnz .LBB74_15
.LBB74_14:
	v_mad_u64_u32 v[1:2], null, v0, s6, 0
	s_delay_alu instid0(VALU_DEP_1) | instskip(NEXT) | instid1(VALU_DEP_1)
	v_add3_u32 v2, v2, v6, v5
	v_lshlrev_b64 v[5:6], 2, v[1:2]
	s_delay_alu instid0(VALU_DEP_1) | instskip(NEXT) | instid1(VALU_DEP_2)
	v_add_co_u32 v5, vcc_lo, s3, v5
	v_add_co_ci_u32_e32 v6, vcc_lo, s4, v6, vcc_lo
	global_load_b32 v0, v[5:6], off
	s_waitcnt vmcnt(0)
	v_mul_f32_e32 v3, s16, v0
	s_delay_alu instid0(VALU_DEP_1)
	v_fmac_f32_e32 v3, s13, v4
.LBB74_15:
	s_or_b32 s17, s17, exec_lo
.LBB74_16:
	s_or_b32 exec_lo, exec_lo, s2
.LBB74_17:
	s_and_saveexec_b32 s0, s17
	s_cbranch_execz .LBB74_19
; %bb.18:
	v_lshlrev_b64 v[0:1], 2, v[1:2]
	s_delay_alu instid0(VALU_DEP_1) | instskip(NEXT) | instid1(VALU_DEP_2)
	v_add_co_u32 v0, vcc_lo, s3, v0
	v_add_co_ci_u32_e32 v1, vcc_lo, s4, v1, vcc_lo
	global_store_b32 v[0:1], v3, off
.LBB74_19:
	s_nop 0
	s_sendmsg sendmsg(MSG_DEALLOC_VGPRS)
	s_endpgm
.LBB74_20:
                                        ; implicit-def: $vgpr3
                                        ; implicit-def: $vgpr1_vgpr2
	s_branch .LBB74_14
	.section	.rodata,"a",@progbits
	.p2align	6, 0x0
	.amdhsa_kernel _ZL36rocblas_hemvn_kernel_upper_block_sumILi64ElfPffEviT1_lS1_lT2_lT0_lPT3_i
		.amdhsa_group_segment_fixed_size 0
		.amdhsa_private_segment_fixed_size 0
		.amdhsa_kernarg_size 336
		.amdhsa_user_sgpr_count 14
		.amdhsa_user_sgpr_dispatch_ptr 0
		.amdhsa_user_sgpr_queue_ptr 0
		.amdhsa_user_sgpr_kernarg_segment_ptr 1
		.amdhsa_user_sgpr_dispatch_id 0
		.amdhsa_user_sgpr_private_segment_size 0
		.amdhsa_wavefront_size32 1
		.amdhsa_uses_dynamic_stack 0
		.amdhsa_enable_private_segment 0
		.amdhsa_system_sgpr_workgroup_id_x 1
		.amdhsa_system_sgpr_workgroup_id_y 0
		.amdhsa_system_sgpr_workgroup_id_z 1
		.amdhsa_system_sgpr_workgroup_info 0
		.amdhsa_system_vgpr_workitem_id 0
		.amdhsa_next_free_vgpr 7
		.amdhsa_next_free_sgpr 19
		.amdhsa_reserve_vcc 1
		.amdhsa_float_round_mode_32 0
		.amdhsa_float_round_mode_16_64 0
		.amdhsa_float_denorm_mode_32 3
		.amdhsa_float_denorm_mode_16_64 3
		.amdhsa_dx10_clamp 1
		.amdhsa_ieee_mode 1
		.amdhsa_fp16_overflow 0
		.amdhsa_workgroup_processor_mode 1
		.amdhsa_memory_ordered 1
		.amdhsa_forward_progress 0
		.amdhsa_shared_vgpr_count 0
		.amdhsa_exception_fp_ieee_invalid_op 0
		.amdhsa_exception_fp_denorm_src 0
		.amdhsa_exception_fp_ieee_div_zero 0
		.amdhsa_exception_fp_ieee_overflow 0
		.amdhsa_exception_fp_ieee_underflow 0
		.amdhsa_exception_fp_ieee_inexact 0
		.amdhsa_exception_int_div_zero 0
	.end_amdhsa_kernel
	.section	.text._ZL36rocblas_hemvn_kernel_upper_block_sumILi64ElfPffEviT1_lS1_lT2_lT0_lPT3_i,"axG",@progbits,_ZL36rocblas_hemvn_kernel_upper_block_sumILi64ElfPffEviT1_lS1_lT2_lT0_lPT3_i,comdat
.Lfunc_end74:
	.size	_ZL36rocblas_hemvn_kernel_upper_block_sumILi64ElfPffEviT1_lS1_lT2_lT0_lPT3_i, .Lfunc_end74-_ZL36rocblas_hemvn_kernel_upper_block_sumILi64ElfPffEviT1_lS1_lT2_lT0_lPT3_i
                                        ; -- End function
	.section	.AMDGPU.csdata,"",@progbits
; Kernel info:
; codeLenInByte = 708
; NumSgprs: 21
; NumVgprs: 7
; ScratchSize: 0
; MemoryBound: 0
; FloatMode: 240
; IeeeMode: 1
; LDSByteSize: 0 bytes/workgroup (compile time only)
; SGPRBlocks: 2
; VGPRBlocks: 0
; NumSGPRsForWavesPerEU: 21
; NumVGPRsForWavesPerEU: 7
; Occupancy: 16
; WaveLimiterHint : 0
; COMPUTE_PGM_RSRC2:SCRATCH_EN: 0
; COMPUTE_PGM_RSRC2:USER_SGPR: 14
; COMPUTE_PGM_RSRC2:TRAP_HANDLER: 0
; COMPUTE_PGM_RSRC2:TGID_X_EN: 1
; COMPUTE_PGM_RSRC2:TGID_Y_EN: 0
; COMPUTE_PGM_RSRC2:TGID_Z_EN: 1
; COMPUTE_PGM_RSRC2:TIDIG_COMP_CNT: 0
	.section	.text._ZL26rocblas_hemvn_kernel_upperILb0ELi64ELi4ELi33ELi32ELi16EifPKfPfEviT6_lT7_lT5_lS4_lS5_lS3_lT8_i,"axG",@progbits,_ZL26rocblas_hemvn_kernel_upperILb0ELi64ELi4ELi33ELi32ELi16EifPKfPfEviT6_lT7_lT5_lS4_lS5_lS3_lT8_i,comdat
	.globl	_ZL26rocblas_hemvn_kernel_upperILb0ELi64ELi4ELi33ELi32ELi16EifPKfPfEviT6_lT7_lT5_lS4_lS5_lS3_lT8_i ; -- Begin function _ZL26rocblas_hemvn_kernel_upperILb0ELi64ELi4ELi33ELi32ELi16EifPKfPfEviT6_lT7_lT5_lS4_lS5_lS3_lT8_i
	.p2align	8
	.type	_ZL26rocblas_hemvn_kernel_upperILb0ELi64ELi4ELi33ELi32ELi16EifPKfPfEviT6_lT7_lT5_lS4_lS5_lS3_lT8_i,@function
_ZL26rocblas_hemvn_kernel_upperILb0ELi64ELi4ELi33ELi32ELi16EifPKfPfEviT6_lT7_lT5_lS4_lS5_lS3_lT8_i: ; @_ZL26rocblas_hemvn_kernel_upperILb0ELi64ELi4ELi33ELi32ELi16EifPKfPfEviT6_lT7_lT5_lS4_lS5_lS3_lT8_i
; %bb.0:
	s_load_b64 s[4:5], s[0:1], 0x7c
	s_add_u32 s2, s0, 0x70
	s_addc_u32 s3, s1, 0
	s_waitcnt lgkmcnt(0)
	s_lshr_b32 s6, s4, 16
	s_and_b32 s4, s4, 0xffff
	s_and_b32 s5, s5, 0xffff
	s_mul_i32 s4, s6, s4
	s_delay_alu instid0(SALU_CYCLE_1) | instskip(NEXT) | instid1(SALU_CYCLE_1)
	s_mul_i32 s4, s4, s5
	s_cmpk_lg_i32 s4, 0x100
	s_cbranch_scc1 .LBB75_126
; %bb.1:
	s_clause 0x1
	s_load_b64 s[18:19], s[0:1], 0x0
	s_load_b32 s5, s[0:1], 0x50
	s_waitcnt lgkmcnt(0)
	v_cmp_eq_f32_e64 s4, s19, 0
	v_cmp_eq_f32_e64 s5, s5, 1.0
	s_delay_alu instid0(VALU_DEP_1) | instskip(NEXT) | instid1(SALU_CYCLE_1)
	s_and_b32 s5, s4, s5
	s_and_b32 vcc_lo, exec_lo, s5
	s_cbranch_vccnz .LBB75_126
; %bb.2:
	s_and_b32 vcc_lo, exec_lo, s4
	s_cbranch_vccnz .LBB75_126
; %bb.3:
	s_clause 0x3
	s_load_b64 s[8:9], s[0:1], 0x48
	s_load_b128 s[4:7], s[0:1], 0x28
	s_load_b64 s[10:11], s[0:1], 0x38
	s_load_b32 s19, s[0:1], 0x40
	v_and_b32_e32 v5, 0x3ff, v0
	s_load_b32 s28, s[2:3], 0x0
	v_bfe_u32 v18, v0, 10, 10
	s_waitcnt lgkmcnt(0)
	s_mul_i32 s9, s15, s9
	s_mul_hi_u32 s12, s15, s8
	s_mul_i32 s8, s15, s8
	s_add_i32 s9, s12, s9
	s_delay_alu instid0(SALU_CYCLE_1) | instskip(NEXT) | instid1(SALU_CYCLE_1)
	s_lshl_b64 s[8:9], s[8:9], 2
	s_add_u32 s8, s6, s8
	s_addc_u32 s9, s7, s9
	s_lshl_b64 s[6:7], s[10:11], 2
	s_delay_alu instid0(SALU_CYCLE_1)
	s_add_u32 s6, s8, s6
	s_addc_u32 s7, s9, s7
	s_lshl_b32 s16, s14, 6
	s_ashr_i32 s9, s18, 31
	v_add_nc_u32_e32 v4, s16, v5
	s_lshr_b32 s2, s9, 26
	s_add_i32 s3, s28, -1
	s_add_i32 s2, s18, s2
	s_delay_alu instid0(VALU_DEP_1) | instskip(SKIP_1) | instid1(SALU_CYCLE_1)
	v_mul_lo_u32 v1, v4, s19
	s_and_not1_b32 s2, s2, 63
	s_sub_i32 s29, s18, s2
	v_cmp_eq_u32_e64 s2, 0, v18
	s_cmp_eq_u32 s14, s3
	s_cselect_b32 s10, s29, 0
	s_delay_alu instid0(VALU_DEP_2) | instskip(NEXT) | instid1(VALU_DEP_1)
	v_ashrrev_i32_e32 v2, 31, v1
	v_lshlrev_b64 v[1:2], 2, v[1:2]
	s_delay_alu instid0(VALU_DEP_1) | instskip(NEXT) | instid1(VALU_DEP_2)
	v_add_co_u32 v6, vcc_lo, s6, v1
	v_add_co_ci_u32_e32 v7, vcc_lo, s7, v2, vcc_lo
	s_and_saveexec_b32 s3, s2
	s_cbranch_execz .LBB75_7
; %bb.4:
	v_cmp_gt_i32_e32 vcc_lo, s10, v5
	s_cmp_eq_u32 s10, 0
	v_mov_b32_e32 v0, 0
	s_cselect_b32 s6, -1, 0
	s_delay_alu instid0(SALU_CYCLE_1) | instskip(NEXT) | instid1(SALU_CYCLE_1)
	s_or_b32 s7, s6, vcc_lo
	s_and_saveexec_b32 s6, s7
	s_cbranch_execz .LBB75_6
; %bb.5:
	global_load_b32 v0, v[6:7], off
.LBB75_6:
	s_or_b32 exec_lo, exec_lo, s6
	v_lshlrev_b32_e32 v1, 2, v5
	s_waitcnt vmcnt(0)
	ds_store_b32 v1, v0 offset:4544
.LBB75_7:
	s_or_b32 exec_lo, exec_lo, s3
	s_clause 0x1
	s_load_b128 s[20:23], s[0:1], 0x10
	s_load_b32 s12, s[0:1], 0x20
	v_lshl_add_u32 v14, v18, 6, v5
	v_and_b32_e32 v0, 31, v5
	s_mul_i32 s3, s15, s5
	s_mul_hi_u32 s5, s15, s4
	s_mul_i32 s4, s15, s4
	v_lshrrev_b32_e32 v3, 5, v14
	s_add_i32 s5, s5, s3
	v_lshlrev_b32_e32 v15, 2, v0
	s_lshl_b64 s[4:5], s[4:5], 2
	s_waitcnt lgkmcnt(0)
	s_add_u32 s3, s20, s4
	v_mad_u64_u32 v[1:2], null, v3, s12, v[0:1]
	s_addc_u32 s6, s21, s5
	s_lshl_b64 s[4:5], s[22:23], 2
	s_delay_alu instid0(SALU_CYCLE_1) | instskip(SKIP_2) | instid1(VALU_DEP_1)
	s_add_u32 s3, s3, s4
	s_addc_u32 s7, s6, s5
	s_ashr_i32 s17, s16, 31
	v_ashrrev_i32_e32 v2, 31, v1
	s_lshl_b64 s[4:5], s[16:17], 2
	s_mul_i32 s6, s16, s12
	s_add_u32 s3, s3, s4
	s_addc_u32 s8, s7, s5
	s_ashr_i32 s7, s6, 31
	v_lshlrev_b64 v[8:9], 2, v[1:2]
	s_lshl_b64 s[4:5], s[6:7], 2
	s_delay_alu instid0(SALU_CYCLE_1) | instskip(SKIP_2) | instid1(VALU_DEP_1)
	s_add_u32 s4, s4, s3
	s_addc_u32 s5, s5, s8
	s_cmp_eq_u32 s10, 0
	v_add_co_u32 v1, vcc_lo, s4, v8
	s_cselect_b32 s30, -1, 0
	s_cmp_lg_u32 s10, 0
	v_cmp_gt_i32_e64 s3, s10, v0
	v_add_co_ci_u32_e32 v2, vcc_lo, s5, v9, vcc_lo
	s_cselect_b32 s17, -1, 0
	s_delay_alu instid0(SALU_CYCLE_1)
	s_and_b32 vcc_lo, exec_lo, s17
	s_cbranch_vccz .LBB75_17
; %bb.8:
	v_sub_co_u32 v10, vcc_lo, v1, v15
	s_ashr_i32 s11, s10, 31
	v_subrev_co_ci_u32_e32 v11, vcc_lo, 0, v2, vcc_lo
	s_lshl_b64 s[4:5], s[10:11], 2
	v_dual_mov_b32 v16, 0 :: v_dual_mov_b32 v13, 0
	v_add_co_u32 v10, vcc_lo, v10, s4
	s_delay_alu instid0(VALU_DEP_3) | instskip(SKIP_1) | instid1(VALU_DEP_2)
	v_add_co_ci_u32_e32 v11, vcc_lo, s5, v11, vcc_lo
	s_mov_b32 s6, exec_lo
	v_add_co_u32 v10, vcc_lo, v10, -4
	s_delay_alu instid0(VALU_DEP_2) | instskip(NEXT) | instid1(VALU_DEP_2)
	v_add_co_ci_u32_e32 v11, vcc_lo, -1, v11, vcc_lo
	v_cndmask_b32_e64 v10, v10, v1, s3
	s_delay_alu instid0(VALU_DEP_2)
	v_cndmask_b32_e64 v11, v11, v2, s3
	v_cmpx_gt_i32_e64 s10, v3
	s_cbranch_execz .LBB75_10
; %bb.9:
	global_load_b32 v13, v[10:11], off
.LBB75_10:
	s_or_b32 exec_lo, exec_lo, s6
	v_mul_u32_u24_e32 v12, 33, v3
	v_add_nc_u32_e32 v17, 8, v3
	s_mov_b32 s6, exec_lo
	s_delay_alu instid0(VALU_DEP_2)
	v_add_lshl_u32 v12, v12, v0, 2
	s_waitcnt vmcnt(0)
	ds_store_b32 v12, v13
	v_cmpx_gt_i32_e64 s10, v17
	s_cbranch_execz .LBB75_12
; %bb.11:
	s_lshl_b32 s20, s12, 3
	s_delay_alu instid0(SALU_CYCLE_1) | instskip(NEXT) | instid1(SALU_CYCLE_1)
	s_ashr_i32 s21, s20, 31
	s_lshl_b64 s[20:21], s[20:21], 2
	s_delay_alu instid0(SALU_CYCLE_1)
	v_add_co_u32 v16, vcc_lo, v10, s20
	v_add_co_ci_u32_e32 v17, vcc_lo, s21, v11, vcc_lo
	global_load_b32 v16, v[16:17], off
.LBB75_12:
	s_or_b32 exec_lo, exec_lo, s6
	v_add_nc_u32_e32 v17, 16, v3
	v_mov_b32_e32 v13, 0
	s_waitcnt vmcnt(0)
	ds_store_b32 v12, v16 offset:1056
	v_cmp_gt_i32_e32 vcc_lo, s10, v17
	v_mov_b32_e32 v17, 0
	s_and_saveexec_b32 s6, vcc_lo
	s_cbranch_execz .LBB75_14
; %bb.13:
	s_lshl_b32 s20, s12, 4
	s_delay_alu instid0(SALU_CYCLE_1) | instskip(NEXT) | instid1(SALU_CYCLE_1)
	s_ashr_i32 s21, s20, 31
	s_lshl_b64 s[20:21], s[20:21], 2
	s_delay_alu instid0(SALU_CYCLE_1)
	v_add_co_u32 v16, vcc_lo, v10, s20
	v_add_co_ci_u32_e32 v17, vcc_lo, s21, v11, vcc_lo
	global_load_b32 v17, v[16:17], off
.LBB75_14:
	s_or_b32 exec_lo, exec_lo, s6
	v_add_nc_u32_e32 v16, 24, v3
	s_mov_b32 s6, exec_lo
	s_waitcnt vmcnt(0)
	ds_store_b32 v12, v17 offset:2112
	v_cmpx_gt_i32_e64 s10, v16
	s_cbranch_execz .LBB75_16
; %bb.15:
	s_mul_i32 s20, s12, 24
	s_delay_alu instid0(SALU_CYCLE_1) | instskip(NEXT) | instid1(SALU_CYCLE_1)
	s_ashr_i32 s21, s20, 31
	s_lshl_b64 s[20:21], s[20:21], 2
	s_delay_alu instid0(SALU_CYCLE_1)
	v_add_co_u32 v16, vcc_lo, v10, s20
	v_add_co_ci_u32_e32 v17, vcc_lo, s21, v11, vcc_lo
	global_load_b32 v13, v[16:17], off
.LBB75_16:
	s_or_b32 exec_lo, exec_lo, s6
	v_add_co_u32 v10, vcc_lo, v10, v15
	v_add_co_ci_u32_e32 v11, vcc_lo, 0, v11, vcc_lo
	s_waitcnt vmcnt(0)
	ds_store_b32 v12, v13 offset:3168
	v_sub_co_u32 v10, vcc_lo, v10, s4
	v_subrev_co_ci_u32_e32 v11, vcc_lo, s5, v11, vcc_lo
	s_delay_alu instid0(VALU_DEP_2) | instskip(NEXT) | instid1(VALU_DEP_2)
	v_add_co_u32 v10, vcc_lo, v10, 4
	v_add_co_ci_u32_e32 v11, vcc_lo, 0, v11, vcc_lo
	s_delay_alu instid0(VALU_DEP_2) | instskip(NEXT) | instid1(VALU_DEP_2)
	v_cndmask_b32_e64 v10, v10, v1, s3
	v_cndmask_b32_e64 v11, v11, v2, s3
	v_mul_u32_u24_e32 v16, 33, v3
	s_branch .LBB75_19
.LBB75_17:
                                        ; implicit-def: $vgpr10_vgpr11
	v_mul_u32_u24_e32 v16, 33, v3
	s_cbranch_execz .LBB75_19
; %bb.18:
	s_lshl_b32 s4, s12, 3
	s_ashr_i32 s13, s12, 31
	s_ashr_i32 s5, s4, 31
	s_delay_alu instid0(SALU_CYCLE_1) | instskip(NEXT) | instid1(SALU_CYCLE_1)
	s_lshl_b64 s[4:5], s[4:5], 2
	v_add_co_u32 v10, vcc_lo, v1, s4
	v_add_co_ci_u32_e32 v11, vcc_lo, s5, v2, vcc_lo
	s_lshl_b64 s[4:5], s[12:13], 5
	s_delay_alu instid0(VALU_DEP_2) | instid1(SALU_CYCLE_1)
	v_add_co_u32 v12, vcc_lo, v10, s4
	s_delay_alu instid0(VALU_DEP_2) | instskip(NEXT) | instid1(VALU_DEP_2)
	v_add_co_ci_u32_e32 v13, vcc_lo, s5, v11, vcc_lo
	v_add_co_u32 v19, vcc_lo, v12, s4
	s_delay_alu instid0(VALU_DEP_2)
	v_add_co_ci_u32_e32 v20, vcc_lo, s5, v13, vcc_lo
	s_clause 0x1
	global_load_b32 v17, v[1:2], off
	global_load_b32 v21, v[10:11], off
	;; [unrolled: 1-line block ×4, first 2 shown]
	v_add_lshl_u32 v19, v16, v0, 2
	v_dual_mov_b32 v11, v2 :: v_dual_mov_b32 v10, v1
	s_waitcnt vmcnt(3)
	ds_store_b32 v19, v17
	s_waitcnt vmcnt(2)
	ds_store_b32 v19, v21 offset:1056
	s_waitcnt vmcnt(1)
	ds_store_b32 v19, v12 offset:2112
	;; [unrolled: 2-line block ×3, first 2 shown]
.LBB75_19:
	v_lshlrev_b32_e32 v20, 2, v3
	v_mul_u32_u24_e32 v17, 33, v0
	v_mul_u32_u24_e32 v1, 0x84, v3
	s_waitcnt lgkmcnt(0)
	s_barrier
	v_cmp_gt_u32_e64 s4, v20, v0
	v_add_lshl_u32 v26, v20, v17, 2
	buffer_gl0_inv
	s_and_saveexec_b32 s3, s4
	s_cbranch_execz .LBB75_21
; %bb.20:
	v_add_lshl_u32 v2, v1, v0, 2
	ds_load_b32 v2, v2
	s_waitcnt lgkmcnt(0)
	ds_store_b32 v26, v2
.LBB75_21:
	s_or_b32 exec_lo, exec_lo, s3
	v_cmp_ge_u32_e64 s5, v20, v0
	s_delay_alu instid0(VALU_DEP_1)
	s_and_saveexec_b32 s3, s5
	s_cbranch_execz .LBB75_23
; %bb.22:
	v_or_b32_e32 v2, 1, v20
	s_delay_alu instid0(VALU_DEP_1) | instskip(NEXT) | instid1(VALU_DEP_1)
	v_mul_u32_u24_e32 v2, 33, v2
	v_add_lshl_u32 v2, v2, v0, 2
	ds_load_b32 v2, v2
	s_waitcnt lgkmcnt(0)
	ds_store_b32 v26, v2 offset:4
.LBB75_23:
	s_or_b32 exec_lo, exec_lo, s3
	v_or_b32_e32 v2, 2, v20
	s_delay_alu instid0(VALU_DEP_1) | instskip(NEXT) | instid1(VALU_DEP_1)
	v_cmp_gt_u32_e64 s6, v2, v0
	s_and_saveexec_b32 s3, s6
	s_cbranch_execz .LBB75_25
; %bb.24:
	v_mul_u32_u24_e32 v2, 33, v2
	s_delay_alu instid0(VALU_DEP_1)
	v_add_lshl_u32 v2, v2, v0, 2
	ds_load_b32 v2, v2
	s_waitcnt lgkmcnt(0)
	ds_store_b32 v26, v2 offset:8
.LBB75_25:
	s_or_b32 exec_lo, exec_lo, s3
	v_or_b32_e32 v2, 3, v20
	s_delay_alu instid0(VALU_DEP_1) | instskip(SKIP_1) | instid1(VALU_DEP_2)
	v_mad_u32_u24 v12, v2, 33, v0
	v_cmp_gt_u32_e64 s7, v2, v0
	v_lshlrev_b32_e32 v23, 2, v12
	s_delay_alu instid0(VALU_DEP_2)
	s_and_saveexec_b32 s3, s7
	s_cbranch_execz .LBB75_27
; %bb.26:
	ds_load_b32 v2, v23
	s_waitcnt lgkmcnt(0)
	ds_store_b32 v26, v2 offset:12
.LBB75_27:
	s_or_b32 exec_lo, exec_lo, s3
	v_add_lshl_u32 v24, v1, v0, 2
	v_lshlrev_b32_e32 v27, 2, v20
	v_add_nc_u32_e32 v25, 0xfffffef8, v23
	s_waitcnt lgkmcnt(0)
	s_barrier
	buffer_gl0_inv
	ds_load_b32 v12, v24
	ds_load_b128 v[28:31], v27 offset:4544
	ds_load_2addr_b32 v[1:2], v25 offset1:33
	ds_load_b32 v13, v23
	v_add_lshl_u32 v22, v3, v17, 2
	v_cmp_gt_u32_e64 s3, 32, v14
	v_lshlrev_b32_e32 v21, 2, v17
	s_waitcnt lgkmcnt(0)
	s_barrier
	buffer_gl0_inv
	v_fma_f32 v12, v12, v28, 0
	s_delay_alu instid0(VALU_DEP_1) | instskip(NEXT) | instid1(VALU_DEP_1)
	v_fmac_f32_e32 v12, v1, v29
	v_dual_fmac_f32 v12, v2, v30 :: v_dual_mov_b32 v19, 0
	s_delay_alu instid0(VALU_DEP_1)
	v_fmac_f32_e32 v12, v13, v31
	ds_store_b32 v22, v12
	s_waitcnt lgkmcnt(0)
	s_barrier
	buffer_gl0_inv
	s_and_saveexec_b32 s8, s3
	s_cbranch_execz .LBB75_29
; %bb.28:
	ds_load_2addr_b32 v[1:2], v21 offset1:1
	ds_load_2addr_b32 v[12:13], v21 offset0:2 offset1:3
	ds_load_2addr_b32 v[28:29], v21 offset0:4 offset1:5
	;; [unrolled: 1-line block ×3, first 2 shown]
	s_waitcnt lgkmcnt(3)
	v_add_f32_e32 v1, v1, v2
	s_waitcnt lgkmcnt(2)
	s_delay_alu instid0(VALU_DEP_1) | instskip(NEXT) | instid1(VALU_DEP_1)
	v_add_f32_e32 v1, v1, v12
	v_add_f32_e32 v1, v1, v13
	s_waitcnt lgkmcnt(1)
	s_delay_alu instid0(VALU_DEP_1) | instskip(NEXT) | instid1(VALU_DEP_1)
	v_add_f32_e32 v1, v1, v28
	;; [unrolled: 4-line block ×3, first 2 shown]
	v_add_f32_e32 v19, v1, v31
.LBB75_29:
	s_or_b32 exec_lo, exec_lo, s8
	s_lshl_b32 s22, s12, 5
	s_delay_alu instid0(SALU_CYCLE_1)
	s_ashr_i32 s23, s22, 31
	s_barrier
	s_lshl_b64 s[20:21], s[22:23], 2
	buffer_gl0_inv
	v_add_co_u32 v12, vcc_lo, v10, s20
	v_add_co_ci_u32_e32 v13, vcc_lo, s21, v11, vcc_lo
	s_delay_alu instid0(VALU_DEP_2) | instskip(NEXT) | instid1(VALU_DEP_2)
	v_add_co_u32 v10, vcc_lo, 0x80, v12
	v_add_co_ci_u32_e32 v11, vcc_lo, 0, v13, vcc_lo
	s_and_b32 vcc_lo, exec_lo, s17
	s_cbranch_vccz .LBB75_39
; %bb.30:
	s_delay_alu instid0(VALU_DEP_2)
	v_sub_co_u32 v1, vcc_lo, v10, v15
	s_ashr_i32 s11, s10, 31
	v_subrev_co_ci_u32_e32 v2, vcc_lo, 0, v11, vcc_lo
	s_lshl_b64 s[24:25], s[10:11], 2
	v_or_b32_e32 v28, 32, v0
	v_add_co_u32 v1, vcc_lo, v1, s24
	s_delay_alu instid0(VALU_DEP_3) | instskip(SKIP_1) | instid1(VALU_DEP_3)
	v_add_co_ci_u32_e32 v2, vcc_lo, s25, v2, vcc_lo
	v_dual_mov_b32 v30, 0 :: v_dual_mov_b32 v29, 0
	v_add_co_u32 v1, vcc_lo, 0xffffff7c, v1
	s_delay_alu instid0(VALU_DEP_3) | instskip(SKIP_3) | instid1(VALU_DEP_2)
	v_add_co_ci_u32_e32 v2, vcc_lo, -1, v2, vcc_lo
	v_cmp_gt_i32_e32 vcc_lo, s10, v28
	s_sub_i32 s11, s10, 32
	s_mov_b32 s13, exec_lo
	v_dual_cndmask_b32 v2, v2, v11 :: v_dual_cndmask_b32 v1, v1, v10
	v_cmpx_gt_i32_e64 s11, v3
	s_cbranch_execz .LBB75_32
; %bb.31:
	global_load_b32 v29, v[1:2], off
.LBB75_32:
	s_or_b32 exec_lo, exec_lo, s13
	v_add_nc_u32_e32 v31, 8, v3
	v_add_lshl_u32 v28, v16, v0, 2
	s_mov_b32 s13, exec_lo
	s_waitcnt vmcnt(0)
	ds_store_b32 v28, v29
	v_cmpx_gt_i32_e64 s11, v31
	s_cbranch_execz .LBB75_34
; %bb.33:
	s_lshl_b32 s26, s12, 3
	s_delay_alu instid0(SALU_CYCLE_1) | instskip(NEXT) | instid1(SALU_CYCLE_1)
	s_ashr_i32 s27, s26, 31
	s_lshl_b64 s[26:27], s[26:27], 2
	s_delay_alu instid0(SALU_CYCLE_1) | instskip(NEXT) | instid1(VALU_DEP_1)
	v_add_co_u32 v29, s8, v1, s26
	v_add_co_ci_u32_e64 v30, s8, s27, v2, s8
	global_load_b32 v30, v[29:30], off
.LBB75_34:
	s_or_b32 exec_lo, exec_lo, s13
	v_add_nc_u32_e32 v31, 16, v3
	v_mov_b32_e32 v29, 0
	s_waitcnt vmcnt(0)
	ds_store_b32 v28, v30 offset:1056
	v_cmp_gt_i32_e64 s8, s11, v31
	v_mov_b32_e32 v31, 0
	s_delay_alu instid0(VALU_DEP_2)
	s_and_saveexec_b32 s13, s8
	s_cbranch_execz .LBB75_36
; %bb.35:
	s_lshl_b32 s26, s12, 4
	s_delay_alu instid0(SALU_CYCLE_1) | instskip(NEXT) | instid1(SALU_CYCLE_1)
	s_ashr_i32 s27, s26, 31
	s_lshl_b64 s[26:27], s[26:27], 2
	s_delay_alu instid0(SALU_CYCLE_1) | instskip(NEXT) | instid1(VALU_DEP_1)
	v_add_co_u32 v30, s8, v1, s26
	v_add_co_ci_u32_e64 v31, s8, s27, v2, s8
	global_load_b32 v31, v[30:31], off
.LBB75_36:
	s_or_b32 exec_lo, exec_lo, s13
	v_add_nc_u32_e32 v30, 24, v3
	s_waitcnt vmcnt(0)
	ds_store_b32 v28, v31 offset:2112
	v_cmp_gt_i32_e64 s8, s11, v30
	s_delay_alu instid0(VALU_DEP_1)
	s_and_saveexec_b32 s11, s8
	s_cbranch_execz .LBB75_38
; %bb.37:
	s_mul_i32 s26, s12, 24
	s_delay_alu instid0(SALU_CYCLE_1) | instskip(NEXT) | instid1(SALU_CYCLE_1)
	s_ashr_i32 s27, s26, 31
	s_lshl_b64 s[26:27], s[26:27], 2
	s_delay_alu instid0(SALU_CYCLE_1) | instskip(NEXT) | instid1(VALU_DEP_1)
	v_add_co_u32 v29, s8, v1, s26
	v_add_co_ci_u32_e64 v30, s8, s27, v2, s8
	global_load_b32 v29, v[29:30], off
.LBB75_38:
	s_or_b32 exec_lo, exec_lo, s11
	v_add_co_u32 v1, s8, v1, v15
	s_delay_alu instid0(VALU_DEP_1) | instskip(SKIP_3) | instid1(VALU_DEP_1)
	v_add_co_ci_u32_e64 v2, s8, 0, v2, s8
	s_waitcnt vmcnt(0)
	ds_store_b32 v28, v29 offset:3168
	v_sub_co_u32 v1, s8, v1, s24
	v_subrev_co_ci_u32_e64 v2, s8, s25, v2, s8
	s_delay_alu instid0(VALU_DEP_2) | instskip(NEXT) | instid1(VALU_DEP_1)
	v_add_co_u32 v1, s8, 0x84, v1
	v_add_co_ci_u32_e64 v2, s8, 0, v2, s8
	s_delay_alu instid0(VALU_DEP_1)
	v_dual_cndmask_b32 v1, v1, v10 :: v_dual_cndmask_b32 v2, v2, v11
	s_branch .LBB75_41
.LBB75_39:
                                        ; implicit-def: $vgpr1_vgpr2
	s_cbranch_execz .LBB75_41
; %bb.40:
	s_lshl_b32 s24, s12, 3
	s_ashr_i32 s13, s12, 31
	s_ashr_i32 s25, s24, 31
	s_delay_alu instid0(SALU_CYCLE_1) | instskip(NEXT) | instid1(SALU_CYCLE_1)
	s_lshl_b64 s[24:25], s[24:25], 2
	v_add_co_u32 v1, vcc_lo, v12, s24
	v_add_co_ci_u32_e32 v2, vcc_lo, s25, v13, vcc_lo
	s_lshl_b64 s[24:25], s[12:13], 5
	s_delay_alu instid0(VALU_DEP_2) | instid1(SALU_CYCLE_1)
	v_add_co_u32 v28, vcc_lo, v1, s24
	s_delay_alu instid0(VALU_DEP_2) | instskip(NEXT) | instid1(VALU_DEP_2)
	v_add_co_ci_u32_e32 v29, vcc_lo, s25, v2, vcc_lo
	v_add_co_u32 v30, vcc_lo, v28, s24
	s_delay_alu instid0(VALU_DEP_2)
	v_add_co_ci_u32_e32 v31, vcc_lo, s25, v29, vcc_lo
	s_clause 0x3
	global_load_b32 v12, v[12:13], off offset:128
	global_load_b32 v13, v[1:2], off offset:128
	;; [unrolled: 1-line block ×4, first 2 shown]
	v_add_lshl_u32 v30, v16, v0, 2
	v_dual_mov_b32 v1, v10 :: v_dual_mov_b32 v2, v11
	s_waitcnt vmcnt(3)
	ds_store_b32 v30, v12
	s_waitcnt vmcnt(2)
	ds_store_b32 v30, v13 offset:1056
	s_waitcnt vmcnt(1)
	ds_store_b32 v30, v28 offset:2112
	;; [unrolled: 2-line block ×3, first 2 shown]
.LBB75_41:
	s_waitcnt lgkmcnt(0)
	s_barrier
	buffer_gl0_inv
	s_and_saveexec_b32 s8, s4
	s_cbranch_execnz .LBB75_58
; %bb.42:
	s_or_b32 exec_lo, exec_lo, s8
	s_and_saveexec_b32 s4, s5
	s_cbranch_execnz .LBB75_59
.LBB75_43:
	s_or_b32 exec_lo, exec_lo, s4
	s_and_saveexec_b32 s4, s6
	s_cbranch_execnz .LBB75_60
.LBB75_44:
	s_or_b32 exec_lo, exec_lo, s4
	v_add_nc_u32_e32 v27, 0x11c0, v27
	s_and_saveexec_b32 s4, s7
	s_cbranch_execz .LBB75_46
.LBB75_45:
	ds_load_b32 v10, v23
	s_waitcnt lgkmcnt(0)
	ds_store_b32 v26, v10 offset:12
.LBB75_46:
	s_or_b32 exec_lo, exec_lo, s4
	s_waitcnt lgkmcnt(0)
	s_barrier
	buffer_gl0_inv
	ds_load_b32 v26, v24
	ds_load_b128 v[10:13], v27 offset:128
	ds_load_2addr_b32 v[28:29], v25 offset1:33
	ds_load_b32 v30, v23
	v_cmp_eq_u32_e64 s4, 1, v3
	s_waitcnt lgkmcnt(0)
	s_barrier
	buffer_gl0_inv
	v_fma_f32 v10, v26, v10, 0
	s_delay_alu instid0(VALU_DEP_1) | instskip(NEXT) | instid1(VALU_DEP_1)
	v_fmac_f32_e32 v10, v28, v11
	v_fmac_f32_e32 v10, v29, v12
	s_delay_alu instid0(VALU_DEP_1)
	v_fmac_f32_e32 v10, v30, v13
	ds_store_b32 v22, v10
	s_waitcnt lgkmcnt(0)
	s_barrier
	buffer_gl0_inv
	s_and_saveexec_b32 s5, s4
	s_cbranch_execz .LBB75_48
; %bb.47:
	ds_load_2addr_b32 v[10:11], v21 offset1:1
	ds_load_2addr_b32 v[12:13], v21 offset0:2 offset1:3
	ds_load_2addr_b32 v[28:29], v21 offset0:4 offset1:5
	;; [unrolled: 1-line block ×3, first 2 shown]
	s_waitcnt lgkmcnt(3)
	v_add_f32_e32 v10, v10, v11
	s_waitcnt lgkmcnt(2)
	s_delay_alu instid0(VALU_DEP_1) | instskip(NEXT) | instid1(VALU_DEP_1)
	v_add_f32_e32 v10, v10, v12
	v_add_f32_e32 v10, v10, v13
	s_waitcnt lgkmcnt(1)
	s_delay_alu instid0(VALU_DEP_1) | instskip(NEXT) | instid1(VALU_DEP_1)
	v_add_f32_e32 v10, v10, v28
	v_add_f32_e32 v10, v10, v29
	s_waitcnt lgkmcnt(0)
	s_delay_alu instid0(VALU_DEP_1) | instskip(NEXT) | instid1(VALU_DEP_1)
	v_add_f32_e32 v10, v10, v30
	v_add_f32_e32 v19, v10, v31
.LBB75_48:
	s_or_b32 exec_lo, exec_lo, s5
	v_add_co_u32 v12, vcc_lo, 0xffffff80, v1
	v_add_co_ci_u32_e32 v13, vcc_lo, -1, v2, vcc_lo
	s_and_b32 vcc_lo, exec_lo, s17
	s_barrier
	buffer_gl0_inv
	s_cbranch_vccz .LBB75_61
; %bb.49:
	v_sub_co_u32 v10, vcc_lo, v1, v15
	s_ashr_i32 s11, s10, 31
	v_subrev_co_ci_u32_e32 v11, vcc_lo, 0, v2, vcc_lo
	s_lshl_b64 s[6:7], s[10:11], 2
	v_dual_mov_b32 v29, 0 :: v_dual_mov_b32 v28, 0
	v_add_co_u32 v10, vcc_lo, v10, s6
	s_delay_alu instid0(VALU_DEP_3) | instskip(SKIP_1) | instid1(VALU_DEP_2)
	v_add_co_ci_u32_e32 v11, vcc_lo, s7, v11, vcc_lo
	s_sub_i32 s8, s10, 32
	v_add_co_u32 v10, vcc_lo, 0xffffff7c, v10
	s_delay_alu instid0(VALU_DEP_2) | instskip(SKIP_2) | instid1(VALU_DEP_2)
	v_add_co_ci_u32_e32 v11, vcc_lo, -1, v11, vcc_lo
	v_cmp_gt_i32_e32 vcc_lo, s10, v0
	s_mov_b32 s11, exec_lo
	v_dual_cndmask_b32 v11, v11, v13 :: v_dual_cndmask_b32 v10, v10, v12
	v_cmpx_gt_i32_e64 s8, v3
	s_cbranch_execz .LBB75_51
; %bb.50:
	global_load_b32 v28, v[10:11], off
.LBB75_51:
	s_or_b32 exec_lo, exec_lo, s11
	v_add_nc_u32_e32 v26, 8, v3
	v_add_lshl_u32 v30, v16, v0, 2
	s_mov_b32 s11, exec_lo
	s_waitcnt vmcnt(0)
	ds_store_b32 v30, v28
	v_cmpx_gt_i32_e64 s8, v26
	s_cbranch_execz .LBB75_53
; %bb.52:
	s_lshl_b32 s24, s12, 3
	s_delay_alu instid0(SALU_CYCLE_1) | instskip(NEXT) | instid1(SALU_CYCLE_1)
	s_ashr_i32 s25, s24, 31
	s_lshl_b64 s[24:25], s[24:25], 2
	s_delay_alu instid0(SALU_CYCLE_1) | instskip(NEXT) | instid1(VALU_DEP_1)
	v_add_co_u32 v28, s5, v10, s24
	v_add_co_ci_u32_e64 v29, s5, s25, v11, s5
	global_load_b32 v29, v[28:29], off
.LBB75_53:
	s_or_b32 exec_lo, exec_lo, s11
	v_dual_mov_b32 v31, 0 :: v_dual_add_nc_u32 v28, 16, v3
	v_mov_b32_e32 v32, 0
	s_mov_b32 s11, exec_lo
	s_waitcnt vmcnt(0)
	ds_store_b32 v30, v29 offset:1056
	v_cmpx_gt_i32_e64 s8, v28
	s_cbranch_execz .LBB75_55
; %bb.54:
	s_lshl_b32 s24, s12, 4
	s_delay_alu instid0(SALU_CYCLE_1) | instskip(NEXT) | instid1(SALU_CYCLE_1)
	s_ashr_i32 s25, s24, 31
	s_lshl_b64 s[24:25], s[24:25], 2
	s_delay_alu instid0(SALU_CYCLE_1) | instskip(NEXT) | instid1(VALU_DEP_1)
	v_add_co_u32 v32, s5, v10, s24
	v_add_co_ci_u32_e64 v33, s5, s25, v11, s5
	global_load_b32 v32, v[32:33], off
.LBB75_55:
	s_or_b32 exec_lo, exec_lo, s11
	v_add_nc_u32_e32 v29, 24, v3
	s_waitcnt vmcnt(0)
	ds_store_b32 v30, v32 offset:2112
	v_cmp_gt_i32_e64 s5, s8, v29
	s_delay_alu instid0(VALU_DEP_1)
	s_and_saveexec_b32 s8, s5
	s_cbranch_execz .LBB75_57
; %bb.56:
	s_mul_i32 s24, s12, 24
	s_delay_alu instid0(SALU_CYCLE_1) | instskip(NEXT) | instid1(SALU_CYCLE_1)
	s_ashr_i32 s25, s24, 31
	s_lshl_b64 s[24:25], s[24:25], 2
	s_delay_alu instid0(SALU_CYCLE_1) | instskip(NEXT) | instid1(VALU_DEP_1)
	v_add_co_u32 v31, s5, v10, s24
	v_add_co_ci_u32_e64 v32, s5, s25, v11, s5
	global_load_b32 v31, v[31:32], off
.LBB75_57:
	s_or_b32 exec_lo, exec_lo, s8
	v_add_co_u32 v10, s5, v10, v15
	s_delay_alu instid0(VALU_DEP_1) | instskip(SKIP_3) | instid1(VALU_DEP_1)
	v_add_co_ci_u32_e64 v11, s5, 0, v11, s5
	s_waitcnt vmcnt(0)
	ds_store_b32 v30, v31 offset:3168
	v_sub_co_u32 v10, s5, v10, s6
	v_subrev_co_ci_u32_e64 v11, s5, s7, v11, s5
	s_delay_alu instid0(VALU_DEP_2) | instskip(NEXT) | instid1(VALU_DEP_1)
	v_add_co_u32 v10, s5, v10, 4
	v_add_co_ci_u32_e64 v11, s5, 0, v11, s5
	s_delay_alu instid0(VALU_DEP_1)
	v_dual_cndmask_b32 v10, v10, v12 :: v_dual_cndmask_b32 v11, v11, v13
	s_branch .LBB75_63
.LBB75_58:
	ds_load_b32 v10, v24
	s_waitcnt lgkmcnt(0)
	ds_store_b32 v26, v10
	s_or_b32 exec_lo, exec_lo, s8
	s_and_saveexec_b32 s4, s5
	s_cbranch_execz .LBB75_43
.LBB75_59:
	ds_load_b32 v10, v25
	s_waitcnt lgkmcnt(0)
	ds_store_b32 v26, v10 offset:4
	s_or_b32 exec_lo, exec_lo, s4
	s_and_saveexec_b32 s4, s6
	s_cbranch_execz .LBB75_44
.LBB75_60:
	ds_load_b32 v10, v25 offset:132
	s_waitcnt lgkmcnt(0)
	ds_store_b32 v26, v10 offset:8
	s_or_b32 exec_lo, exec_lo, s4
	v_add_nc_u32_e32 v27, 0x11c0, v27
	s_and_saveexec_b32 s4, s7
	s_cbranch_execnz .LBB75_45
	s_branch .LBB75_46
.LBB75_61:
                                        ; implicit-def: $vgpr10_vgpr11
                                        ; implicit-def: $vgpr26
                                        ; implicit-def: $vgpr28
                                        ; implicit-def: $vgpr29
	s_cbranch_execz .LBB75_63
; %bb.62:
	s_lshl_b32 s6, s12, 3
	s_ashr_i32 s13, s12, 31
	s_ashr_i32 s7, s6, 31
	v_add_lshl_u32 v0, v16, v0, 2
	s_lshl_b64 s[6:7], s[6:7], 2
	v_add_nc_u32_e32 v26, 8, v3
	v_add_co_u32 v10, vcc_lo, v1, s6
	v_add_co_ci_u32_e32 v11, vcc_lo, s7, v2, vcc_lo
	s_lshl_b64 s[6:7], s[12:13], 5
	s_delay_alu instid0(VALU_DEP_2) | instid1(SALU_CYCLE_1)
	v_add_co_u32 v28, vcc_lo, v10, s6
	s_delay_alu instid0(VALU_DEP_2) | instskip(NEXT) | instid1(VALU_DEP_2)
	v_add_co_ci_u32_e32 v29, vcc_lo, s7, v11, vcc_lo
	v_add_co_u32 v30, vcc_lo, v28, s6
	s_delay_alu instid0(VALU_DEP_2)
	v_add_co_ci_u32_e32 v31, vcc_lo, s7, v29, vcc_lo
	s_clause 0x3
	global_load_b32 v1, v[1:2], off offset:-128
	global_load_b32 v2, v[10:11], off offset:-128
	;; [unrolled: 1-line block ×4, first 2 shown]
	v_dual_mov_b32 v10, v12 :: v_dual_add_nc_u32 v29, 24, v3
	v_dual_mov_b32 v11, v13 :: v_dual_add_nc_u32 v28, 16, v3
	s_waitcnt vmcnt(3)
	ds_store_b32 v0, v1
	s_waitcnt vmcnt(2)
	ds_store_b32 v0, v2 offset:1056
	s_waitcnt vmcnt(1)
	ds_store_b32 v0, v15 offset:2112
	;; [unrolled: 2-line block ×3, first 2 shown]
.LBB75_63:
	s_waitcnt lgkmcnt(0)
	s_barrier
	buffer_gl0_inv
	ds_load_b32 v12, v22
	ds_load_b32 v13, v20 offset:4544
	v_add_lshl_u32 v0, v26, v17, 2
	v_lshlrev_b32_e32 v1, 2, v26
	ds_load_b32 v20, v0
	ds_load_b32 v26, v1 offset:4544
	v_add_lshl_u32 v2, v28, v17, 2
	v_lshlrev_b32_e32 v3, 2, v28
	v_add_lshl_u32 v0, v29, v17, 2
	v_lshlrev_b32_e32 v1, 2, v29
	ds_load_b32 v17, v2
	ds_load_b32 v28, v3 offset:4544
	ds_load_b32 v29, v0
	ds_load_b32 v30, v1 offset:4544
	ds_load_b32 v15, v24
	ds_load_b128 v[0:3], v27 offset:128
	s_waitcnt lgkmcnt(8)
	v_fma_f32 v24, v12, v13, 0
	ds_load_2addr_b32 v[12:13], v25 offset1:33
	ds_load_b32 v16, v23
	s_waitcnt lgkmcnt(0)
	s_barrier
	buffer_gl0_inv
	v_fmac_f32_e32 v24, v20, v26
	s_delay_alu instid0(VALU_DEP_1) | instskip(NEXT) | instid1(VALU_DEP_1)
	v_fmac_f32_e32 v24, v17, v28
	v_fmac_f32_e32 v24, v29, v30
	ds_store_b32 v22, v24
	s_waitcnt lgkmcnt(0)
	s_barrier
	buffer_gl0_inv
	s_and_saveexec_b32 s5, s4
	s_cbranch_execz .LBB75_65
; %bb.64:
	ds_load_2addr_b32 v[23:24], v21 offset1:1
	ds_load_2addr_b32 v[25:26], v21 offset0:2 offset1:3
	ds_load_2addr_b32 v[27:28], v21 offset0:4 offset1:5
	;; [unrolled: 1-line block ×3, first 2 shown]
	s_waitcnt lgkmcnt(3)
	v_add_f32_e32 v17, v19, v23
	s_delay_alu instid0(VALU_DEP_1) | instskip(SKIP_1) | instid1(VALU_DEP_1)
	v_add_f32_e32 v17, v17, v24
	s_waitcnt lgkmcnt(2)
	v_add_f32_e32 v17, v17, v25
	s_delay_alu instid0(VALU_DEP_1) | instskip(SKIP_1) | instid1(VALU_DEP_1)
	v_add_f32_e32 v17, v17, v26
	;; [unrolled: 4-line block ×3, first 2 shown]
	s_waitcnt lgkmcnt(0)
	v_add_f32_e32 v17, v17, v29
	s_delay_alu instid0(VALU_DEP_1)
	v_add_f32_e32 v19, v17, v30
.LBB75_65:
	s_or_b32 exec_lo, exec_lo, s5
	v_fma_f32 v0, v15, v0, 0
	s_barrier
	buffer_gl0_inv
	v_fmac_f32_e32 v0, v12, v1
	s_delay_alu instid0(VALU_DEP_1) | instskip(NEXT) | instid1(VALU_DEP_1)
	v_fmac_f32_e32 v0, v13, v2
	v_fmac_f32_e32 v0, v16, v3
	ds_store_b32 v22, v0
	s_waitcnt lgkmcnt(0)
	s_barrier
	buffer_gl0_inv
	s_and_saveexec_b32 s4, s3
	s_cbranch_execz .LBB75_67
; %bb.66:
	ds_load_2addr_b32 v[0:1], v21 offset1:1
	ds_load_2addr_b32 v[2:3], v21 offset0:2 offset1:3
	ds_load_2addr_b32 v[12:13], v21 offset0:4 offset1:5
	;; [unrolled: 1-line block ×3, first 2 shown]
	s_waitcnt lgkmcnt(3)
	v_add_f32_e32 v0, v19, v0
	s_delay_alu instid0(VALU_DEP_1) | instskip(SKIP_1) | instid1(VALU_DEP_1)
	v_add_f32_e32 v0, v0, v1
	s_waitcnt lgkmcnt(2)
	v_add_f32_e32 v0, v0, v2
	s_delay_alu instid0(VALU_DEP_1) | instskip(SKIP_1) | instid1(VALU_DEP_1)
	v_add_f32_e32 v0, v0, v3
	s_waitcnt lgkmcnt(1)
	v_add_f32_e32 v0, v0, v12
	s_delay_alu instid0(VALU_DEP_1) | instskip(SKIP_1) | instid1(VALU_DEP_1)
	v_add_f32_e32 v0, v0, v13
	s_waitcnt lgkmcnt(0)
	v_add_f32_e32 v0, v0, v15
	s_delay_alu instid0(VALU_DEP_1)
	v_add_f32_e32 v19, v0, v16
.LBB75_67:
	s_or_b32 exec_lo, exec_lo, s4
	s_load_b64 s[0:1], s[0:1], 0x60
	s_mul_hi_u32 s3, s18, s15
	s_mul_i32 s9, s9, s15
	s_mul_i32 s4, s18, s15
	s_add_i32 s3, s3, s9
	s_mul_hi_u32 s5, s4, s28
	s_mul_i32 s3, s3, s28
	s_mul_i32 s4, s4, s28
	s_add_i32 s5, s5, s3
	s_mul_hi_i32 s7, s18, s14
	s_lshl_b64 s[4:5], s[4:5], 2
	s_mul_i32 s6, s18, s14
	v_lshlrev_b32_e32 v3, 2, v5
	s_waitcnt lgkmcnt(0)
	s_barrier
	buffer_gl0_inv
	s_add_u32 s3, s0, s4
	s_addc_u32 s4, s1, s5
	s_lshl_b64 s[0:1], s[6:7], 2
	s_delay_alu instid0(SALU_CYCLE_1) | instskip(SKIP_2) | instid1(SALU_CYCLE_1)
	s_add_u32 s3, s3, s0
	s_addc_u32 s11, s4, s1
	s_add_i32 s1, s14, 1
	s_cmp_ge_u32 s1, s28
	s_cbranch_scc1 .LBB75_124
; %bb.68:
	s_mul_i32 s4, s16, s19
	v_lshlrev_b32_e32 v20, 2, v18
	s_ashr_i32 s5, s4, 31
	v_and_b32_e32 v0, 15, v5
	s_lshl_b64 s[4:5], s[4:5], 2
	v_or_b32_e32 v13, 60, v3
	v_mad_u64_u32 v[1:2], null, v20, s12, v[5:6]
	v_sub_co_u32 v21, vcc_lo, v6, s4
	v_subrev_co_ci_u32_e32 v22, vcc_lo, s5, v7, vcc_lo
	v_and_b32_e32 v7, 48, v5
	v_lshrrev_b32_e32 v6, 4, v14
	v_add_co_u32 v23, vcc_lo, v10, s20
	v_ashrrev_i32_e32 v2, 31, v1
	s_delay_alu instid0(VALU_DEP_4)
	v_lshlrev_b32_e32 v12, 2, v7
	v_and_b32_e32 v15, 0x1fff0, v14
	v_add_nc_u32_e32 v7, s16, v7
	v_add_co_ci_u32_e32 v24, vcc_lo, s21, v11, vcc_lo
	v_sub_co_u32 v47, vcc_lo, 0, v8
	v_cmp_gt_u32_e64 s0, 64, v14
	v_mad_u32_u24 v27, 0x10c, v0, v12
	v_mad_u32_u24 v28, 0x10c, v0, v13
	;; [unrolled: 1-line block ×3, first 2 shown]
	v_mul_i32_i24_e32 v14, -12, v6
	v_add3_u32 v0, v7, v0, 64
	v_lshlrev_b64 v[6:7], 2, v[1:2]
	v_sub_co_ci_u32_e32 v48, vcc_lo, 0, v9, vcc_lo
	v_add_co_u32 v12, vcc_lo, s22, v1
	v_add_co_ci_u32_e32 v13, vcc_lo, s23, v2, vcc_lo
	s_delay_alu instid0(VALU_DEP_4) | instskip(SKIP_1) | instid1(VALU_DEP_3)
	v_sub_co_u32 v49, vcc_lo, v6, v8
	v_sub_co_ci_u32_e32 v50, vcc_lo, v7, v9, vcc_lo
	v_lshlrev_b64 v[6:7], 2, v[12:13]
	s_lshl_b32 s8, s12, 4
	s_lshl_b32 s31, s19, 6
	s_ashr_i32 s13, s12, 31
	s_mul_i32 s19, s19, s1
	s_ashr_i32 s9, s8, 31
	s_lshl_b32 s24, s12, 1
	s_mul_i32 s34, s12, 3
	s_mul_i32 s36, s12, 12
	s_lshl_b32 s4, s19, 6
	s_lshl_b64 s[18:19], s[12:13], 3
	s_add_i32 s15, s28, -2
	s_ashr_i32 s25, s24, 31
	s_ashr_i32 s35, s34, 31
	s_lshl_b64 s[16:17], s[12:13], 2
	s_lshl_b64 s[6:7], s[8:9], 4
	s_mul_hi_i32 s33, s12, 12
	v_add_co_u32 v8, vcc_lo, s36, v6
	s_add_u32 s1, s18, s20
	v_add_co_ci_u32_e32 v9, vcc_lo, s33, v7, vcc_lo
	s_addc_u32 s5, s19, s21
	v_add_co_u32 v51, vcc_lo, v10, s1
	v_add_co_ci_u32_e32 v52, vcc_lo, s5, v11, vcc_lo
	v_add_co_u32 v53, vcc_lo, v10, v8
	s_add_u32 s37, s16, s20
	v_add_co_ci_u32_e32 v54, vcc_lo, v11, v9, vcc_lo
	s_addc_u32 s38, s17, s21
	s_lshl_b64 s[26:27], s[24:25], 2
	v_add_co_u32 v55, vcc_lo, v10, s37
	s_add_u32 s39, s20, s26
	v_add_co_ci_u32_e32 v56, vcc_lo, s38, v11, vcc_lo
	s_addc_u32 s40, s21, s27
	s_lshl_b64 s[24:25], s[34:35], 2
	;; [unrolled: 5-line block ×3, first 2 shown]
	v_add_co_u32 v59, vcc_lo, v10, s39
	s_add_u32 s39, s20, s34
	v_add_co_ci_u32_e32 v60, vcc_lo, s40, v11, vcc_lo
	s_addc_u32 s40, s21, s35
	v_add_co_u32 v61, vcc_lo, v10, s39
	s_add_u32 s37, s37, s34
	v_add_co_ci_u32_e32 v62, vcc_lo, s40, v11, vcc_lo
	s_addc_u32 s38, s38, s35
	;; [unrolled: 4-line block ×4, first 2 shown]
	s_add_u32 s34, s1, s34
	s_addc_u32 s35, s5, s35
	s_add_u32 s22, s22, s8
	s_addc_u32 s23, s23, s9
	v_add_co_u32 v1, vcc_lo, s22, v1
	v_add_co_ci_u32_e32 v2, vcc_lo, s23, v2, vcc_lo
	v_add_co_u32 v67, vcc_lo, v10, s37
	v_add_co_ci_u32_e32 v68, vcc_lo, s38, v11, vcc_lo
	s_delay_alu instid0(VALU_DEP_3) | instskip(SKIP_3) | instid1(VALU_DEP_3)
	v_lshlrev_b64 v[1:2], 2, v[1:2]
	v_add_co_u32 v69, vcc_lo, v10, s34
	v_add_co_ci_u32_e32 v70, vcc_lo, s35, v11, vcc_lo
	s_lshl_b64 s[22:23], s[8:9], 3
	v_add_co_u32 v1, vcc_lo, s36, v1
	s_delay_alu instid0(VALU_DEP_4) | instskip(SKIP_1) | instid1(VALU_DEP_2)
	v_add_co_ci_u32_e32 v2, vcc_lo, s33, v2, vcc_lo
	s_add_u32 s20, s22, s20
	v_add_co_u32 v71, vcc_lo, v10, v1
	s_delay_alu instid0(VALU_DEP_2)
	v_add_co_ci_u32_e32 v72, vcc_lo, v11, v2, vcc_lo
	s_addc_u32 s21, s23, s21
	v_add_co_u32 v73, vcc_lo, v10, s20
	s_add_u32 s34, s20, s16
	v_add_co_ci_u32_e32 v74, vcc_lo, s21, v11, vcc_lo
	s_addc_u32 s35, s21, s17
	v_add_co_u32 v75, vcc_lo, v10, s34
	s_add_u32 s34, s20, s26
	;; [unrolled: 4-line block ×5, first 2 shown]
	v_add_co_ci_u32_e32 v82, vcc_lo, s5, v11, vcc_lo
	s_addc_u32 s5, s33, s23
	v_add_co_u32 v8, vcc_lo, s1, v6
	v_mad_i64_i32 v[1:2], null, s8, 12, v[6:7]
	v_add_co_ci_u32_e32 v9, vcc_lo, s5, v7, vcc_lo
	s_delay_alu instid0(VALU_DEP_3) | instskip(SKIP_1) | instid1(VALU_DEP_2)
	v_add_co_u32 v83, vcc_lo, v10, v8
	s_mul_i32 s1, s12, 0xc0
	v_add_co_ci_u32_e32 v84, vcc_lo, v11, v9, vcc_lo
	s_delay_alu instid0(VALU_DEP_4)
	v_add_co_u32 v85, vcc_lo, v10, v1
	v_add_co_ci_u32_e32 v86, vcc_lo, v11, v2, vcc_lo
	v_add_co_u32 v12, vcc_lo, v1, s16
	v_add_co_ci_u32_e32 v13, vcc_lo, s17, v2, vcc_lo
	;; [unrolled: 2-line block ×3, first 2 shown]
	s_mul_hi_i32 s5, s8, 12
	v_add_co_u32 v87, vcc_lo, v10, v12
	s_add_u32 s1, s1, s18
	s_addc_u32 s5, s5, s19
	v_add_co_ci_u32_e32 v88, vcc_lo, v11, v13, vcc_lo
	s_add_u32 s8, s12, s8
	v_add_co_u32 v89, vcc_lo, v10, v15
	v_mad_u64_u32 v[8:9], null, s8, 12, v[6:7]
	v_add_co_ci_u32_e32 v90, vcc_lo, v11, v16, vcc_lo
	v_add_co_u32 v12, vcc_lo, v1, s24
	v_add_co_ci_u32_e32 v13, vcc_lo, s25, v2, vcc_lo
	s_addc_u32 s8, s13, s9
	s_delay_alu instid0(VALU_DEP_2) | instskip(SKIP_1) | instid1(VALU_DEP_3)
	v_add_co_u32 v91, vcc_lo, v10, v12
	v_mad_u64_u32 v[1:2], null, s8, 12, v[9:10]
	v_add_co_ci_u32_e32 v92, vcc_lo, v11, v13, vcc_lo
	v_add_co_u32 v2, vcc_lo, s1, v6
	v_add_co_ci_u32_e32 v6, vcc_lo, s5, v7, vcc_lo
	v_add_nc_u32_e32 v25, 0x10c0, v3
	s_delay_alu instid0(VALU_DEP_3) | instskip(NEXT) | instid1(VALU_DEP_3)
	v_add_co_u32 v93, vcc_lo, v10, v2
	v_add_co_ci_u32_e32 v94, vcc_lo, v11, v6, vcc_lo
	v_add_co_u32 v95, vcc_lo, v10, v8
	v_add_nc_u32_e32 v26, 0x11c0, v3
	v_or_b32_e32 v30, 1, v20
	v_or_b32_e32 v31, 2, v20
	;; [unrolled: 1-line block ×3, first 2 shown]
	v_lshl_add_u32 v33, v18, 4, 0x10c0
	v_mad_u32_u24 v34, 0x430, v18, v3
	v_add_nc_u32_e32 v35, 16, v20
	v_add_nc_u32_e32 v36, 17, v20
	;; [unrolled: 1-line block ×12, first 2 shown]
	v_add_co_ci_u32_e32 v96, vcc_lo, v11, v1, vcc_lo
	v_add_nc_u32_e32 v97, v29, v14
	s_cmp_eq_u32 s15, s14
	s_cselect_b32 s8, s29, 0
	s_and_saveexec_b32 s1, s2
	s_cbranch_execz .LBB75_72
.LBB75_69:
	v_cmp_gt_i32_e32 vcc_lo, s8, v5
	s_cmp_eq_u32 s8, 0
	v_mov_b32_e32 v1, 0
	s_cselect_b32 s5, -1, 0
	s_delay_alu instid0(SALU_CYCLE_1) | instskip(NEXT) | instid1(SALU_CYCLE_1)
	s_or_b32 s5, s5, vcc_lo
	s_and_saveexec_b32 s9, s5
	s_cbranch_execz .LBB75_71
; %bb.70:
	s_ashr_i32 s5, s4, 31
	s_delay_alu instid0(SALU_CYCLE_1) | instskip(NEXT) | instid1(SALU_CYCLE_1)
	s_lshl_b64 s[12:13], s[4:5], 2
	v_add_co_u32 v1, vcc_lo, v21, s12
	v_add_co_ci_u32_e32 v2, vcc_lo, s13, v22, vcc_lo
	global_load_b32 v1, v[1:2], off
.LBB75_71:
	s_or_b32 exec_lo, exec_lo, s9
	s_waitcnt vmcnt(0)
	ds_store_b32 v25, v1
.LBB75_72:                              ; =>This Inner Loop Header: Depth=1
	s_or_b32 exec_lo, exec_lo, s1
	s_cmp_eq_u32 s8, 0
	v_add_co_u32 v1, vcc_lo, v23, v49
	s_cselect_b32 s5, -1, 0
	s_cmp_lg_u32 s8, 0
	v_add_co_ci_u32_e32 v2, vcc_lo, v24, v50, vcc_lo
	s_cselect_b32 s1, -1, 0
	s_waitcnt lgkmcnt(0)
	s_and_b32 vcc_lo, exec_lo, s1
	s_barrier
	buffer_gl0_inv
	s_cbranch_vccz .LBB75_120
; %bb.73:                               ;   in Loop: Header=BB75_72 Depth=1
	v_dual_mov_b32 v98, 0 :: v_dual_mov_b32 v101, 0
	s_mov_b32 s9, exec_lo
	v_cmpx_gt_i32_e64 s8, v20
	s_cbranch_execz .LBB75_75
; %bb.74:                               ;   in Loop: Header=BB75_72 Depth=1
	global_load_b32 v101, v[1:2], off
.LBB75_75:                              ;   in Loop: Header=BB75_72 Depth=1
	s_or_b32 exec_lo, exec_lo, s9
	s_delay_alu instid0(SALU_CYCLE_1)
	s_mov_b32 s9, exec_lo
	v_cmpx_gt_i32_e64 s8, v30
	s_cbranch_execz .LBB75_77
; %bb.76:                               ;   in Loop: Header=BB75_72 Depth=1
	v_add_co_u32 v6, vcc_lo, v55, v49
	v_add_co_ci_u32_e32 v7, vcc_lo, v56, v50, vcc_lo
	global_load_b32 v98, v[6:7], off
.LBB75_77:                              ;   in Loop: Header=BB75_72 Depth=1
	s_or_b32 exec_lo, exec_lo, s9
	v_dual_mov_b32 v99, 0 :: v_dual_mov_b32 v100, 0
	s_mov_b32 s9, exec_lo
	v_cmpx_gt_i32_e64 s8, v31
	s_cbranch_execz .LBB75_79
; %bb.78:                               ;   in Loop: Header=BB75_72 Depth=1
	v_add_co_u32 v6, vcc_lo, v57, v49
	v_add_co_ci_u32_e32 v7, vcc_lo, v58, v50, vcc_lo
	global_load_b32 v100, v[6:7], off
.LBB75_79:                              ;   in Loop: Header=BB75_72 Depth=1
	s_or_b32 exec_lo, exec_lo, s9
	s_delay_alu instid0(SALU_CYCLE_1)
	s_mov_b32 s9, exec_lo
	v_cmpx_gt_i32_e64 s8, v32
	s_cbranch_execz .LBB75_81
; %bb.80:                               ;   in Loop: Header=BB75_72 Depth=1
	v_add_co_u32 v6, vcc_lo, v59, v49
	v_add_co_ci_u32_e32 v7, vcc_lo, v60, v50, vcc_lo
	global_load_b32 v99, v[6:7], off
.LBB75_81:                              ;   in Loop: Header=BB75_72 Depth=1
	s_or_b32 exec_lo, exec_lo, s9
	s_branch .LBB75_83
.LBB75_82:                              ;   in Loop: Header=BB75_72 Depth=1
	v_add_co_u32 v6, vcc_lo, v55, v49
	v_add_co_ci_u32_e32 v7, vcc_lo, v56, v50, vcc_lo
	v_add_co_u32 v8, vcc_lo, v51, v49
	v_add_co_ci_u32_e32 v9, vcc_lo, v52, v50, vcc_lo
	;; [unrolled: 2-line block ×3, first 2 shown]
	global_load_b32 v101, v[1:2], off
	global_load_b32 v98, v[6:7], off
	;; [unrolled: 1-line block ×4, first 2 shown]
.LBB75_83:                              ;   in Loop: Header=BB75_72 Depth=1
	ds_load_b32 v1, v26
	ds_load_b32 v105, v33
	v_add_co_u32 v8, vcc_lo, v61, v49
	v_cndmask_b32_e64 v16, 0, 1, s1
	v_add_co_ci_u32_e32 v9, vcc_lo, v62, v50, vcc_lo
	s_and_not1_b32 vcc_lo, exec_lo, s1
	s_waitcnt vmcnt(0) lgkmcnt(1)
	v_mul_f32_e32 v2, v101, v1
	v_mul_f32_e32 v6, v98, v1
	;; [unrolled: 1-line block ×4, first 2 shown]
	ds_store_b32 v34, v2
	ds_load_b32 v104, v33 offset:4
	ds_store_b32 v34, v6 offset:268
	ds_load_b32 v103, v33 offset:8
	ds_store_b32 v34, v7 offset:536
	;; [unrolled: 2-line block ×3, first 2 shown]
	s_waitcnt lgkmcnt(0)
	s_barrier
	buffer_gl0_inv
	ds_load_2addr_b32 v[6:7], v29 offset1:1
	ds_load_2addr_b32 v[1:2], v29 offset0:2 offset1:3
	s_waitcnt lgkmcnt(0)
	s_barrier
	buffer_gl0_inv
	s_cbranch_vccnz .LBB75_121
; %bb.84:                               ;   in Loop: Header=BB75_72 Depth=1
	v_dual_mov_b32 v106, 0 :: v_dual_mov_b32 v107, 0
	s_mov_b32 s1, exec_lo
	v_cmpx_gt_i32_e64 s8, v35
	s_cbranch_execz .LBB75_86
; %bb.85:                               ;   in Loop: Header=BB75_72 Depth=1
	global_load_b32 v107, v[8:9], off
.LBB75_86:                              ;   in Loop: Header=BB75_72 Depth=1
	s_or_b32 exec_lo, exec_lo, s1
	s_delay_alu instid0(SALU_CYCLE_1)
	s_mov_b32 s1, exec_lo
	v_cmpx_gt_i32_e64 s8, v36
	s_cbranch_execz .LBB75_88
; %bb.87:                               ;   in Loop: Header=BB75_72 Depth=1
	v_add_co_u32 v10, vcc_lo, v63, v49
	v_add_co_ci_u32_e32 v11, vcc_lo, v64, v50, vcc_lo
	global_load_b32 v106, v[10:11], off
.LBB75_88:                              ;   in Loop: Header=BB75_72 Depth=1
	s_or_b32 exec_lo, exec_lo, s1
	v_dual_mov_b32 v108, 0 :: v_dual_mov_b32 v109, 0
	s_mov_b32 s1, exec_lo
	v_cmpx_gt_i32_e64 s8, v37
	s_cbranch_execz .LBB75_90
; %bb.89:                               ;   in Loop: Header=BB75_72 Depth=1
	v_add_co_u32 v10, vcc_lo, v65, v49
	v_add_co_ci_u32_e32 v11, vcc_lo, v66, v50, vcc_lo
	global_load_b32 v109, v[10:11], off
.LBB75_90:                              ;   in Loop: Header=BB75_72 Depth=1
	s_or_b32 exec_lo, exec_lo, s1
	s_delay_alu instid0(SALU_CYCLE_1)
	s_mov_b32 s1, exec_lo
	v_cmpx_gt_i32_e64 s8, v38
	s_cbranch_execz .LBB75_92
; %bb.91:                               ;   in Loop: Header=BB75_72 Depth=1
	v_add_co_u32 v10, vcc_lo, v67, v49
	v_add_co_ci_u32_e32 v11, vcc_lo, v68, v50, vcc_lo
	global_load_b32 v108, v[10:11], off
.LBB75_92:                              ;   in Loop: Header=BB75_72 Depth=1
	s_or_b32 exec_lo, exec_lo, s1
	s_branch .LBB75_94
.LBB75_93:                              ;   in Loop: Header=BB75_72 Depth=1
	v_add_co_u32 v10, vcc_lo, v63, v49
	v_add_co_ci_u32_e32 v11, vcc_lo, v64, v50, vcc_lo
	v_add_co_u32 v12, vcc_lo, v69, v49
	v_add_co_ci_u32_e32 v13, vcc_lo, v70, v50, vcc_lo
	;; [unrolled: 2-line block ×3, first 2 shown]
	global_load_b32 v107, v[8:9], off
	global_load_b32 v106, v[10:11], off
	;; [unrolled: 1-line block ×4, first 2 shown]
.LBB75_94:                              ;   in Loop: Header=BB75_72 Depth=1
	ds_load_b32 v8, v26
	ds_load_b32 v110, v33 offset:64
	v_cmp_ne_u32_e32 vcc_lo, 1, v16
	v_add_co_u32 v12, s1, v73, v49
	s_delay_alu instid0(VALU_DEP_1)
	v_add_co_ci_u32_e64 v13, s1, v74, v50, s1
	s_and_b32 vcc_lo, exec_lo, vcc_lo
	s_waitcnt vmcnt(0) lgkmcnt(1)
	v_mul_f32_e32 v9, v107, v8
	v_mul_f32_e32 v10, v106, v8
	;; [unrolled: 1-line block ×4, first 2 shown]
	ds_store_b32 v34, v9
	ds_load_b32 v113, v33 offset:68
	ds_store_b32 v34, v10 offset:268
	ds_load_b32 v112, v33 offset:72
	ds_store_b32 v34, v11 offset:536
	;; [unrolled: 2-line block ×3, first 2 shown]
	s_waitcnt lgkmcnt(0)
	s_barrier
	buffer_gl0_inv
	ds_load_2addr_b32 v[10:11], v29 offset1:1
	ds_load_2addr_b32 v[8:9], v29 offset0:2 offset1:3
	s_waitcnt lgkmcnt(0)
	s_barrier
	buffer_gl0_inv
	s_cbranch_vccnz .LBB75_122
; %bb.95:                               ;   in Loop: Header=BB75_72 Depth=1
	v_dual_mov_b32 v114, 0 :: v_dual_mov_b32 v115, 0
	s_mov_b32 s1, exec_lo
	v_cmpx_gt_i32_e64 s8, v39
	s_cbranch_execz .LBB75_97
; %bb.96:                               ;   in Loop: Header=BB75_72 Depth=1
	global_load_b32 v115, v[12:13], off
.LBB75_97:                              ;   in Loop: Header=BB75_72 Depth=1
	s_or_b32 exec_lo, exec_lo, s1
	s_delay_alu instid0(SALU_CYCLE_1)
	s_mov_b32 s1, exec_lo
	v_cmpx_gt_i32_e64 s8, v40
	s_cbranch_execz .LBB75_99
; %bb.98:                               ;   in Loop: Header=BB75_72 Depth=1
	v_add_co_u32 v14, vcc_lo, v75, v49
	v_add_co_ci_u32_e32 v15, vcc_lo, v76, v50, vcc_lo
	global_load_b32 v114, v[14:15], off
.LBB75_99:                              ;   in Loop: Header=BB75_72 Depth=1
	s_or_b32 exec_lo, exec_lo, s1
	v_dual_mov_b32 v116, 0 :: v_dual_mov_b32 v117, 0
	s_mov_b32 s1, exec_lo
	v_cmpx_gt_i32_e64 s8, v41
	s_cbranch_execz .LBB75_101
; %bb.100:                              ;   in Loop: Header=BB75_72 Depth=1
	v_add_co_u32 v14, vcc_lo, v77, v49
	v_add_co_ci_u32_e32 v15, vcc_lo, v78, v50, vcc_lo
	global_load_b32 v117, v[14:15], off
.LBB75_101:                             ;   in Loop: Header=BB75_72 Depth=1
	s_or_b32 exec_lo, exec_lo, s1
	s_delay_alu instid0(SALU_CYCLE_1)
	s_mov_b32 s1, exec_lo
	v_cmpx_gt_i32_e64 s8, v42
	s_cbranch_execz .LBB75_103
; %bb.102:                              ;   in Loop: Header=BB75_72 Depth=1
	v_add_co_u32 v14, vcc_lo, v79, v49
	v_add_co_ci_u32_e32 v15, vcc_lo, v80, v50, vcc_lo
	global_load_b32 v116, v[14:15], off
.LBB75_103:                             ;   in Loop: Header=BB75_72 Depth=1
	s_or_b32 exec_lo, exec_lo, s1
	s_branch .LBB75_105
.LBB75_104:                             ;   in Loop: Header=BB75_72 Depth=1
	v_add_co_u32 v14, vcc_lo, v75, v49
	v_add_co_ci_u32_e32 v15, vcc_lo, v76, v50, vcc_lo
	s_waitcnt vmcnt(0)
	v_add_co_u32 v116, vcc_lo, v81, v49
	v_add_co_ci_u32_e32 v117, vcc_lo, v82, v50, vcc_lo
	v_add_co_u32 v118, vcc_lo, v83, v47
	v_add_co_ci_u32_e32 v119, vcc_lo, v84, v48, vcc_lo
	global_load_b32 v115, v[12:13], off
	global_load_b32 v114, v[14:15], off
	;; [unrolled: 1-line block ×4, first 2 shown]
.LBB75_105:                             ;   in Loop: Header=BB75_72 Depth=1
	ds_load_b32 v12, v26
	ds_load_b32 v118, v33 offset:128
	v_cmp_ne_u32_e32 vcc_lo, 1, v16
	v_add_co_u32 v16, s1, v85, v47
	s_delay_alu instid0(VALU_DEP_1)
	v_add_co_ci_u32_e64 v17, s1, v86, v48, s1
	s_and_b32 vcc_lo, exec_lo, vcc_lo
	s_waitcnt vmcnt(0) lgkmcnt(1)
	v_mul_f32_e32 v13, v115, v12
	v_mul_f32_e32 v14, v114, v12
	;; [unrolled: 1-line block ×4, first 2 shown]
	ds_store_b32 v34, v13
	ds_load_b32 v121, v33 offset:132
	ds_store_b32 v34, v14 offset:268
	ds_load_b32 v120, v33 offset:136
	ds_store_b32 v34, v15 offset:536
	;; [unrolled: 2-line block ×3, first 2 shown]
	s_waitcnt lgkmcnt(0)
	s_barrier
	buffer_gl0_inv
	ds_load_2addr_b32 v[14:15], v29 offset1:1
	ds_load_2addr_b32 v[12:13], v29 offset0:2 offset1:3
	s_waitcnt lgkmcnt(0)
	s_barrier
	buffer_gl0_inv
	s_cbranch_vccnz .LBB75_123
; %bb.106:                              ;   in Loop: Header=BB75_72 Depth=1
	v_dual_mov_b32 v122, 0 :: v_dual_mov_b32 v123, 0
	s_mov_b32 s1, exec_lo
	v_cmpx_gt_i32_e64 s8, v43
	s_cbranch_execz .LBB75_108
; %bb.107:                              ;   in Loop: Header=BB75_72 Depth=1
	global_load_b32 v123, v[16:17], off
.LBB75_108:                             ;   in Loop: Header=BB75_72 Depth=1
	s_or_b32 exec_lo, exec_lo, s1
	s_delay_alu instid0(SALU_CYCLE_1)
	s_mov_b32 s1, exec_lo
	v_cmpx_gt_i32_e64 s8, v44
	s_cbranch_execz .LBB75_110
; %bb.109:                              ;   in Loop: Header=BB75_72 Depth=1
	v_add_co_u32 v124, vcc_lo, v87, v47
	v_add_co_ci_u32_e32 v125, vcc_lo, v88, v48, vcc_lo
	global_load_b32 v122, v[124:125], off
.LBB75_110:                             ;   in Loop: Header=BB75_72 Depth=1
	s_or_b32 exec_lo, exec_lo, s1
	v_dual_mov_b32 v124, 0 :: v_dual_mov_b32 v125, 0
	s_mov_b32 s1, exec_lo
	v_cmpx_gt_i32_e64 s8, v45
	s_cbranch_execz .LBB75_112
; %bb.111:                              ;   in Loop: Header=BB75_72 Depth=1
	v_add_co_u32 v125, vcc_lo, v89, v47
	v_add_co_ci_u32_e32 v126, vcc_lo, v90, v48, vcc_lo
	global_load_b32 v125, v[125:126], off
.LBB75_112:                             ;   in Loop: Header=BB75_72 Depth=1
	s_or_b32 exec_lo, exec_lo, s1
	s_delay_alu instid0(SALU_CYCLE_1)
	s_mov_b32 s1, exec_lo
	v_cmpx_gt_i32_e64 s8, v46
	s_cbranch_execz .LBB75_114
; %bb.113:                              ;   in Loop: Header=BB75_72 Depth=1
	v_add_co_u32 v126, vcc_lo, v91, v47
	v_add_co_ci_u32_e32 v127, vcc_lo, v92, v48, vcc_lo
	global_load_b32 v124, v[126:127], off
.LBB75_114:                             ;   in Loop: Header=BB75_72 Depth=1
	s_or_b32 exec_lo, exec_lo, s1
	s_branch .LBB75_116
.LBB75_115:                             ;   in Loop: Header=BB75_72 Depth=1
	s_waitcnt vmcnt(0)
	v_add_co_u32 v124, vcc_lo, v87, v47
	v_add_co_ci_u32_e32 v125, vcc_lo, v88, v48, vcc_lo
	v_add_co_u32 v126, vcc_lo, v93, v47
	v_add_co_ci_u32_e32 v127, vcc_lo, v94, v48, vcc_lo
	;; [unrolled: 2-line block ×3, first 2 shown]
	global_load_b32 v123, v[16:17], off
	global_load_b32 v122, v[124:125], off
	;; [unrolled: 1-line block ×4, first 2 shown]
.LBB75_116:                             ;   in Loop: Header=BB75_72 Depth=1
	ds_load_b32 v17, v26
	ds_load_b32 v16, v33 offset:192
	v_add_f32_e32 v10, 0, v10
	v_cmp_gt_i32_e32 vcc_lo, s8, v5
	v_add_f32_e32 v14, 0, v14
	s_delay_alu instid0(VALU_DEP_3) | instskip(SKIP_1) | instid1(VALU_DEP_2)
	v_add_f32_e32 v10, v10, v11
	s_or_b32 s1, s5, vcc_lo
	v_add_f32_e32 v14, v14, v15
	s_and_b32 s5, s0, s1
	s_delay_alu instid0(VALU_DEP_2) | instskip(NEXT) | instid1(VALU_DEP_2)
	v_add_f32_e32 v8, v10, v8
	v_dual_add_f32 v11, v14, v12 :: v_dual_add_f32 v6, 0, v6
	s_delay_alu instid0(VALU_DEP_2)
	v_add_f32_e32 v8, v8, v9
	s_waitcnt vmcnt(0) lgkmcnt(1)
	v_mul_f32_e32 v129, v125, v17
	v_mul_f32_e32 v126, v123, v17
	v_mul_f32_e32 v130, v124, v17
	v_add_f32_e32 v6, v6, v7
	ds_store_b32 v34, v126
	ds_load_b32 v127, v33 offset:196
	v_add_f32_e32 v1, v6, v1
	s_delay_alu instid0(VALU_DEP_1)
	v_dual_mul_f32 v128, v122, v17 :: v_dual_add_f32 v1, v1, v2
	ds_store_b32 v34, v128 offset:268
	ds_load_b32 v126, v33 offset:200
	ds_store_b32 v34, v129 offset:536
	ds_load_b32 v17, v33 offset:204
	ds_store_b32 v34, v130 offset:804
	s_waitcnt lgkmcnt(0)
	s_barrier
	buffer_gl0_inv
	ds_load_2addr_b32 v[128:129], v29 offset1:1
	ds_load_2addr_b32 v[130:131], v29 offset0:2 offset1:3
	s_waitcnt lgkmcnt(0)
	s_barrier
	buffer_gl0_inv
	v_add_f32_e32 v128, 0, v128
	s_delay_alu instid0(VALU_DEP_1) | instskip(NEXT) | instid1(VALU_DEP_1)
	v_add_f32_e32 v7, v128, v129
	v_add_f32_e32 v6, v7, v130
	s_delay_alu instid0(VALU_DEP_1)
	v_dual_add_f32 v7, v11, v13 :: v_dual_add_f32 v2, v6, v131
	ds_store_2addr_b32 v97, v1, v8 offset1:16
	ds_store_2addr_b32 v97, v7, v2 offset0:32 offset1:48
	s_waitcnt lgkmcnt(0)
	s_barrier
	buffer_gl0_inv
	s_and_saveexec_b32 s1, s5
	s_cbranch_execz .LBB75_118
; %bb.117:                              ;   in Loop: Header=BB75_72 Depth=1
	ds_load_2addr_b32 v[1:2], v27 offset1:1
	ds_load_2addr_b32 v[6:7], v27 offset0:2 offset1:3
	ds_load_2addr_b32 v[8:9], v27 offset0:4 offset1:5
	;; [unrolled: 1-line block ×3, first 2 shown]
	s_waitcnt lgkmcnt(3)
	v_add_f32_e32 v1, v1, v2
	s_waitcnt lgkmcnt(2)
	s_delay_alu instid0(VALU_DEP_1) | instskip(NEXT) | instid1(VALU_DEP_1)
	v_add_f32_e32 v1, v1, v6
	v_add_f32_e32 v1, v1, v7
	s_waitcnt lgkmcnt(1)
	s_delay_alu instid0(VALU_DEP_1) | instskip(SKIP_3) | instid1(VALU_DEP_1)
	v_add_f32_e32 v6, v1, v8
	ds_load_2addr_b32 v[1:2], v27 offset0:8 offset1:9
	v_add_f32_e32 v6, v6, v9
	s_waitcnt lgkmcnt(1)
	v_add_f32_e32 v8, v6, v10
	ds_load_2addr_b32 v[6:7], v27 offset0:10 offset1:11
	v_add_f32_e32 v10, v8, v11
	ds_load_2addr_b32 v[8:9], v27 offset0:12 offset1:13
	ds_load_b32 v11, v27 offset:56
	s_waitcnt lgkmcnt(3)
	v_add_f32_e32 v1, v10, v1
	s_delay_alu instid0(VALU_DEP_1) | instskip(SKIP_1) | instid1(VALU_DEP_1)
	v_add_f32_e32 v1, v1, v2
	s_waitcnt lgkmcnt(2)
	v_add_f32_e32 v1, v1, v6
	ds_load_b32 v6, v28
	v_add_f32_e32 v1, v1, v7
	s_waitcnt lgkmcnt(2)
	s_delay_alu instid0(VALU_DEP_1) | instskip(NEXT) | instid1(VALU_DEP_1)
	v_add_f32_e32 v1, v1, v8
	v_add_f32_e32 v2, v1, v9
	v_ashrrev_i32_e32 v1, 31, v0
	s_waitcnt lgkmcnt(1)
	s_delay_alu instid0(VALU_DEP_2) | instskip(NEXT) | instid1(VALU_DEP_2)
	v_add_f32_e32 v7, v2, v11
	v_lshlrev_b64 v[1:2], 2, v[0:1]
	s_waitcnt lgkmcnt(0)
	s_delay_alu instid0(VALU_DEP_2) | instskip(NEXT) | instid1(VALU_DEP_2)
	v_add_f32_e32 v6, v7, v6
	v_add_co_u32 v1, vcc_lo, s3, v1
	s_delay_alu instid0(VALU_DEP_3)
	v_add_co_ci_u32_e32 v2, vcc_lo, s11, v2, vcc_lo
	global_store_b32 v[1:2], v6, off
.LBB75_118:                             ;   in Loop: Header=BB75_72 Depth=1
	s_or_b32 exec_lo, exec_lo, s1
	v_dual_fmac_f32 v19, v101, v105 :: v_dual_add_nc_u32 v0, 64, v0
	v_add_co_u32 v23, vcc_lo, v23, s6
	v_add_co_ci_u32_e32 v24, vcc_lo, s7, v24, vcc_lo
	s_delay_alu instid0(VALU_DEP_3) | instskip(SKIP_2) | instid1(VALU_DEP_3)
	v_fmac_f32_e32 v19, v98, v104
	v_add_co_u32 v51, vcc_lo, v51, s6
	v_add_co_ci_u32_e32 v52, vcc_lo, s7, v52, vcc_lo
	v_fmac_f32_e32 v19, v100, v103
	v_add_co_u32 v53, vcc_lo, v53, s6
	v_add_co_ci_u32_e32 v54, vcc_lo, s7, v54, vcc_lo
	v_add_co_u32 v55, vcc_lo, v55, s6
	s_delay_alu instid0(VALU_DEP_4)
	v_fmac_f32_e32 v19, v99, v102
	v_add_co_ci_u32_e32 v56, vcc_lo, s7, v56, vcc_lo
	v_add_co_u32 v57, vcc_lo, v57, s6
	v_add_co_ci_u32_e32 v58, vcc_lo, s7, v58, vcc_lo
	v_add_co_u32 v59, vcc_lo, v59, s6
	v_fmac_f32_e32 v19, v107, v110
	v_add_co_ci_u32_e32 v60, vcc_lo, s7, v60, vcc_lo
	v_add_co_u32 v61, vcc_lo, v61, s6
	v_add_co_ci_u32_e32 v62, vcc_lo, s7, v62, vcc_lo
	s_delay_alu instid0(VALU_DEP_4) | instskip(SKIP_3) | instid1(VALU_DEP_4)
	v_fmac_f32_e32 v19, v106, v113
	v_add_co_u32 v63, vcc_lo, v63, s6
	v_add_co_ci_u32_e32 v64, vcc_lo, s7, v64, vcc_lo
	v_add_co_u32 v65, vcc_lo, v65, s6
	v_fmac_f32_e32 v19, v109, v112
	v_add_co_ci_u32_e32 v66, vcc_lo, s7, v66, vcc_lo
	v_add_co_u32 v67, vcc_lo, v67, s6
	v_add_co_ci_u32_e32 v68, vcc_lo, s7, v68, vcc_lo
	v_add_co_u32 v69, vcc_lo, v69, s6
	v_fmac_f32_e32 v19, v108, v111
	v_add_co_ci_u32_e32 v70, vcc_lo, s7, v70, vcc_lo
	v_add_co_u32 v71, vcc_lo, v71, s6
	v_add_co_ci_u32_e32 v72, vcc_lo, s7, v72, vcc_lo
	s_delay_alu instid0(VALU_DEP_4) | instskip(SKIP_3) | instid1(VALU_DEP_4)
	v_fmac_f32_e32 v19, v115, v118
	v_add_co_u32 v73, vcc_lo, v73, s6
	v_add_co_ci_u32_e32 v74, vcc_lo, s7, v74, vcc_lo
	v_add_co_u32 v75, vcc_lo, v75, s6
	;; [unrolled: 14-line block ×4, first 2 shown]
	v_fmac_f32_e32 v19, v124, v17
	v_add_co_ci_u32_e32 v96, vcc_lo, s7, v96, vcc_lo
	s_add_i32 s5, s14, 2
	s_add_i32 s1, s14, 1
	;; [unrolled: 1-line block ×3, first 2 shown]
	s_cmp_ge_u32 s5, s28
	s_waitcnt_vscnt null, 0x0
	s_barrier
	buffer_gl0_inv
	s_cbranch_scc1 .LBB75_124
; %bb.119:                              ;   in Loop: Header=BB75_72 Depth=1
	s_mov_b32 s14, s1
	s_delay_alu instid0(SALU_CYCLE_1)
	s_cmp_eq_u32 s15, s14
	s_cselect_b32 s8, s29, 0
	s_and_saveexec_b32 s1, s2
	s_cbranch_execnz .LBB75_69
	s_branch .LBB75_72
.LBB75_120:                             ;   in Loop: Header=BB75_72 Depth=1
                                        ; implicit-def: $vgpr99
                                        ; implicit-def: $vgpr100
                                        ; implicit-def: $vgpr98
                                        ; implicit-def: $vgpr101
	s_cbranch_execnz .LBB75_82
	s_branch .LBB75_83
.LBB75_121:                             ;   in Loop: Header=BB75_72 Depth=1
                                        ; implicit-def: $vgpr108
                                        ; implicit-def: $vgpr109
                                        ; implicit-def: $vgpr106
                                        ; implicit-def: $vgpr107
	s_cbranch_execnz .LBB75_93
	s_branch .LBB75_94
.LBB75_122:                             ;   in Loop: Header=BB75_72 Depth=1
                                        ; implicit-def: $vgpr116
                                        ; implicit-def: $vgpr117
                                        ; implicit-def: $vgpr114
                                        ; implicit-def: $vgpr115
	s_cbranch_execnz .LBB75_104
	s_branch .LBB75_105
.LBB75_123:                             ;   in Loop: Header=BB75_72 Depth=1
                                        ; implicit-def: $vgpr124
                                        ; implicit-def: $vgpr125
                                        ; implicit-def: $vgpr122
                                        ; implicit-def: $vgpr123
	s_cbranch_execnz .LBB75_115
	s_branch .LBB75_116
.LBB75_124:
	v_cmp_gt_i32_e32 vcc_lo, s10, v5
	v_mad_u32_u24 v0, 0x10c, v18, v3
	s_or_b32 s0, s30, vcc_lo
	ds_store_b32 v0, v19
	s_and_b32 s0, s2, s0
	s_waitcnt lgkmcnt(0)
	s_barrier
	buffer_gl0_inv
	s_and_saveexec_b32 s1, s0
	s_cbranch_execz .LBB75_126
; %bb.125:
	ds_load_2addr_b32 v[0:1], v3 offset1:67
	ds_load_2addr_b32 v[2:3], v3 offset0:134 offset1:201
	v_ashrrev_i32_e32 v5, 31, v4
	s_waitcnt lgkmcnt(1)
	v_add_f32_e32 v0, v0, v1
	s_waitcnt lgkmcnt(0)
	s_delay_alu instid0(VALU_DEP_1) | instskip(SKIP_1) | instid1(VALU_DEP_2)
	v_add_f32_e32 v2, v0, v2
	v_lshlrev_b64 v[0:1], 2, v[4:5]
	v_add_f32_e32 v2, v2, v3
	s_delay_alu instid0(VALU_DEP_2) | instskip(NEXT) | instid1(VALU_DEP_3)
	v_add_co_u32 v0, vcc_lo, s3, v0
	v_add_co_ci_u32_e32 v1, vcc_lo, s11, v1, vcc_lo
	global_store_b32 v[0:1], v2, off
.LBB75_126:
	s_nop 0
	s_sendmsg sendmsg(MSG_DEALLOC_VGPRS)
	s_endpgm
	.section	.rodata,"a",@progbits
	.p2align	6, 0x0
	.amdhsa_kernel _ZL26rocblas_hemvn_kernel_upperILb0ELi64ELi4ELi33ELi32ELi16EifPKfPfEviT6_lT7_lT5_lS4_lS5_lS3_lT8_i
		.amdhsa_group_segment_fixed_size 4800
		.amdhsa_private_segment_fixed_size 0
		.amdhsa_kernarg_size 368
		.amdhsa_user_sgpr_count 14
		.amdhsa_user_sgpr_dispatch_ptr 0
		.amdhsa_user_sgpr_queue_ptr 0
		.amdhsa_user_sgpr_kernarg_segment_ptr 1
		.amdhsa_user_sgpr_dispatch_id 0
		.amdhsa_user_sgpr_private_segment_size 0
		.amdhsa_wavefront_size32 1
		.amdhsa_uses_dynamic_stack 0
		.amdhsa_enable_private_segment 0
		.amdhsa_system_sgpr_workgroup_id_x 1
		.amdhsa_system_sgpr_workgroup_id_y 0
		.amdhsa_system_sgpr_workgroup_id_z 1
		.amdhsa_system_sgpr_workgroup_info 0
		.amdhsa_system_vgpr_workitem_id 1
		.amdhsa_next_free_vgpr 132
		.amdhsa_next_free_sgpr 41
		.amdhsa_reserve_vcc 1
		.amdhsa_float_round_mode_32 0
		.amdhsa_float_round_mode_16_64 0
		.amdhsa_float_denorm_mode_32 3
		.amdhsa_float_denorm_mode_16_64 3
		.amdhsa_dx10_clamp 1
		.amdhsa_ieee_mode 1
		.amdhsa_fp16_overflow 0
		.amdhsa_workgroup_processor_mode 1
		.amdhsa_memory_ordered 1
		.amdhsa_forward_progress 0
		.amdhsa_shared_vgpr_count 0
		.amdhsa_exception_fp_ieee_invalid_op 0
		.amdhsa_exception_fp_denorm_src 0
		.amdhsa_exception_fp_ieee_div_zero 0
		.amdhsa_exception_fp_ieee_overflow 0
		.amdhsa_exception_fp_ieee_underflow 0
		.amdhsa_exception_fp_ieee_inexact 0
		.amdhsa_exception_int_div_zero 0
	.end_amdhsa_kernel
	.section	.text._ZL26rocblas_hemvn_kernel_upperILb0ELi64ELi4ELi33ELi32ELi16EifPKfPfEviT6_lT7_lT5_lS4_lS5_lS3_lT8_i,"axG",@progbits,_ZL26rocblas_hemvn_kernel_upperILb0ELi64ELi4ELi33ELi32ELi16EifPKfPfEviT6_lT7_lT5_lS4_lS5_lS3_lT8_i,comdat
.Lfunc_end75:
	.size	_ZL26rocblas_hemvn_kernel_upperILb0ELi64ELi4ELi33ELi32ELi16EifPKfPfEviT6_lT7_lT5_lS4_lS5_lS3_lT8_i, .Lfunc_end75-_ZL26rocblas_hemvn_kernel_upperILb0ELi64ELi4ELi33ELi32ELi16EifPKfPfEviT6_lT7_lT5_lS4_lS5_lS3_lT8_i
                                        ; -- End function
	.section	.AMDGPU.csdata,"",@progbits
; Kernel info:
; codeLenInByte = 7916
; NumSgprs: 43
; NumVgprs: 132
; ScratchSize: 0
; MemoryBound: 0
; FloatMode: 240
; IeeeMode: 1
; LDSByteSize: 4800 bytes/workgroup (compile time only)
; SGPRBlocks: 5
; VGPRBlocks: 16
; NumSGPRsForWavesPerEU: 43
; NumVGPRsForWavesPerEU: 132
; Occupancy: 10
; WaveLimiterHint : 1
; COMPUTE_PGM_RSRC2:SCRATCH_EN: 0
; COMPUTE_PGM_RSRC2:USER_SGPR: 14
; COMPUTE_PGM_RSRC2:TRAP_HANDLER: 0
; COMPUTE_PGM_RSRC2:TGID_X_EN: 1
; COMPUTE_PGM_RSRC2:TGID_Y_EN: 0
; COMPUTE_PGM_RSRC2:TGID_Z_EN: 1
; COMPUTE_PGM_RSRC2:TIDIG_COMP_CNT: 1
	.section	.text._ZL36rocblas_hemvn_kernel_upper_block_sumILi64EifPffEviT1_lS1_lT2_lT0_lPT3_i,"axG",@progbits,_ZL36rocblas_hemvn_kernel_upper_block_sumILi64EifPffEviT1_lS1_lT2_lT0_lPT3_i,comdat
	.globl	_ZL36rocblas_hemvn_kernel_upper_block_sumILi64EifPffEviT1_lS1_lT2_lT0_lPT3_i ; -- Begin function _ZL36rocblas_hemvn_kernel_upper_block_sumILi64EifPffEviT1_lS1_lT2_lT0_lPT3_i
	.p2align	8
	.type	_ZL36rocblas_hemvn_kernel_upper_block_sumILi64EifPffEviT1_lS1_lT2_lT0_lPT3_i,@function
_ZL36rocblas_hemvn_kernel_upper_block_sumILi64EifPffEviT1_lS1_lT2_lT0_lPT3_i: ; @_ZL36rocblas_hemvn_kernel_upper_block_sumILi64EifPffEviT1_lS1_lT2_lT0_lPT3_i
; %bb.0:
	s_clause 0x1
	s_load_b64 s[8:9], s[0:1], 0x0
	s_load_b32 s10, s[0:1], 0x10
	s_mov_b32 s11, 0
	s_waitcnt lgkmcnt(0)
	v_cmp_eq_f32_e64 s2, s9, 0
	v_cmp_eq_f32_e64 s3, s10, 1.0
	s_delay_alu instid0(VALU_DEP_1) | instskip(NEXT) | instid1(SALU_CYCLE_1)
	s_and_b32 s2, s2, s3
	s_and_b32 vcc_lo, exec_lo, s2
	s_cbranch_vccnz .LBB76_19
; %bb.1:
	s_clause 0x2
	s_load_b128 s[4:7], s[0:1], 0x38
	s_load_b128 s[16:19], s[0:1], 0x20
	s_load_b32 s12, s[0:1], 0x30
	v_lshl_or_b32 v0, s14, 6, v0
	v_cmp_neq_f32_e64 s13, s9, 0
	s_waitcnt lgkmcnt(0)
	s_mul_i32 s3, s15, s5
	s_mul_hi_u32 s5, s15, s4
	s_mul_i32 s2, s15, s4
	s_add_i32 s3, s5, s3
	s_delay_alu instid0(SALU_CYCLE_1) | instskip(NEXT) | instid1(SALU_CYCLE_1)
	s_lshl_b64 s[2:3], s[2:3], 2
	s_add_u32 s2, s16, s2
	s_addc_u32 s16, s17, s3
	s_lshl_b64 s[4:5], s[18:19], 2
	s_delay_alu instid0(SALU_CYCLE_1)
	s_add_u32 s3, s2, s4
	v_cmp_gt_i32_e64 s2, s8, v0
	s_addc_u32 s4, s16, s5
	s_and_b32 vcc_lo, exec_lo, s13
	s_cbranch_vccnz .LBB76_6
; %bb.2:
	s_mov_b32 s5, 0
                                        ; implicit-def: $vgpr4
                                        ; implicit-def: $vgpr2_vgpr3
	s_and_saveexec_b32 s13, s2
	s_cbranch_execz .LBB76_7
; %bb.3:
	v_mul_lo_u32 v2, v0, s12
	v_cmp_eq_f32_e64 s2, s10, 0
	v_mov_b32_e32 v4, 0
	s_delay_alu instid0(VALU_DEP_2) | instskip(NEXT) | instid1(VALU_DEP_3)
	s_and_b32 vcc_lo, exec_lo, s2
	v_ashrrev_i32_e32 v3, 31, v2
	s_cbranch_vccnz .LBB76_5
; %bb.4:
	s_delay_alu instid0(VALU_DEP_1) | instskip(NEXT) | instid1(VALU_DEP_1)
	v_lshlrev_b64 v[4:5], 2, v[2:3]
	v_add_co_u32 v4, vcc_lo, s3, v4
	s_delay_alu instid0(VALU_DEP_2)
	v_add_co_ci_u32_e32 v5, vcc_lo, s4, v5, vcc_lo
	global_load_b32 v1, v[4:5], off
	s_waitcnt vmcnt(0)
	v_mul_f32_e32 v4, s10, v1
.LBB76_5:
	s_mov_b32 s11, exec_lo
	s_or_b32 exec_lo, exec_lo, s13
	s_delay_alu instid0(SALU_CYCLE_1)
	s_and_b32 vcc_lo, exec_lo, s5
	s_cbranch_vccnz .LBB76_8
	s_branch .LBB76_17
.LBB76_6:
                                        ; implicit-def: $vgpr4
                                        ; implicit-def: $vgpr2_vgpr3
	s_cbranch_execnz .LBB76_8
	s_branch .LBB76_17
.LBB76_7:
	s_or_b32 exec_lo, exec_lo, s13
	s_delay_alu instid0(SALU_CYCLE_1)
	s_and_b32 vcc_lo, exec_lo, s5
	s_cbranch_vccz .LBB76_17
.LBB76_8:
	s_mov_b32 s2, exec_lo
                                        ; implicit-def: $vgpr4
                                        ; implicit-def: $vgpr2_vgpr3
	v_cmpx_gt_i32_e64 s8, v0
	s_cbranch_execz .LBB76_16
; %bb.9:
	v_mov_b32_e32 v1, 0
	s_cmp_lt_i32 s14, 0
	s_cbranch_scc1 .LBB76_12
; %bb.10:
	s_load_b32 s0, s[0:1], 0x50
	s_ashr_i32 s1, s8, 31
	s_mul_hi_u32 s5, s8, s15
	s_mul_i32 s13, s1, s15
	v_mov_b32_e32 v1, 0
	s_mul_i32 s15, s8, s15
	s_add_i32 s5, s5, s13
	s_delay_alu instid0(VALU_DEP_1)
	v_lshlrev_b64 v[2:3], 2, v[0:1]
	s_waitcnt lgkmcnt(0)
	s_mul_i32 s5, s5, s0
	s_mul_hi_u32 s13, s15, s0
	s_mul_i32 s16, s15, s0
	s_add_i32 s17, s13, s5
	s_delay_alu instid0(SALU_CYCLE_1) | instskip(NEXT) | instid1(SALU_CYCLE_1)
	s_lshl_b64 s[16:17], s[16:17], 2
	s_add_u32 s0, s6, s16
	s_addc_u32 s5, s7, s17
	v_add_co_u32 v2, vcc_lo, s0, v2
	v_add_co_ci_u32_e32 v3, vcc_lo, s5, v3, vcc_lo
	s_mov_b32 s0, s8
	s_add_i32 s5, s14, 1
	s_lshl_b64 s[0:1], s[0:1], 2
.LBB76_11:                              ; =>This Inner Loop Header: Depth=1
	global_load_b32 v4, v[2:3], off
	v_add_co_u32 v2, vcc_lo, v2, s0
	v_add_co_ci_u32_e32 v3, vcc_lo, s1, v3, vcc_lo
	s_add_i32 s5, s5, -1
	s_delay_alu instid0(SALU_CYCLE_1)
	s_cmp_eq_u32 s5, 0
	s_waitcnt vmcnt(0)
	v_add_f32_e32 v1, v1, v4
	s_cbranch_scc0 .LBB76_11
.LBB76_12:
	v_mul_lo_u32 v2, v0, s12
	v_cmp_eq_f32_e64 s0, s10, 0
	s_delay_alu instid0(VALU_DEP_1) | instskip(SKIP_1) | instid1(VALU_DEP_2)
	s_and_b32 vcc_lo, exec_lo, s0
	s_mov_b32 s0, 0
	v_ashrrev_i32_e32 v3, 31, v2
	s_cbranch_vccz .LBB76_20
; %bb.13:
	v_mul_f32_e32 v4, s9, v1
	s_and_not1_b32 vcc_lo, exec_lo, s0
	s_cbranch_vccnz .LBB76_15
.LBB76_14:
	s_delay_alu instid0(VALU_DEP_1) | instskip(NEXT) | instid1(VALU_DEP_1)
	v_lshlrev_b64 v[4:5], 2, v[2:3]
	v_add_co_u32 v4, vcc_lo, s3, v4
	s_delay_alu instid0(VALU_DEP_2) | instskip(SKIP_3) | instid1(VALU_DEP_1)
	v_add_co_ci_u32_e32 v5, vcc_lo, s4, v5, vcc_lo
	global_load_b32 v0, v[4:5], off
	s_waitcnt vmcnt(0)
	v_mul_f32_e32 v4, s10, v0
	v_fmac_f32_e32 v4, s9, v1
.LBB76_15:
	s_or_b32 s11, s11, exec_lo
.LBB76_16:
	s_or_b32 exec_lo, exec_lo, s2
.LBB76_17:
	s_and_saveexec_b32 s0, s11
	s_cbranch_execz .LBB76_19
; %bb.18:
	v_lshlrev_b64 v[0:1], 2, v[2:3]
	s_delay_alu instid0(VALU_DEP_1) | instskip(NEXT) | instid1(VALU_DEP_2)
	v_add_co_u32 v0, vcc_lo, s3, v0
	v_add_co_ci_u32_e32 v1, vcc_lo, s4, v1, vcc_lo
	global_store_b32 v[0:1], v4, off
.LBB76_19:
	s_nop 0
	s_sendmsg sendmsg(MSG_DEALLOC_VGPRS)
	s_endpgm
.LBB76_20:
                                        ; implicit-def: $vgpr4
	s_branch .LBB76_14
	.section	.rodata,"a",@progbits
	.p2align	6, 0x0
	.amdhsa_kernel _ZL36rocblas_hemvn_kernel_upper_block_sumILi64EifPffEviT1_lS1_lT2_lT0_lPT3_i
		.amdhsa_group_segment_fixed_size 0
		.amdhsa_private_segment_fixed_size 0
		.amdhsa_kernarg_size 336
		.amdhsa_user_sgpr_count 14
		.amdhsa_user_sgpr_dispatch_ptr 0
		.amdhsa_user_sgpr_queue_ptr 0
		.amdhsa_user_sgpr_kernarg_segment_ptr 1
		.amdhsa_user_sgpr_dispatch_id 0
		.amdhsa_user_sgpr_private_segment_size 0
		.amdhsa_wavefront_size32 1
		.amdhsa_uses_dynamic_stack 0
		.amdhsa_enable_private_segment 0
		.amdhsa_system_sgpr_workgroup_id_x 1
		.amdhsa_system_sgpr_workgroup_id_y 0
		.amdhsa_system_sgpr_workgroup_id_z 1
		.amdhsa_system_sgpr_workgroup_info 0
		.amdhsa_system_vgpr_workitem_id 0
		.amdhsa_next_free_vgpr 6
		.amdhsa_next_free_sgpr 20
		.amdhsa_reserve_vcc 1
		.amdhsa_float_round_mode_32 0
		.amdhsa_float_round_mode_16_64 0
		.amdhsa_float_denorm_mode_32 3
		.amdhsa_float_denorm_mode_16_64 3
		.amdhsa_dx10_clamp 1
		.amdhsa_ieee_mode 1
		.amdhsa_fp16_overflow 0
		.amdhsa_workgroup_processor_mode 1
		.amdhsa_memory_ordered 1
		.amdhsa_forward_progress 0
		.amdhsa_shared_vgpr_count 0
		.amdhsa_exception_fp_ieee_invalid_op 0
		.amdhsa_exception_fp_denorm_src 0
		.amdhsa_exception_fp_ieee_div_zero 0
		.amdhsa_exception_fp_ieee_overflow 0
		.amdhsa_exception_fp_ieee_underflow 0
		.amdhsa_exception_fp_ieee_inexact 0
		.amdhsa_exception_int_div_zero 0
	.end_amdhsa_kernel
	.section	.text._ZL36rocblas_hemvn_kernel_upper_block_sumILi64EifPffEviT1_lS1_lT2_lT0_lPT3_i,"axG",@progbits,_ZL36rocblas_hemvn_kernel_upper_block_sumILi64EifPffEviT1_lS1_lT2_lT0_lPT3_i,comdat
.Lfunc_end76:
	.size	_ZL36rocblas_hemvn_kernel_upper_block_sumILi64EifPffEviT1_lS1_lT2_lT0_lPT3_i, .Lfunc_end76-_ZL36rocblas_hemvn_kernel_upper_block_sumILi64EifPffEviT1_lS1_lT2_lT0_lPT3_i
                                        ; -- End function
	.section	.AMDGPU.csdata,"",@progbits
; Kernel info:
; codeLenInByte = 648
; NumSgprs: 22
; NumVgprs: 6
; ScratchSize: 0
; MemoryBound: 0
; FloatMode: 240
; IeeeMode: 1
; LDSByteSize: 0 bytes/workgroup (compile time only)
; SGPRBlocks: 2
; VGPRBlocks: 0
; NumSGPRsForWavesPerEU: 22
; NumVGPRsForWavesPerEU: 6
; Occupancy: 16
; WaveLimiterHint : 0
; COMPUTE_PGM_RSRC2:SCRATCH_EN: 0
; COMPUTE_PGM_RSRC2:USER_SGPR: 14
; COMPUTE_PGM_RSRC2:TRAP_HANDLER: 0
; COMPUTE_PGM_RSRC2:TGID_X_EN: 1
; COMPUTE_PGM_RSRC2:TGID_Y_EN: 0
; COMPUTE_PGM_RSRC2:TGID_Z_EN: 1
; COMPUTE_PGM_RSRC2:TIDIG_COMP_CNT: 0
	.section	.text._ZL50rocblas_symv_kernel_lower_double_buffered_diagonalILi32ELi4E24rocblas_internal_val_ptrIfEPKfPfEvbiT1_lT2_lllS6_lllS5_lT3_llli,"axG",@progbits,_ZL50rocblas_symv_kernel_lower_double_buffered_diagonalILi32ELi4E24rocblas_internal_val_ptrIfEPKfPfEvbiT1_lT2_lllS6_lllS5_lT3_llli,comdat
	.globl	_ZL50rocblas_symv_kernel_lower_double_buffered_diagonalILi32ELi4E24rocblas_internal_val_ptrIfEPKfPfEvbiT1_lT2_lllS6_lllS5_lT3_llli ; -- Begin function _ZL50rocblas_symv_kernel_lower_double_buffered_diagonalILi32ELi4E24rocblas_internal_val_ptrIfEPKfPfEvbiT1_lT2_lllS6_lllS5_lT3_llli
	.p2align	8
	.type	_ZL50rocblas_symv_kernel_lower_double_buffered_diagonalILi32ELi4E24rocblas_internal_val_ptrIfEPKfPfEvbiT1_lT2_lllS6_lllS5_lT3_llli,@function
_ZL50rocblas_symv_kernel_lower_double_buffered_diagonalILi32ELi4E24rocblas_internal_val_ptrIfEPKfPfEvbiT1_lT2_lllS6_lllS5_lT3_llli: ; @_ZL50rocblas_symv_kernel_lower_double_buffered_diagonalILi32ELi4E24rocblas_internal_val_ptrIfEPKfPfEvbiT1_lT2_lllS6_lllS5_lT3_llli
; %bb.0:
	s_clause 0x1
	s_load_b32 s2, s[0:1], 0x0
	s_load_b512 s[16:31], s[0:1], 0x8
	s_mov_b32 s3, -1
                                        ; implicit-def: $sgpr12
	s_waitcnt lgkmcnt(0)
	s_bitcmp1_b32 s2, 0
	s_cselect_b32 s2, -1, 0
	s_delay_alu instid0(SALU_CYCLE_1) | instskip(NEXT) | instid1(SALU_CYCLE_1)
	s_xor_b32 s2, s2, -1
	s_and_b32 vcc_lo, exec_lo, s2
	s_cbranch_vccnz .LBB77_10
; %bb.1:
	s_load_b256 s[4:11], s[0:1], 0x48
	s_and_not1_b32 vcc_lo, exec_lo, s3
	s_cbranch_vccz .LBB77_11
.LBB77_2:
	s_and_not1_b32 vcc_lo, exec_lo, s2
	s_cbranch_vccnz .LBB77_4
.LBB77_3:
	s_waitcnt lgkmcnt(0)
	s_mul_i32 s2, s15, s11
	s_mul_hi_u32 s3, s15, s10
	s_delay_alu instid0(SALU_CYCLE_1) | instskip(SKIP_1) | instid1(SALU_CYCLE_1)
	s_add_i32 s3, s3, s2
	s_mul_i32 s2, s15, s10
	s_lshl_b64 s[2:3], s[2:3], 2
	s_delay_alu instid0(SALU_CYCLE_1)
	s_add_u32 s2, s8, s2
	s_addc_u32 s3, s9, s3
	s_load_b32 s8, s[2:3], 0x0
.LBB77_4:
	s_waitcnt lgkmcnt(0)
	v_cmp_eq_f32_e64 s2, s12, 0
	v_cmp_eq_f32_e64 s3, s8, 1.0
	s_delay_alu instid0(VALU_DEP_1) | instskip(NEXT) | instid1(SALU_CYCLE_1)
	s_and_b32 s2, s2, s3
	s_and_b32 vcc_lo, exec_lo, s2
	s_cbranch_vccnz .LBB77_9
; %bb.5:
	s_clause 0x2
	s_load_b64 s[10:11], s[0:1], 0x80
	s_load_b64 s[16:17], s[0:1], 0x68
	s_load_b128 s[0:3], s[0:1], 0x70
	v_bfe_u32 v3, v0, 10, 10
	v_and_b32_e32 v2, 0x3ff, v0
	s_waitcnt lgkmcnt(0)
	s_mul_i32 s9, s15, s11
	s_mul_hi_u32 s11, s15, s10
	s_mul_i32 s10, s15, s10
	s_add_i32 s11, s11, s9
	s_delay_alu instid0(SALU_CYCLE_1) | instskip(NEXT) | instid1(SALU_CYCLE_1)
	s_lshl_b64 s[10:11], s[10:11], 2
	s_add_u32 s9, s16, s10
	s_addc_u32 s10, s17, s11
	s_lshl_b64 s[0:1], s[0:1], 2
	s_delay_alu instid0(SALU_CYCLE_1) | instskip(SKIP_2) | instid1(SALU_CYCLE_1)
	s_add_u32 s9, s9, s0
	s_addc_u32 s13, s10, s1
	s_lshl_b32 s10, s14, 5
	s_mul_i32 s0, s10, s3
	s_mul_hi_u32 s1, s10, s2
	s_ashr_i32 s11, s10, 31
	s_add_i32 s1, s1, s0
	s_mul_i32 s14, s11, s2
	s_mul_i32 s0, s10, s2
	s_add_i32 s1, s1, s14
	v_cmp_neq_f32_e64 s14, s12, 0
	s_lshl_b64 s[16:17], s[0:1], 2
	v_cmp_eq_u32_e64 s0, 0, v3
	s_add_u32 s1, s9, s16
	s_addc_u32 s9, s13, s17
	s_and_b32 vcc_lo, exec_lo, s14
	s_cbranch_vccnz .LBB77_12
; %bb.6:
	s_mov_b32 s13, 0
	s_and_saveexec_b32 s14, s0
	s_cbranch_execz .LBB77_8
; %bb.7:
	v_mad_u64_u32 v[0:1], null, v2, s2, 0
	s_delay_alu instid0(VALU_DEP_1) | instskip(NEXT) | instid1(VALU_DEP_1)
	v_mad_u64_u32 v[4:5], null, v2, s3, v[1:2]
	v_mov_b32_e32 v1, v4
	s_delay_alu instid0(VALU_DEP_1) | instskip(NEXT) | instid1(VALU_DEP_1)
	v_lshlrev_b64 v[0:1], 2, v[0:1]
	v_add_co_u32 v0, vcc_lo, s1, v0
	s_delay_alu instid0(VALU_DEP_2)
	v_add_co_ci_u32_e32 v1, vcc_lo, s9, v1, vcc_lo
	global_load_b32 v4, v[0:1], off
	s_waitcnt vmcnt(0)
	v_mul_f32_e32 v4, s8, v4
	global_store_b32 v[0:1], v4, off
.LBB77_8:
	s_or_b32 exec_lo, exec_lo, s14
	s_delay_alu instid0(SALU_CYCLE_1)
	s_and_not1_b32 vcc_lo, exec_lo, s13
	s_cbranch_vccz .LBB77_13
.LBB77_9:
	s_nop 0
	s_sendmsg sendmsg(MSG_DEALLOC_VGPRS)
	s_endpgm
.LBB77_10:
	s_mul_i32 s3, s15, s19
	s_mul_hi_u32 s4, s15, s18
	s_delay_alu instid0(SALU_CYCLE_1) | instskip(SKIP_1) | instid1(SALU_CYCLE_1)
	s_add_i32 s5, s4, s3
	s_mul_i32 s4, s15, s18
	s_lshl_b64 s[4:5], s[4:5], 2
	s_delay_alu instid0(SALU_CYCLE_1)
	s_add_u32 s4, s16, s4
	s_addc_u32 s5, s17, s5
	s_load_b32 s12, s[4:5], 0x0
	s_load_b256 s[4:11], s[0:1], 0x48
	s_cbranch_execnz .LBB77_2
.LBB77_11:
	s_waitcnt lgkmcnt(0)
	s_mov_b32 s12, s16
	s_and_not1_b32 vcc_lo, exec_lo, s2
	s_cbranch_vccz .LBB77_3
	s_branch .LBB77_4
.LBB77_12:
.LBB77_13:
	v_mov_b32_e32 v4, 0
	v_cmp_eq_u32_e64 s0, 0, v3
	s_delay_alu instid0(VALU_DEP_1)
	s_and_saveexec_b32 s13, s0
	s_cbranch_execz .LBB77_17
; %bb.14:
	v_cmp_eq_f32_e64 s14, s8, 0
	v_mov_b32_e32 v4, 0
	s_delay_alu instid0(VALU_DEP_2)
	s_and_b32 vcc_lo, exec_lo, s14
	s_cbranch_vccnz .LBB77_16
; %bb.15:
	v_mad_u64_u32 v[0:1], null, v2, s2, 0
	s_delay_alu instid0(VALU_DEP_1) | instskip(NEXT) | instid1(VALU_DEP_1)
	v_mad_u64_u32 v[4:5], null, v2, s3, v[1:2]
	v_mov_b32_e32 v1, v4
	s_delay_alu instid0(VALU_DEP_1) | instskip(NEXT) | instid1(VALU_DEP_1)
	v_lshlrev_b64 v[0:1], 2, v[0:1]
	v_add_co_u32 v0, vcc_lo, s1, v0
	s_delay_alu instid0(VALU_DEP_2)
	v_add_co_ci_u32_e32 v1, vcc_lo, s9, v1, vcc_lo
	global_load_b32 v0, v[0:1], off
	s_waitcnt vmcnt(0)
	v_mul_f32_e32 v4, s8, v0
.LBB77_16:
	v_mad_u64_u32 v[0:1], null, v2, s4, 0
	s_mul_i32 s7, s15, s7
	s_mul_hi_u32 s14, s15, s6
	s_mul_i32 s6, s15, s6
	s_add_i32 s7, s14, s7
	s_mul_i32 s16, s10, s5
	s_lshl_b64 s[6:7], s[6:7], 2
	s_delay_alu instid0(VALU_DEP_1)
	v_mad_u64_u32 v[5:6], null, v2, s5, v[1:2]
	s_add_u32 s14, s28, s6
	s_addc_u32 s17, s29, s7
	s_lshl_b64 s[6:7], s[30:31], 2
	s_mul_hi_u32 s5, s10, s4
	s_add_u32 s6, s14, s6
	s_mul_i32 s18, s11, s4
	s_delay_alu instid0(VALU_DEP_1)
	v_mov_b32_e32 v1, v5
	s_addc_u32 s7, s17, s7
	s_add_i32 s5, s5, s16
	s_mul_i32 s4, s10, s4
	s_add_i32 s5, s5, s18
	v_lshlrev_b64 v[0:1], 2, v[0:1]
	s_lshl_b64 s[4:5], s[4:5], 2
	s_delay_alu instid0(SALU_CYCLE_1) | instskip(SKIP_1) | instid1(VALU_DEP_1)
	s_add_u32 s4, s6, s4
	s_addc_u32 s5, s7, s5
	v_add_co_u32 v0, vcc_lo, s4, v0
	s_delay_alu instid0(VALU_DEP_2)
	v_add_co_ci_u32_e32 v1, vcc_lo, s5, v1, vcc_lo
	global_load_b32 v0, v[0:1], off
	v_lshlrev_b32_e32 v1, 2, v2
	s_waitcnt vmcnt(0)
	ds_store_b32 v1, v0 offset:5120
.LBB77_17:
	s_or_b32 exec_lo, exec_lo, s13
	v_mad_u64_u32 v[0:1], null, v3, s24, 0
	s_mul_i32 s5, s15, s27
	s_mul_hi_u32 s6, s15, s26
	s_mul_i32 s4, s15, s26
	s_add_i32 s5, s6, s5
	v_add_nc_u32_e32 v12, 4, v3
	s_lshl_b64 s[4:5], s[4:5], 2
	s_delay_alu instid0(VALU_DEP_2) | instskip(SKIP_3) | instid1(SALU_CYCLE_1)
	v_mad_u64_u32 v[5:6], null, v3, s25, v[1:2]
	s_add_u32 s6, s20, s4
	s_addc_u32 s7, s21, s5
	s_lshl_b64 s[4:5], s[22:23], 2
	s_add_u32 s6, s6, s4
	s_addc_u32 s7, s7, s5
	s_add_u32 s4, s24, 1
	s_delay_alu instid0(VALU_DEP_1)
	v_mov_b32_e32 v1, v5
	s_addc_u32 s5, s25, 0
	s_mul_i32 s11, s4, s11
	s_mul_hi_u32 s13, s4, s10
	s_mul_i32 s5, s5, s10
	s_add_i32 s11, s13, s11
	s_mul_i32 s4, s4, s10
	s_add_i32 s5, s11, s5
	v_lshlrev_b64 v[0:1], 2, v[0:1]
	s_lshl_b64 s[4:5], s[4:5], 2
	v_lshlrev_b32_e32 v5, 2, v2
	s_add_u32 s4, s6, s4
	s_addc_u32 s5, s7, s5
	s_mov_b32 s6, exec_lo
	v_add_co_u32 v0, vcc_lo, s4, v0
	v_add_co_ci_u32_e32 v1, vcc_lo, s5, v1, vcc_lo
	s_lshl_b64 s[4:5], s[24:25], 4
	s_delay_alu instid0(VALU_DEP_2) | instskip(NEXT) | instid1(VALU_DEP_2)
	v_add_co_u32 v6, vcc_lo, v0, v5
	v_add_co_ci_u32_e32 v7, vcc_lo, 0, v1, vcc_lo
	s_delay_alu instid0(VALU_DEP_2) | instskip(NEXT) | instid1(VALU_DEP_2)
	v_add_co_u32 v8, vcc_lo, v6, s4
	v_add_co_ci_u32_e32 v9, vcc_lo, s5, v7, vcc_lo
	;; [unrolled: 3-line block ×4, first 2 shown]
	s_clause 0x1
	global_load_b32 v13, v[6:7], off
	global_load_b32 v14, v[8:9], off
	;; [unrolled: 1-line block ×4, first 2 shown]
	v_add_nc_u32_e32 v11, 8, v3
	v_add_nc_u32_e32 v10, 12, v3
	v_lshl_add_u32 v6, v3, 5, v2
	v_lshlrev_b32_e32 v7, 5, v12
	s_delay_alu instid0(VALU_DEP_4) | instskip(NEXT) | instid1(VALU_DEP_4)
	v_lshlrev_b32_e32 v8, 5, v11
	v_lshlrev_b32_e32 v17, 5, v10
	s_delay_alu instid0(VALU_DEP_4) | instskip(NEXT) | instid1(VALU_DEP_4)
	v_lshlrev_b32_e32 v6, 2, v6
	v_add_lshl_u32 v9, v7, v2, 2
	s_delay_alu instid0(VALU_DEP_4) | instskip(NEXT) | instid1(VALU_DEP_4)
	v_add_lshl_u32 v8, v8, v2, 2
	v_add_lshl_u32 v7, v17, v2, 2
	s_waitcnt vmcnt(3)
	ds_store_b32 v6, v13
	s_waitcnt vmcnt(2)
	ds_store_b32 v9, v14
	;; [unrolled: 2-line block ×4, first 2 shown]
	v_cmpx_lt_u32_e32 15, v2
	s_cbranch_execz .LBB77_19
; %bb.18:
	v_add_co_u32 v0, vcc_lo, v0, s4
	s_lshl_b64 s[10:11], s[24:25], 2
	v_add_co_ci_u32_e32 v1, vcc_lo, s5, v1, vcc_lo
	s_lshl_b64 s[10:11], s[10:11], 2
	s_delay_alu instid0(VALU_DEP_2) | instid1(SALU_CYCLE_1)
	v_add_co_u32 v13, vcc_lo, v0, s10
	s_delay_alu instid0(VALU_DEP_2) | instskip(NEXT) | instid1(VALU_DEP_2)
	v_add_co_ci_u32_e32 v14, vcc_lo, s11, v1, vcc_lo
	v_add_co_u32 v15, vcc_lo, v13, s4
	s_delay_alu instid0(VALU_DEP_2) | instskip(NEXT) | instid1(VALU_DEP_2)
	v_add_co_ci_u32_e32 v16, vcc_lo, s5, v14, vcc_lo
	v_add_co_u32 v17, vcc_lo, v15, s4
	s_delay_alu instid0(VALU_DEP_2)
	v_add_co_ci_u32_e32 v18, vcc_lo, s5, v16, vcc_lo
	global_load_b32 v0, v[0:1], off
	global_load_b32 v1, v[13:14], off
	;; [unrolled: 1-line block ×4, first 2 shown]
	s_waitcnt vmcnt(2)
	ds_store_2addr_stride64_b32 v6, v0, v1 offset0:8 offset1:10
	s_waitcnt vmcnt(0)
	ds_store_2addr_stride64_b32 v6, v13, v14 offset0:12 offset1:14
.LBB77_19:
	s_or_b32 exec_lo, exec_lo, s6
	v_lshlrev_b32_e32 v1, 5, v2
	s_mov_b32 s4, exec_lo
	s_waitcnt lgkmcnt(0)
	s_waitcnt_vscnt null, 0x0
	s_barrier
	buffer_gl0_inv
	v_cmpx_lt_u32_e64 v2, v3
	s_cbranch_execz .LBB77_21
; %bb.20:
	v_add_lshl_u32 v0, v1, v3, 2
	ds_load_b32 v0, v0
	s_waitcnt lgkmcnt(0)
	ds_store_b32 v6, v0
.LBB77_21:
	s_or_b32 exec_lo, exec_lo, s4
	v_sub_nc_u32_e32 v0, v2, v3
	v_add_lshl_u32 v14, v3, v1, 2
	s_mov_b32 s4, exec_lo
	s_delay_alu instid0(VALU_DEP_2) | instskip(NEXT) | instid1(VALU_DEP_1)
	v_sub_nc_u32_e32 v13, 0, v0
	v_max_i32_e32 v13, v0, v13
	s_delay_alu instid0(VALU_DEP_1)
	v_cmpx_gt_u32_e32 4, v13
	s_cbranch_execz .LBB77_23
; %bb.22:
	ds_load_b32 v0, v14 offset:16
	s_waitcnt lgkmcnt(0)
	ds_store_b32 v9, v0
.LBB77_23:
	s_or_b32 exec_lo, exec_lo, s4
	s_delay_alu instid0(SALU_CYCLE_1)
	s_mov_b32 s4, exec_lo
	v_cmpx_gt_u32_e32 8, v13
	s_cbranch_execz .LBB77_25
; %bb.24:
	ds_load_b32 v0, v14 offset:32
	s_waitcnt lgkmcnt(0)
	ds_store_b32 v8, v0
.LBB77_25:
	s_or_b32 exec_lo, exec_lo, s4
	s_delay_alu instid0(SALU_CYCLE_1)
	s_mov_b32 s4, exec_lo
	v_cmpx_gt_u32_e32 12, v13
	s_cbranch_execz .LBB77_27
; %bb.26:
	ds_load_b32 v0, v14 offset:48
	s_waitcnt lgkmcnt(0)
	ds_store_b32 v7, v0
.LBB77_27:
	s_or_b32 exec_lo, exec_lo, s4
	v_add_nc_u32_e32 v0, 16, v3
	s_mov_b32 s4, exec_lo
	s_delay_alu instid0(VALU_DEP_1)
	v_lshlrev_b32_e32 v0, 5, v0
	v_cmpx_gt_u32_e32 16, v13
	s_cbranch_execz .LBB77_29
; %bb.28:
	ds_load_b32 v14, v14 offset:64
	v_add_lshl_u32 v15, v0, v2, 2
	s_waitcnt lgkmcnt(0)
	ds_store_b32 v15, v14
.LBB77_29:
	s_or_b32 exec_lo, exec_lo, s4
	s_delay_alu instid0(SALU_CYCLE_1)
	s_mov_b32 s4, exec_lo
	v_cmpx_gt_u32_e32 20, v13
	s_cbranch_execz .LBB77_31
; %bb.30:
	v_add_lshl_u32 v12, v12, v1, 2
	ds_load_b32 v12, v12 offset:64
	s_waitcnt lgkmcnt(0)
	ds_store_b32 v6, v12 offset:2560
.LBB77_31:
	s_or_b32 exec_lo, exec_lo, s4
	s_delay_alu instid0(SALU_CYCLE_1)
	s_mov_b32 s4, exec_lo
	v_cmpx_gt_u32_e32 24, v13
	s_cbranch_execz .LBB77_33
; %bb.32:
	v_add_lshl_u32 v11, v11, v1, 2
	ds_load_b32 v11, v11 offset:64
	s_waitcnt lgkmcnt(0)
	ds_store_b32 v6, v11 offset:3072
.LBB77_33:
	s_or_b32 exec_lo, exec_lo, s4
	v_add_nc_u32_e32 v11, 28, v3
	s_mov_b32 s4, exec_lo
                                        ; implicit-def: $vgpr12
	v_cmpx_lt_u32_e32 27, v13
	s_xor_b32 s4, exec_lo, s4
; %bb.34:
	v_add_nc_u32_e32 v11, 28, v3
                                        ; implicit-def: $vgpr10
                                        ; implicit-def: $vgpr1
	s_delay_alu instid0(VALU_DEP_1)
	v_lshl_add_u32 v12, v11, 5, v2
; %bb.35:
	s_and_not1_saveexec_b32 s4, s4
	s_cbranch_execz .LBB77_37
; %bb.36:
	v_add_lshl_u32 v1, v10, v1, 2
	v_lshl_add_u32 v12, v11, 5, v2
	ds_load_b32 v1, v1 offset:64
	v_lshlrev_b32_e32 v10, 2, v12
	s_waitcnt lgkmcnt(0)
	ds_store_b32 v10, v1
.LBB77_37:
	s_or_b32 exec_lo, exec_lo, s4
	v_lshlrev_b32_e32 v1, 2, v3
	s_waitcnt lgkmcnt(0)
	s_barrier
	buffer_gl0_inv
	v_lshlrev_b32_e32 v3, 5, v3
	v_add_nc_u32_e32 v15, 0x1400, v1
	v_add_lshl_u32 v0, v0, v2, 2
	ds_load_2addr_b32 v[13:14], v15 offset1:4
	ds_load_b32 v16, v6
	ds_load_b32 v17, v9
	ds_load_2addr_b32 v[9:10], v15 offset0:8 offset1:12
	ds_load_b32 v18, v8
	v_add_lshl_u32 v3, v3, v2, 2
	s_waitcnt lgkmcnt(3)
	v_fma_f32 v13, v16, v13, 0
	s_waitcnt lgkmcnt(2)
	s_delay_alu instid0(VALU_DEP_1)
	v_dual_fmac_f32 v13, v17, v14 :: v_dual_lshlrev_b32 v12, 2, v12
	v_lshlrev_b32_e32 v8, 2, v11
	ds_load_b32 v11, v7
	s_waitcnt lgkmcnt(1)
	v_fmac_f32_e32 v13, v18, v9
	ds_load_b32 v12, v12
	ds_load_b32 v19, v8 offset:5120
	ds_load_b32 v20, v0
	ds_load_b32 v21, v1 offset:5216
	ds_load_2addr_b32 v[0:1], v15 offset0:16 offset1:20
	ds_load_2addr_stride64_b32 v[7:8], v3 offset0:10 offset1:12
	s_waitcnt lgkmcnt(6)
	v_fmac_f32_e32 v13, v11, v10
	s_waitcnt lgkmcnt(1)
	s_delay_alu instid0(VALU_DEP_1) | instskip(SKIP_1) | instid1(VALU_DEP_1)
	v_fmac_f32_e32 v13, v20, v0
	s_waitcnt lgkmcnt(0)
	v_fmac_f32_e32 v13, v7, v1
	s_delay_alu instid0(VALU_DEP_1) | instskip(NEXT) | instid1(VALU_DEP_1)
	v_fmac_f32_e32 v13, v8, v21
	v_fmac_f32_e32 v13, v12, v19
	ds_store_b32 v6, v13 offset:4096
	s_waitcnt lgkmcnt(0)
	s_barrier
	buffer_gl0_inv
	s_and_saveexec_b32 s4, s0
	s_cbranch_execz .LBB77_9
; %bb.38:
	v_mad_u64_u32 v[7:8], null, v2, s2, 0
	v_add_nc_u32_e32 v3, 0x1000, v5
	v_cmp_neq_f32_e64 vcc_lo, s8, 0
	ds_load_2addr_b32 v[0:1], v3 offset1:32
	ds_load_2addr_b32 v[5:6], v3 offset0:64 offset1:96
	s_waitcnt lgkmcnt(1)
	v_dual_add_f32 v3, 0, v0 :: v_dual_mov_b32 v0, v8
	s_delay_alu instid0(VALU_DEP_1) | instskip(NEXT) | instid1(VALU_DEP_1)
	v_add_f32_e32 v1, v3, v1
	v_mad_u64_u32 v[8:9], null, v2, s3, v[0:1]
	s_waitcnt lgkmcnt(0)
	v_add_f32_e32 v0, v1, v5
	s_delay_alu instid0(VALU_DEP_1) | instskip(NEXT) | instid1(VALU_DEP_1)
	v_add_f32_e32 v0, v0, v6
	v_mul_f32_e32 v2, s12, v0
	v_fmac_f32_e32 v4, s12, v0
	v_lshlrev_b64 v[0:1], 2, v[7:8]
	s_delay_alu instid0(VALU_DEP_2) | instskip(NEXT) | instid1(VALU_DEP_2)
	v_cndmask_b32_e32 v2, v2, v4, vcc_lo
	v_add_co_u32 v0, vcc_lo, s1, v0
	s_delay_alu instid0(VALU_DEP_3)
	v_add_co_ci_u32_e32 v1, vcc_lo, s9, v1, vcc_lo
	global_store_b32 v[0:1], v2, off
	s_nop 0
	s_sendmsg sendmsg(MSG_DEALLOC_VGPRS)
	s_endpgm
	.section	.rodata,"a",@progbits
	.p2align	6, 0x0
	.amdhsa_kernel _ZL50rocblas_symv_kernel_lower_double_buffered_diagonalILi32ELi4E24rocblas_internal_val_ptrIfEPKfPfEvbiT1_lT2_lllS6_lllS5_lT3_llli
		.amdhsa_group_segment_fixed_size 5248
		.amdhsa_private_segment_fixed_size 0
		.amdhsa_kernarg_size 140
		.amdhsa_user_sgpr_count 14
		.amdhsa_user_sgpr_dispatch_ptr 0
		.amdhsa_user_sgpr_queue_ptr 0
		.amdhsa_user_sgpr_kernarg_segment_ptr 1
		.amdhsa_user_sgpr_dispatch_id 0
		.amdhsa_user_sgpr_private_segment_size 0
		.amdhsa_wavefront_size32 1
		.amdhsa_uses_dynamic_stack 0
		.amdhsa_enable_private_segment 0
		.amdhsa_system_sgpr_workgroup_id_x 1
		.amdhsa_system_sgpr_workgroup_id_y 0
		.amdhsa_system_sgpr_workgroup_id_z 1
		.amdhsa_system_sgpr_workgroup_info 0
		.amdhsa_system_vgpr_workitem_id 1
		.amdhsa_next_free_vgpr 22
		.amdhsa_next_free_sgpr 32
		.amdhsa_reserve_vcc 1
		.amdhsa_float_round_mode_32 0
		.amdhsa_float_round_mode_16_64 0
		.amdhsa_float_denorm_mode_32 3
		.amdhsa_float_denorm_mode_16_64 3
		.amdhsa_dx10_clamp 1
		.amdhsa_ieee_mode 1
		.amdhsa_fp16_overflow 0
		.amdhsa_workgroup_processor_mode 1
		.amdhsa_memory_ordered 1
		.amdhsa_forward_progress 0
		.amdhsa_shared_vgpr_count 0
		.amdhsa_exception_fp_ieee_invalid_op 0
		.amdhsa_exception_fp_denorm_src 0
		.amdhsa_exception_fp_ieee_div_zero 0
		.amdhsa_exception_fp_ieee_overflow 0
		.amdhsa_exception_fp_ieee_underflow 0
		.amdhsa_exception_fp_ieee_inexact 0
		.amdhsa_exception_int_div_zero 0
	.end_amdhsa_kernel
	.section	.text._ZL50rocblas_symv_kernel_lower_double_buffered_diagonalILi32ELi4E24rocblas_internal_val_ptrIfEPKfPfEvbiT1_lT2_lllS6_lllS5_lT3_llli,"axG",@progbits,_ZL50rocblas_symv_kernel_lower_double_buffered_diagonalILi32ELi4E24rocblas_internal_val_ptrIfEPKfPfEvbiT1_lT2_lllS6_lllS5_lT3_llli,comdat
.Lfunc_end77:
	.size	_ZL50rocblas_symv_kernel_lower_double_buffered_diagonalILi32ELi4E24rocblas_internal_val_ptrIfEPKfPfEvbiT1_lT2_lllS6_lllS5_lT3_llli, .Lfunc_end77-_ZL50rocblas_symv_kernel_lower_double_buffered_diagonalILi32ELi4E24rocblas_internal_val_ptrIfEPKfPfEvbiT1_lT2_lllS6_lllS5_lT3_llli
                                        ; -- End function
	.section	.AMDGPU.csdata,"",@progbits
; Kernel info:
; codeLenInByte = 2148
; NumSgprs: 34
; NumVgprs: 22
; ScratchSize: 0
; MemoryBound: 0
; FloatMode: 240
; IeeeMode: 1
; LDSByteSize: 5248 bytes/workgroup (compile time only)
; SGPRBlocks: 4
; VGPRBlocks: 2
; NumSGPRsForWavesPerEU: 34
; NumVGPRsForWavesPerEU: 22
; Occupancy: 16
; WaveLimiterHint : 0
; COMPUTE_PGM_RSRC2:SCRATCH_EN: 0
; COMPUTE_PGM_RSRC2:USER_SGPR: 14
; COMPUTE_PGM_RSRC2:TRAP_HANDLER: 0
; COMPUTE_PGM_RSRC2:TGID_X_EN: 1
; COMPUTE_PGM_RSRC2:TGID_Y_EN: 0
; COMPUTE_PGM_RSRC2:TGID_Z_EN: 1
; COMPUTE_PGM_RSRC2:TIDIG_COMP_CNT: 1
	.section	.text._ZL54rocblas_symv_kernel_lower_double_buffered_non_diagonalILi32ELi4ELi4E24rocblas_internal_val_ptrIfEPKfPfEvbiT2_lT3_lllS6_lllT4_llli,"axG",@progbits,_ZL54rocblas_symv_kernel_lower_double_buffered_non_diagonalILi32ELi4ELi4E24rocblas_internal_val_ptrIfEPKfPfEvbiT2_lT3_lllS6_lllT4_llli,comdat
	.globl	_ZL54rocblas_symv_kernel_lower_double_buffered_non_diagonalILi32ELi4ELi4E24rocblas_internal_val_ptrIfEPKfPfEvbiT2_lT3_lllS6_lllT4_llli ; -- Begin function _ZL54rocblas_symv_kernel_lower_double_buffered_non_diagonalILi32ELi4ELi4E24rocblas_internal_val_ptrIfEPKfPfEvbiT2_lT3_lllS6_lllT4_llli
	.p2align	8
	.type	_ZL54rocblas_symv_kernel_lower_double_buffered_non_diagonalILi32ELi4ELi4E24rocblas_internal_val_ptrIfEPKfPfEvbiT2_lT3_lllS6_lllT4_llli,@function
_ZL54rocblas_symv_kernel_lower_double_buffered_non_diagonalILi32ELi4ELi4E24rocblas_internal_val_ptrIfEPKfPfEvbiT2_lT3_lllS6_lllT4_llli: ; @_ZL54rocblas_symv_kernel_lower_double_buffered_non_diagonalILi32ELi4ELi4E24rocblas_internal_val_ptrIfEPKfPfEvbiT2_lT3_lllS6_lllT4_llli
; %bb.0:
	s_clause 0x1
	s_load_b32 s2, s[0:1], 0x0
	s_load_b512 s[16:31], s[0:1], 0x8
	s_waitcnt lgkmcnt(0)
	s_bitcmp0_b32 s2, 0
	s_mov_b32 s2, 0
	s_cbranch_scc0 .LBB78_2
; %bb.1:
	s_mul_i32 s3, s15, s19
	s_mul_hi_u32 s4, s15, s18
	s_delay_alu instid0(SALU_CYCLE_1) | instskip(SKIP_1) | instid1(SALU_CYCLE_1)
	s_add_i32 s5, s4, s3
	s_mul_i32 s4, s15, s18
	s_lshl_b64 s[4:5], s[4:5], 2
	s_delay_alu instid0(SALU_CYCLE_1)
	s_add_u32 s4, s16, s4
	s_addc_u32 s5, s17, s5
	s_load_b32 s12, s[4:5], 0x0
	s_and_not1_b32 vcc_lo, exec_lo, s2
	s_cbranch_vccz .LBB78_3
	s_branch .LBB78_4
.LBB78_2:
                                        ; implicit-def: $sgpr12
.LBB78_3:
	s_waitcnt lgkmcnt(0)
	s_mov_b32 s12, s16
.LBB78_4:
	s_waitcnt lgkmcnt(0)
	v_cmp_eq_f32_e64 s2, s12, 0
	s_delay_alu instid0(VALU_DEP_1)
	s_and_b32 vcc_lo, exec_lo, s2
	s_cbranch_vccnz .LBB78_24
; %bb.5:
	s_load_b64 s[2:3], s[0:1], 0x80
	s_waitcnt lgkmcnt(0)
	v_cvt_f32_u32_e32 v1, s3
	s_add_i32 s4, s2, -1
	s_delay_alu instid0(SALU_CYCLE_1) | instskip(NEXT) | instid1(VALU_DEP_1)
	s_cmp_eq_u32 s13, s4
	v_rcp_iflag_f32_e32 v1, v1
	s_waitcnt_depctr 0xfff
	v_mul_f32_e32 v1, 0x4f7ffffe, v1
	s_delay_alu instid0(VALU_DEP_1) | instskip(NEXT) | instid1(VALU_DEP_1)
	v_cvt_u32_f32_e32 v1, v1
	v_readfirstlane_b32 s5, v1
	s_cbranch_scc1 .LBB78_24
; %bb.6:
	s_load_b128 s[8:11], s[0:1], 0x48
	s_not_b32 s4, s13
	s_sub_i32 s6, 0, s3
	s_add_i32 s4, s2, s4
	s_mul_i32 s2, s6, s5
	v_bfe_u32 v1, v0, 10, 10
	s_mul_hi_u32 s2, s5, s2
	v_and_b32_e32 v24, 0x3ff, v0
	s_add_i32 s5, s5, s2
	s_delay_alu instid0(VALU_DEP_2)
	v_cmp_eq_u32_e32 vcc_lo, 0, v1
	s_mul_hi_u32 s5, s4, s5
	s_waitcnt lgkmcnt(0)
	s_mul_i32 s7, s15, s11
	s_mul_hi_u32 s11, s15, s10
	s_mul_i32 s6, s15, s10
	s_add_i32 s7, s11, s7
	s_delay_alu instid0(SALU_CYCLE_1) | instskip(NEXT) | instid1(SALU_CYCLE_1)
	s_lshl_b64 s[6:7], s[6:7], 2
	s_add_u32 s2, s28, s6
	s_addc_u32 s10, s29, s7
	s_lshl_b64 s[6:7], s[30:31], 2
	s_delay_alu instid0(SALU_CYCLE_1) | instskip(SKIP_2) | instid1(SALU_CYCLE_1)
	s_add_u32 s2, s2, s6
	s_addc_u32 s10, s10, s7
	s_lshl_b32 s28, s13, 5
	s_mul_i32 s6, s28, s9
	s_mul_hi_u32 s7, s28, s8
	s_ashr_i32 s29, s28, 31
	s_add_i32 s7, s7, s6
	s_mul_i32 s11, s29, s8
	s_mul_i32 s6, s28, s8
	s_add_i32 s7, s7, s11
	s_delay_alu instid0(SALU_CYCLE_1) | instskip(NEXT) | instid1(SALU_CYCLE_1)
	s_lshl_b64 s[6:7], s[6:7], 2
	s_add_u32 s18, s2, s6
	s_addc_u32 s19, s10, s7
	s_and_saveexec_b32 s6, vcc_lo
	s_cbranch_execz .LBB78_8
; %bb.7:
	v_mad_u64_u32 v[2:3], null, v24, s8, 0
	s_delay_alu instid0(VALU_DEP_1) | instskip(NEXT) | instid1(VALU_DEP_1)
	v_mov_b32_e32 v0, v3
	v_mad_u64_u32 v[3:4], null, v24, s9, v[0:1]
	s_delay_alu instid0(VALU_DEP_1) | instskip(NEXT) | instid1(VALU_DEP_1)
	v_lshlrev_b64 v[2:3], 2, v[2:3]
	v_add_co_u32 v2, s2, s18, v2
	s_delay_alu instid0(VALU_DEP_1)
	v_add_co_ci_u32_e64 v3, s2, s19, v3, s2
	global_load_b32 v0, v[2:3], off
	v_lshlrev_b32_e32 v2, 2, v24
	s_waitcnt vmcnt(0)
	ds_store_b32 v2, v0 offset:3072
.LBB78_8:
	s_or_b32 exec_lo, exec_lo, s6
	s_mul_i32 s2, s5, s3
	s_add_i32 s6, s5, 1
	s_sub_i32 s2, s4, s2
	s_delay_alu instid0(SALU_CYCLE_1)
	s_sub_i32 s7, s2, s3
	s_cmp_ge_u32 s2, s3
	s_cselect_b32 s5, s6, s5
	s_cselect_b32 s2, s7, s2
	s_add_i32 s6, s5, 1
	s_cmp_ge_u32 s2, s3
	s_cselect_b32 s2, s6, s5
	s_add_i32 s5, s3, -1
	s_mov_b32 s16, s2
	s_cmp_lg_u32 s14, s5
	s_cbranch_scc1 .LBB78_10
; %bb.9:
	s_mul_i32 s3, s2, s3
	s_delay_alu instid0(SALU_CYCLE_1) | instskip(NEXT) | instid1(SALU_CYCLE_1)
	s_sub_i32 s3, s4, s3
	s_add_i32 s16, s3, s2
.LBB78_10:
	s_delay_alu instid0(SALU_CYCLE_1)
	s_cmp_eq_u32 s16, 0
	s_cbranch_scc1 .LBB78_24
; %bb.11:
	s_clause 0x2
	s_load_b64 s[10:11], s[0:1], 0x70
	s_load_b128 s[4:7], s[0:1], 0x60
	s_load_b64 s[0:1], s[0:1], 0x58
	v_lshl_add_u32 v0, v1, 5, v24
	v_dual_mov_b32 v27, 0 :: v_dual_and_b32 v4, 15, v24
	v_dual_mov_b32 v28, 0 :: v_dual_mov_b32 v29, 0
	s_delay_alu instid0(VALU_DEP_2) | instskip(NEXT) | instid1(VALU_DEP_4)
	v_dual_mov_b32 v5, 0 :: v_dual_lshlrev_b32 v26, 2, v4
	v_lshrrev_b32_e32 v25, 4, v0
	s_mov_b32 s17, 0
	s_waitcnt lgkmcnt(0)
	s_barrier
	buffer_gl0_inv
	s_mul_i32 s3, s15, s11
	s_mul_hi_u32 s11, s15, s10
	s_mul_i32 s10, s15, s10
	s_add_i32 s11, s11, s3
	s_mul_i32 s3, s28, s7
	s_lshl_b64 s[10:11], s[10:11], 2
	s_mul_hi_u32 s13, s28, s6
	s_add_u32 s10, s0, s10
	s_addc_u32 s11, s1, s11
	s_lshl_b64 s[0:1], s[4:5], 2
	s_mul_i32 s4, s29, s6
	s_add_u32 s10, s10, s0
	s_addc_u32 s11, s11, s1
	s_add_i32 s1, s13, s3
	s_mul_i32 s0, s28, s6
	s_add_i32 s1, s1, s4
	s_delay_alu instid0(SALU_CYCLE_1) | instskip(NEXT) | instid1(SALU_CYCLE_1)
	s_lshl_b64 s[4:5], s[0:1], 2
	s_add_u32 s1, s10, s4
	s_addc_u32 s13, s11, s5
	s_cmp_lt_i32 s16, 1
	s_cbranch_scc1 .LBB78_21
; %bb.12:
	s_mul_i32 s14, s14, s2
	v_dual_mov_b32 v5, 0 :: v_dual_lshlrev_b32 v6, 2, v25
	s_lshl_b32 s4, s14, 5
	s_mul_hi_u32 s14, s15, s26
	s_mul_i32 s0, s4, s7
	s_mul_hi_u32 s2, s4, s6
	s_ashr_i32 s5, s4, 31
	s_add_i32 s0, s2, s0
	s_mul_i32 s2, s5, s6
	s_mul_i32 s10, s4, s6
	s_add_i32 s11, s0, s2
	s_lshl_b64 s[2:3], s[8:9], 7
	s_lshl_b64 s[10:11], s[10:11], 2
	s_mul_i32 s0, s15, s27
	s_add_u32 s10, s1, s10
	s_addc_u32 s11, s13, s11
	s_add_i32 s27, s14, s0
	s_mul_i32 s26, s15, s26
	v_mad_u64_u32 v[0:1], null, v6, s24, v[4:5]
	s_lshl_b64 s[14:15], s[26:27], 2
	v_mad_u64_u32 v[14:15], null, v24, s6, 0
	s_add_u32 s0, s20, s14
	s_addc_u32 s20, s21, s15
	s_lshl_b64 s[14:15], s[22:23], 2
	s_delay_alu instid0(VALU_DEP_2)
	v_mad_u64_u32 v[2:3], null, v6, s25, v[1:2]
	s_add_u32 s0, s0, s14
	s_addc_u32 s20, s20, s15
	s_add_u32 s14, s24, 1
	s_addc_u32 s22, s25, 0
	s_mul_i32 s15, s14, s29
	s_mul_hi_u32 s21, s14, s28
	s_mul_i32 s22, s22, s28
	s_add_i32 s15, s21, s15
	s_mul_i32 s14, s14, s28
	s_add_i32 s15, s15, s22
	v_mov_b32_e32 v1, v2
	s_lshl_b64 s[14:15], s[14:15], 2
	s_mul_hi_u32 s21, s4, s8
	s_add_u32 s0, s0, s14
	s_addc_u32 s20, s20, s15
	s_lshl_b64 s[14:15], s[4:5], 2
	s_mul_i32 s5, s5, s8
	s_add_u32 s0, s0, s14
	s_mul_i32 s14, s4, s9
	s_addc_u32 s20, s20, s15
	s_add_i32 s14, s21, s14
	s_mul_i32 s4, s4, s8
	s_add_i32 s5, s14, s5
	v_lshlrev_b64 v[6:7], 2, v[0:1]
	s_lshl_b64 s[4:5], s[4:5], 2
	v_or_b32_e32 v12, 16, v4
	s_add_u32 s14, s18, s4
	s_addc_u32 s15, s19, s5
	s_add_u32 s18, s0, 0x80
	v_add_co_u32 v0, s0, s0, v6
	s_delay_alu instid0(VALU_DEP_1) | instskip(SKIP_4) | instid1(VALU_DEP_1)
	v_add_co_ci_u32_e64 v1, s0, s20, v7, s0
	s_addc_u32 s19, s20, 0
	s_lshl_b64 s[4:5], s[24:25], 2
	v_lshl_add_u32 v34, v25, 4, 0xc00
	v_add_co_u32 v2, s0, v0, s4
	v_add_co_ci_u32_e64 v3, s0, s5, v1, s0
	v_lshl_add_u32 v36, v24, 2, 0x800
	s_delay_alu instid0(VALU_DEP_3) | instskip(NEXT) | instid1(VALU_DEP_1)
	v_add_co_u32 v8, s0, v2, s4
	v_add_co_ci_u32_e64 v9, s0, s5, v3, s0
	v_mov_b32_e32 v27, v5
	s_delay_alu instid0(VALU_DEP_3) | instskip(NEXT) | instid1(VALU_DEP_1)
	v_add_co_u32 v10, s0, v8, s4
	v_add_co_ci_u32_e64 v11, s0, s5, v9, s0
	global_load_b32 v31, v[0:1], off offset:128
	global_load_b32 v32, v[2:3], off offset:128
	;; [unrolled: 1-line block ×4, first 2 shown]
	v_mov_b32_e32 v8, v15
	v_mad_u64_u32 v[0:1], null, v4, s8, 0
	v_mad_u64_u32 v[2:3], null, v12, s8, 0
	v_mov_b32_e32 v29, v5
	v_mov_b32_e32 v28, v5
	s_delay_alu instid0(VALU_DEP_3) | instskip(NEXT) | instid1(VALU_DEP_4)
	v_mad_u64_u32 v[9:10], null, v4, s9, v[1:2]
	v_mad_u64_u32 v[10:11], null, v12, s9, v[3:4]
	s_lshl_b64 s[8:9], s[6:7], 7
	s_delay_alu instid0(VALU_DEP_2) | instskip(SKIP_2) | instid1(VALU_DEP_2)
	v_mad_u64_u32 v[11:12], null, v24, s7, v[8:9]
	v_lshl_or_b32 v8, v25, 7, v26
	v_mov_b32_e32 v1, v9
	v_dual_mov_b32 v3, v10 :: v_dual_add_nc_u32 v30, 0x800, v8
	s_delay_alu instid0(VALU_DEP_4) | instskip(NEXT) | instid1(VALU_DEP_3)
	v_dual_mov_b32 v8, s10 :: v_dual_mov_b32 v15, v11
	v_lshlrev_b64 v[10:11], 2, v[0:1]
	s_delay_alu instid0(VALU_DEP_3)
	v_lshlrev_b64 v[12:13], 2, v[2:3]
	v_mov_b32_e32 v9, s11
	s_add_i32 s10, s16, -1
	v_lshlrev_b64 v[14:15], 2, v[14:15]
	s_waitcnt vmcnt(2)
	v_dual_mov_b32 v37, v31 :: v_dual_mov_b32 v38, v32
	s_waitcnt vmcnt(0)
	v_dual_mov_b32 v39, v33 :: v_dual_mov_b32 v40, v35
.LBB78_13:                              ; =>This Loop Header: Depth=1
                                        ;     Child Loop BB78_17 Depth 2
	v_add_co_u32 v16, s0, s18, v6
	s_delay_alu instid0(VALU_DEP_1) | instskip(SKIP_1) | instid1(VALU_DEP_2)
	v_add_co_ci_u32_e64 v17, s0, s19, v7, s0
	s_add_u32 s14, s14, s2
	v_add_co_u32 v18, s0, v16, s4
	s_delay_alu instid0(VALU_DEP_1) | instskip(SKIP_2) | instid1(VALU_DEP_1)
	v_add_co_ci_u32_e64 v19, s0, s5, v17, s0
	s_addc_u32 s15, s15, s3
	v_add_co_u32 v0, s0, s14, v10
	v_add_co_ci_u32_e64 v1, s0, s15, v11, s0
	v_add_co_u32 v20, s0, v18, s4
	s_delay_alu instid0(VALU_DEP_1) | instskip(SKIP_1) | instid1(VALU_DEP_1)
	v_add_co_ci_u32_e64 v21, s0, s5, v19, s0
	v_add_co_u32 v2, s0, s14, v12
	v_add_co_ci_u32_e64 v3, s0, s15, v13, s0
	s_delay_alu instid0(VALU_DEP_4) | instskip(NEXT) | instid1(VALU_DEP_1)
	v_add_co_u32 v22, s0, v20, s4
	v_add_co_ci_u32_e64 v23, s0, s5, v21, s0
	s_clause 0x1
	global_load_b32 v45, v[0:1], off
	global_load_b32 v41, v[2:3], off
	s_clause 0x3
	global_load_b32 v46, v[16:17], off offset:64
	global_load_b32 v43, v[18:19], off offset:64
	;; [unrolled: 1-line block ×4, first 2 shown]
	ds_load_b128 v[0:3], v34
	s_cmp_eq_u32 s17, s10
	s_cbranch_scc1 .LBB78_15
; %bb.14:                               ;   in Loop: Header=BB78_13 Depth=1
	s_clause 0x3
	global_load_b32 v37, v[16:17], off offset:128
	global_load_b32 v38, v[18:19], off offset:128
	;; [unrolled: 1-line block ×4, first 2 shown]
.LBB78_15:                              ;   in Loop: Header=BB78_13 Depth=1
	s_waitcnt lgkmcnt(0)
	v_fma_f32 v16, v31, v0, 0
	s_waitcnt vmcnt(3)
	v_fma_f32 v0, v46, v0, 0
	s_waitcnt vmcnt(0)
	s_barrier
	buffer_gl0_inv
	v_fmac_f32_e32 v16, v32, v1
	v_fmac_f32_e32 v0, v43, v1
	s_delay_alu instid0(VALU_DEP_2) | instskip(NEXT) | instid1(VALU_DEP_2)
	v_fmac_f32_e32 v16, v33, v2
	v_fmac_f32_e32 v0, v42, v2
	s_delay_alu instid0(VALU_DEP_2) | instskip(NEXT) | instid1(VALU_DEP_2)
	v_fmac_f32_e32 v16, v35, v3
	v_fmac_f32_e32 v0, v44, v3
	ds_store_2addr_b32 v30, v16, v0 offset1:16
	s_waitcnt lgkmcnt(0)
	s_barrier
	buffer_gl0_inv
	s_and_saveexec_b32 s11, vcc_lo
	s_cbranch_execz .LBB78_19
; %bb.16:                               ;   in Loop: Header=BB78_13 Depth=1
	v_add_co_u32 v8, s0, v8, s8
	s_delay_alu instid0(VALU_DEP_1) | instskip(SKIP_1) | instid1(VALU_DEP_2)
	v_add_co_ci_u32_e64 v9, s0, s9, v9, s0
	s_mov_b32 s20, 0
	v_add_co_u32 v0, s0, v8, v14
	s_delay_alu instid0(VALU_DEP_1)
	v_add_co_ci_u32_e64 v1, s0, v9, v15, s0
	global_load_b32 v3, v[0:1], off
	ds_load_2addr_b32 v[16:17], v36 offset1:32
	ds_load_2addr_b32 v[18:19], v36 offset0:64 offset1:96
	ds_load_2addr_b32 v[20:21], v36 offset0:128 offset1:160
	s_waitcnt lgkmcnt(2)
	v_add_f32_e32 v2, 0, v16
	s_delay_alu instid0(VALU_DEP_1) | instskip(SKIP_3) | instid1(VALU_DEP_1)
	v_add_f32_e32 v2, v2, v17
	ds_load_2addr_b32 v[16:17], v36 offset0:192 offset1:224
	s_waitcnt lgkmcnt(2)
	v_add_f32_e32 v2, v2, v18
	v_add_f32_e32 v2, v2, v19
	s_waitcnt lgkmcnt(1)
	s_delay_alu instid0(VALU_DEP_1) | instskip(NEXT) | instid1(VALU_DEP_1)
	v_add_f32_e32 v2, v2, v20
	v_add_f32_e32 v2, v2, v21
	s_waitcnt lgkmcnt(0)
	s_delay_alu instid0(VALU_DEP_1) | instskip(NEXT) | instid1(VALU_DEP_1)
	v_add_f32_e32 v2, v2, v16
	v_add_f32_e32 v2, v2, v17
	s_delay_alu instid0(VALU_DEP_1)
	v_mul_f32_e32 v16, s12, v2
.LBB78_17:                              ;   Parent Loop BB78_13 Depth=1
                                        ; =>  This Inner Loop Header: Depth=2
	s_waitcnt vmcnt(0)
	s_delay_alu instid0(VALU_DEP_1) | instskip(SKIP_4) | instid1(VALU_DEP_2)
	v_add_f32_e32 v2, v3, v16
	global_atomic_cmpswap_b32 v2, v[0:1], v[2:3], off glc
	s_waitcnt vmcnt(0)
	v_cmp_eq_u32_e64 s0, v2, v3
	v_mov_b32_e32 v3, v2
	s_or_b32 s20, s0, s20
	s_delay_alu instid0(SALU_CYCLE_1)
	s_and_not1_b32 exec_lo, exec_lo, s20
	s_cbranch_execnz .LBB78_17
; %bb.18:                               ;   in Loop: Header=BB78_13 Depth=1
	s_or_b32 exec_lo, exec_lo, s20
.LBB78_19:                              ;   in Loop: Header=BB78_13 Depth=1
	s_delay_alu instid0(SALU_CYCLE_1)
	s_or_b32 exec_lo, exec_lo, s11
	v_fmac_f32_e32 v5, v45, v31
	v_fmac_f32_e32 v29, v45, v32
	;; [unrolled: 1-line block ×4, first 2 shown]
	s_add_u32 s18, s18, 0x80
	v_fmac_f32_e32 v5, v41, v46
	v_fmac_f32_e32 v29, v41, v43
	v_fmac_f32_e32 v28, v41, v42
	v_fmac_f32_e32 v27, v41, v44
	s_addc_u32 s19, s19, 0
	s_add_i32 s17, s17, 1
	s_delay_alu instid0(SALU_CYCLE_1)
	s_cmp_eq_u32 s17, s16
	s_cbranch_scc1 .LBB78_21
; %bb.20:                               ;   in Loop: Header=BB78_13 Depth=1
	v_dual_mov_b32 v31, v37 :: v_dual_mov_b32 v32, v38
	v_mov_b32_e32 v33, v39
	v_mov_b32_e32 v35, v40
	s_branch .LBB78_13
.LBB78_21:
	v_lshl_or_b32 v0, v25, 8, v26
	ds_store_2addr_b32 v0, v5, v29 offset1:16
	ds_store_2addr_b32 v0, v28, v27 offset0:32 offset1:48
	s_waitcnt lgkmcnt(0)
	s_barrier
	buffer_gl0_inv
	s_and_saveexec_b32 s0, vcc_lo
	s_cbranch_execz .LBB78_24
; %bb.22:
	v_mad_u64_u32 v[0:1], null, v24, s6, 0
	v_add_nc_u32_e32 v5, 1, v24
	v_add_nc_u32_e32 v7, 3, v24
	;; [unrolled: 1-line block ×6, first 2 shown]
	v_mad_u64_u32 v[2:3], null, v24, s7, v[1:2]
	s_mov_b32 s0, 0
	s_delay_alu instid0(VALU_DEP_1) | instskip(NEXT) | instid1(VALU_DEP_1)
	v_dual_mov_b32 v1, v2 :: v_dual_lshlrev_b32 v2, 4, v24
	v_lshlrev_b64 v[0:1], 2, v[0:1]
	s_delay_alu instid0(VALU_DEP_2)
	v_or_b32_e32 v4, v4, v2
	v_and_or_b32 v5, v5, 15, v2
	v_and_or_b32 v7, v7, 15, v2
	v_and_or_b32 v9, v9, 15, v2
	v_and_or_b32 v10, v10, 15, v2
	v_add_co_u32 v0, vcc_lo, s1, v0
	v_add_co_ci_u32_e32 v1, vcc_lo, s13, v1, vcc_lo
	v_lshlrev_b32_e32 v8, 2, v4
	v_and_or_b32 v11, v11, 15, v2
	v_and_or_b32 v12, v12, 15, v2
	global_load_b32 v3, v[0:1], off
	v_lshlrev_b32_e32 v7, 2, v7
	ds_load_b32 v8, v8
	v_lshlrev_b32_e32 v5, 2, v5
	v_lshlrev_b32_e32 v9, 2, v9
	;; [unrolled: 1-line block ×5, first 2 shown]
	ds_load_b32 v5, v5
	v_add_nc_u32_e32 v6, 2, v24
	v_xor_b32_e32 v4, 8, v4
	s_delay_alu instid0(VALU_DEP_2) | instskip(NEXT) | instid1(VALU_DEP_2)
	v_and_or_b32 v6, v6, 15, v2
	v_lshlrev_b32_e32 v4, 2, v4
	s_delay_alu instid0(VALU_DEP_2)
	v_lshlrev_b32_e32 v6, 2, v6
	ds_load_b32 v6, v6
	ds_load_b32 v7, v7
	;; [unrolled: 1-line block ×6, first 2 shown]
	s_waitcnt lgkmcnt(7)
	v_add_f32_e32 v8, 0, v8
	ds_load_b32 v4, v4
	s_waitcnt lgkmcnt(7)
	v_dual_add_f32 v5, v8, v5 :: v_dual_add_nc_u32 v8, 11, v24
	s_delay_alu instid0(VALU_DEP_1) | instskip(SKIP_1) | instid1(VALU_DEP_1)
	v_and_or_b32 v8, v8, 15, v2
	s_waitcnt lgkmcnt(6)
	v_dual_add_f32 v5, v5, v6 :: v_dual_lshlrev_b32 v8, 2, v8
	s_waitcnt lgkmcnt(5)
	s_delay_alu instid0(VALU_DEP_1) | instskip(SKIP_1) | instid1(VALU_DEP_2)
	v_dual_add_f32 v5, v5, v7 :: v_dual_add_nc_u32 v6, 9, v24
	v_add_nc_u32_e32 v7, 10, v24
	v_and_or_b32 v6, v6, 15, v2
	s_waitcnt lgkmcnt(4)
	s_delay_alu instid0(VALU_DEP_3) | instskip(NEXT) | instid1(VALU_DEP_3)
	v_add_f32_e32 v5, v5, v9
	v_and_or_b32 v7, v7, 15, v2
	v_add_nc_u32_e32 v9, 12, v24
	v_lshlrev_b32_e32 v6, 2, v6
	s_waitcnt lgkmcnt(3)
	v_add_f32_e32 v5, v5, v10
	v_lshlrev_b32_e32 v7, 2, v7
	v_add_nc_u32_e32 v10, 13, v24
	v_and_or_b32 v9, v9, 15, v2
	ds_load_b32 v6, v6
	s_waitcnt lgkmcnt(3)
	v_add_f32_e32 v5, v5, v11
	ds_load_b32 v7, v7
	v_add_nc_u32_e32 v11, 14, v24
	v_and_or_b32 v10, v10, 15, v2
	v_lshlrev_b32_e32 v9, 2, v9
	s_waitcnt lgkmcnt(3)
	v_add_f32_e32 v5, v5, v12
	v_add_nc_u32_e32 v12, -1, v24
	v_and_or_b32 v11, v11, 15, v2
	v_lshlrev_b32_e32 v10, 2, v10
	s_waitcnt lgkmcnt(2)
	v_add_f32_e32 v4, v5, v4
	v_and_or_b32 v2, v12, 15, v2
	v_lshlrev_b32_e32 v11, 2, v11
	s_delay_alu instid0(VALU_DEP_2)
	v_lshlrev_b32_e32 v2, 2, v2
	ds_load_b32 v8, v8
	ds_load_b32 v9, v9
	;; [unrolled: 1-line block ×5, first 2 shown]
	s_waitcnt lgkmcnt(6)
	v_add_f32_e32 v4, v4, v6
	s_waitcnt lgkmcnt(5)
	s_delay_alu instid0(VALU_DEP_1) | instskip(SKIP_1) | instid1(VALU_DEP_1)
	v_add_f32_e32 v4, v4, v7
	s_waitcnt lgkmcnt(4)
	v_add_f32_e32 v4, v4, v8
	s_waitcnt lgkmcnt(3)
	s_delay_alu instid0(VALU_DEP_1) | instskip(SKIP_1) | instid1(VALU_DEP_1)
	v_add_f32_e32 v4, v4, v9
	;; [unrolled: 5-line block ×3, first 2 shown]
	s_waitcnt lgkmcnt(0)
	v_add_f32_e32 v2, v4, v2
	s_delay_alu instid0(VALU_DEP_1)
	v_mul_f32_e32 v4, s12, v2
.LBB78_23:                              ; =>This Inner Loop Header: Depth=1
	s_waitcnt vmcnt(0)
	s_delay_alu instid0(VALU_DEP_1)
	v_add_f32_e32 v2, v3, v4
	global_atomic_cmpswap_b32 v2, v[0:1], v[2:3], off glc
	s_waitcnt vmcnt(0)
	v_cmp_eq_u32_e32 vcc_lo, v2, v3
	v_mov_b32_e32 v3, v2
	s_or_b32 s0, vcc_lo, s0
	s_delay_alu instid0(SALU_CYCLE_1)
	s_and_not1_b32 exec_lo, exec_lo, s0
	s_cbranch_execnz .LBB78_23
.LBB78_24:
	s_endpgm
	.section	.rodata,"a",@progbits
	.p2align	6, 0x0
	.amdhsa_kernel _ZL54rocblas_symv_kernel_lower_double_buffered_non_diagonalILi32ELi4ELi4E24rocblas_internal_val_ptrIfEPKfPfEvbiT2_lT3_lllS6_lllT4_llli
		.amdhsa_group_segment_fixed_size 3200
		.amdhsa_private_segment_fixed_size 0
		.amdhsa_kernarg_size 384
		.amdhsa_user_sgpr_count 13
		.amdhsa_user_sgpr_dispatch_ptr 0
		.amdhsa_user_sgpr_queue_ptr 0
		.amdhsa_user_sgpr_kernarg_segment_ptr 1
		.amdhsa_user_sgpr_dispatch_id 0
		.amdhsa_user_sgpr_private_segment_size 0
		.amdhsa_wavefront_size32 1
		.amdhsa_uses_dynamic_stack 0
		.amdhsa_enable_private_segment 0
		.amdhsa_system_sgpr_workgroup_id_x 1
		.amdhsa_system_sgpr_workgroup_id_y 1
		.amdhsa_system_sgpr_workgroup_id_z 1
		.amdhsa_system_sgpr_workgroup_info 0
		.amdhsa_system_vgpr_workitem_id 1
		.amdhsa_next_free_vgpr 47
		.amdhsa_next_free_sgpr 32
		.amdhsa_reserve_vcc 1
		.amdhsa_float_round_mode_32 0
		.amdhsa_float_round_mode_16_64 0
		.amdhsa_float_denorm_mode_32 3
		.amdhsa_float_denorm_mode_16_64 3
		.amdhsa_dx10_clamp 1
		.amdhsa_ieee_mode 1
		.amdhsa_fp16_overflow 0
		.amdhsa_workgroup_processor_mode 1
		.amdhsa_memory_ordered 1
		.amdhsa_forward_progress 0
		.amdhsa_shared_vgpr_count 0
		.amdhsa_exception_fp_ieee_invalid_op 0
		.amdhsa_exception_fp_denorm_src 0
		.amdhsa_exception_fp_ieee_div_zero 0
		.amdhsa_exception_fp_ieee_overflow 0
		.amdhsa_exception_fp_ieee_underflow 0
		.amdhsa_exception_fp_ieee_inexact 0
		.amdhsa_exception_int_div_zero 0
	.end_amdhsa_kernel
	.section	.text._ZL54rocblas_symv_kernel_lower_double_buffered_non_diagonalILi32ELi4ELi4E24rocblas_internal_val_ptrIfEPKfPfEvbiT2_lT3_lllS6_lllT4_llli,"axG",@progbits,_ZL54rocblas_symv_kernel_lower_double_buffered_non_diagonalILi32ELi4ELi4E24rocblas_internal_val_ptrIfEPKfPfEvbiT2_lT3_lllS6_lllT4_llli,comdat
.Lfunc_end78:
	.size	_ZL54rocblas_symv_kernel_lower_double_buffered_non_diagonalILi32ELi4ELi4E24rocblas_internal_val_ptrIfEPKfPfEvbiT2_lT3_lllS6_lllT4_llli, .Lfunc_end78-_ZL54rocblas_symv_kernel_lower_double_buffered_non_diagonalILi32ELi4ELi4E24rocblas_internal_val_ptrIfEPKfPfEvbiT2_lT3_lllS6_lllT4_llli
                                        ; -- End function
	.section	.AMDGPU.csdata,"",@progbits
; Kernel info:
; codeLenInByte = 2580
; NumSgprs: 34
; NumVgprs: 47
; ScratchSize: 0
; MemoryBound: 0
; FloatMode: 240
; IeeeMode: 1
; LDSByteSize: 3200 bytes/workgroup (compile time only)
; SGPRBlocks: 4
; VGPRBlocks: 5
; NumSGPRsForWavesPerEU: 34
; NumVGPRsForWavesPerEU: 47
; Occupancy: 16
; WaveLimiterHint : 0
; COMPUTE_PGM_RSRC2:SCRATCH_EN: 0
; COMPUTE_PGM_RSRC2:USER_SGPR: 13
; COMPUTE_PGM_RSRC2:TRAP_HANDLER: 0
; COMPUTE_PGM_RSRC2:TGID_X_EN: 1
; COMPUTE_PGM_RSRC2:TGID_Y_EN: 1
; COMPUTE_PGM_RSRC2:TGID_Z_EN: 1
; COMPUTE_PGM_RSRC2:TIDIG_COMP_CNT: 1
	.section	.text._ZL58rocblas_symv_kernel_lower_double_buffered_diagonal_genericILi32ELi4E24rocblas_internal_val_ptrIfEPKfPfEvbiT1_lT2_lllS6_lllS5_lT3_lllii,"axG",@progbits,_ZL58rocblas_symv_kernel_lower_double_buffered_diagonal_genericILi32ELi4E24rocblas_internal_val_ptrIfEPKfPfEvbiT1_lT2_lllS6_lllS5_lT3_lllii,comdat
	.globl	_ZL58rocblas_symv_kernel_lower_double_buffered_diagonal_genericILi32ELi4E24rocblas_internal_val_ptrIfEPKfPfEvbiT1_lT2_lllS6_lllS5_lT3_lllii ; -- Begin function _ZL58rocblas_symv_kernel_lower_double_buffered_diagonal_genericILi32ELi4E24rocblas_internal_val_ptrIfEPKfPfEvbiT1_lT2_lllS6_lllS5_lT3_lllii
	.p2align	8
	.type	_ZL58rocblas_symv_kernel_lower_double_buffered_diagonal_genericILi32ELi4E24rocblas_internal_val_ptrIfEPKfPfEvbiT1_lT2_lllS6_lllS5_lT3_lllii,@function
_ZL58rocblas_symv_kernel_lower_double_buffered_diagonal_genericILi32ELi4E24rocblas_internal_val_ptrIfEPKfPfEvbiT1_lT2_lllS6_lllS5_lT3_lllii: ; @_ZL58rocblas_symv_kernel_lower_double_buffered_diagonal_genericILi32ELi4E24rocblas_internal_val_ptrIfEPKfPfEvbiT1_lT2_lllS6_lllS5_lT3_lllii
; %bb.0:
	s_clause 0x1
	s_load_b32 s2, s[0:1], 0x0
	s_load_b512 s[16:31], s[0:1], 0x8
	s_mov_b32 s3, -1
                                        ; implicit-def: $sgpr12
	s_waitcnt lgkmcnt(0)
	s_bitcmp1_b32 s2, 0
	s_cselect_b32 s2, -1, 0
	s_delay_alu instid0(SALU_CYCLE_1) | instskip(NEXT) | instid1(SALU_CYCLE_1)
	s_xor_b32 s2, s2, -1
	s_and_b32 vcc_lo, exec_lo, s2
	s_cbranch_vccnz .LBB79_13
; %bb.1:
	s_load_b256 s[4:11], s[0:1], 0x48
	s_and_not1_b32 vcc_lo, exec_lo, s3
	s_cbranch_vccz .LBB79_14
.LBB79_2:
	s_and_not1_b32 vcc_lo, exec_lo, s2
	s_cbranch_vccnz .LBB79_4
.LBB79_3:
	s_waitcnt lgkmcnt(0)
	s_mul_i32 s2, s15, s11
	s_mul_hi_u32 s3, s15, s10
	s_delay_alu instid0(SALU_CYCLE_1) | instskip(SKIP_1) | instid1(SALU_CYCLE_1)
	s_add_i32 s3, s3, s2
	s_mul_i32 s2, s15, s10
	s_lshl_b64 s[2:3], s[2:3], 2
	s_delay_alu instid0(SALU_CYCLE_1)
	s_add_u32 s2, s8, s2
	s_addc_u32 s3, s9, s3
	s_load_b32 s8, s[2:3], 0x0
.LBB79_4:
	s_waitcnt lgkmcnt(0)
	v_cmp_eq_f32_e64 s2, s12, 0
	v_cmp_eq_f32_e64 s3, s8, 1.0
	s_delay_alu instid0(VALU_DEP_1) | instskip(NEXT) | instid1(SALU_CYCLE_1)
	s_and_b32 s2, s2, s3
	s_and_b32 vcc_lo, exec_lo, s2
	s_cbranch_vccnz .LBB79_12
; %bb.5:
	s_clause 0x3
	s_load_b64 s[2:3], s[0:1], 0x80
	s_load_b64 s[10:11], s[0:1], 0x68
	s_load_b128 s[16:19], s[0:1], 0x70
	s_load_b32 s9, s[0:1], 0x88
	v_bfe_u32 v9, v0, 10, 10
	v_and_b32_e32 v8, 0x3ff, v0
	s_waitcnt lgkmcnt(0)
	s_mul_i32 s3, s15, s3
	s_mul_hi_u32 s13, s15, s2
	s_mul_i32 s2, s15, s2
	s_add_i32 s3, s13, s3
	s_delay_alu instid0(SALU_CYCLE_1) | instskip(NEXT) | instid1(SALU_CYCLE_1)
	s_lshl_b64 s[2:3], s[2:3], 2
	s_add_u32 s10, s10, s2
	s_addc_u32 s11, s11, s3
	s_lshl_b64 s[2:3], s[16:17], 2
	s_delay_alu instid0(SALU_CYCLE_1) | instskip(SKIP_2) | instid1(SALU_CYCLE_1)
	s_add_u32 s13, s10, s2
	s_addc_u32 s16, s11, s3
	s_lshl_b32 s10, s14, 5
	s_mul_i32 s2, s10, s19
	s_mul_hi_u32 s3, s10, s18
	s_ashr_i32 s11, s10, 31
	s_add_i32 s3, s3, s2
	s_mul_i32 s17, s11, s18
	s_mul_i32 s2, s10, s18
	s_add_i32 s3, s3, s17
	v_cmp_neq_f32_e64 s17, s12, 0
	s_lshl_b64 s[2:3], s[2:3], 2
	s_delay_alu instid0(SALU_CYCLE_1)
	s_add_u32 s13, s13, s2
	v_cmp_eq_u32_e64 s2, 0, v9
	s_addc_u32 s16, s16, s3
	s_and_b32 vcc_lo, exec_lo, s17
	s_cbranch_vccnz .LBB79_15
; %bb.6:
	s_mov_b32 s3, 0
	s_and_saveexec_b32 s17, s2
	s_cbranch_execz .LBB79_11
; %bb.7:
	v_cmp_gt_i32_e64 s2, s9, v8
	s_mov_b32 s33, exec_lo
	v_cmpx_le_i32_e64 s9, v8
	s_cbranch_execz .LBB79_9
; %bb.8:
	s_load_b32 s34, s[0:1], 0x90
	s_waitcnt lgkmcnt(0)
	s_add_i32 s34, s34, -1
	s_delay_alu instid0(SALU_CYCLE_1) | instskip(SKIP_3) | instid1(SALU_CYCLE_1)
	s_cmp_lt_u32 s14, s34
	s_cselect_b32 s34, -1, 0
	s_and_not1_b32 s2, s2, exec_lo
	s_and_b32 s34, s34, exec_lo
	s_or_b32 s2, s2, s34
.LBB79_9:
	s_or_b32 exec_lo, exec_lo, s33
	s_delay_alu instid0(SALU_CYCLE_1)
	s_and_b32 exec_lo, exec_lo, s2
	s_cbranch_execz .LBB79_11
; %bb.10:
	v_mad_u64_u32 v[0:1], null, v8, s18, 0
	s_delay_alu instid0(VALU_DEP_1) | instskip(NEXT) | instid1(VALU_DEP_1)
	v_mad_u64_u32 v[2:3], null, v8, s19, v[1:2]
	v_mov_b32_e32 v1, v2
	s_delay_alu instid0(VALU_DEP_1) | instskip(NEXT) | instid1(VALU_DEP_1)
	v_lshlrev_b64 v[0:1], 2, v[0:1]
	v_add_co_u32 v0, vcc_lo, s13, v0
	s_delay_alu instid0(VALU_DEP_2)
	v_add_co_ci_u32_e32 v1, vcc_lo, s16, v1, vcc_lo
	global_load_b32 v2, v[0:1], off
	s_waitcnt vmcnt(0)
	v_mul_f32_e32 v2, s8, v2
	global_store_b32 v[0:1], v2, off
.LBB79_11:
	s_or_b32 exec_lo, exec_lo, s17
	s_delay_alu instid0(SALU_CYCLE_1)
	s_and_not1_b32 vcc_lo, exec_lo, s3
	s_cbranch_vccz .LBB79_16
.LBB79_12:
	s_nop 0
	s_sendmsg sendmsg(MSG_DEALLOC_VGPRS)
	s_endpgm
.LBB79_13:
	s_mul_i32 s3, s15, s19
	s_mul_hi_u32 s4, s15, s18
	s_delay_alu instid0(SALU_CYCLE_1) | instskip(SKIP_1) | instid1(SALU_CYCLE_1)
	s_add_i32 s5, s4, s3
	s_mul_i32 s4, s15, s18
	s_lshl_b64 s[4:5], s[4:5], 2
	s_delay_alu instid0(SALU_CYCLE_1)
	s_add_u32 s4, s16, s4
	s_addc_u32 s5, s17, s5
	s_load_b32 s12, s[4:5], 0x0
	s_load_b256 s[4:11], s[0:1], 0x48
	s_cbranch_execnz .LBB79_2
.LBB79_14:
	s_waitcnt lgkmcnt(0)
	s_mov_b32 s12, s16
	s_and_not1_b32 vcc_lo, exec_lo, s2
	s_cbranch_vccz .LBB79_3
	s_branch .LBB79_4
.LBB79_15:
.LBB79_16:
	s_mul_i32 s2, s15, s7
	s_mul_hi_u32 s3, s15, s6
	s_mul_hi_u32 s7, s10, s4
	s_add_i32 s3, s3, s2
	s_mul_i32 s2, s15, s6
	s_load_b32 s6, s[0:1], 0x90
	s_lshl_b64 s[0:1], s[2:3], 2
	v_mov_b32_e32 v10, 0
	s_add_u32 s2, s28, s0
	s_addc_u32 s3, s29, s1
	s_lshl_b64 s[0:1], s[30:31], 2
	s_delay_alu instid0(SALU_CYCLE_1) | instskip(SKIP_4) | instid1(SALU_CYCLE_1)
	s_add_u32 s2, s2, s0
	s_mul_i32 s0, s10, s5
	s_addc_u32 s3, s3, s1
	s_add_i32 s0, s7, s0
	s_mul_i32 s1, s11, s4
	s_add_i32 s1, s0, s1
	s_mul_i32 s0, s10, s4
	s_delay_alu instid0(SALU_CYCLE_1) | instskip(NEXT) | instid1(SALU_CYCLE_1)
	s_lshl_b64 s[0:1], s[0:1], 2
	s_add_u32 s2, s2, s0
	s_addc_u32 s3, s3, s1
	s_waitcnt lgkmcnt(0)
	s_add_i32 s6, s6, -1
	v_cmp_eq_u32_e64 s0, 0, v9
	s_cmp_lg_u32 s14, s6
	s_mov_b32 s6, -1
	s_cselect_b32 s1, -1, 0
	s_delay_alu instid0(SALU_CYCLE_1)
	s_and_b32 vcc_lo, exec_lo, s1
	s_cbranch_vccz .LBB79_21
; %bb.17:
	s_and_saveexec_b32 s6, s0
	s_cbranch_execz .LBB79_20
; %bb.18:
	v_mad_u64_u32 v[0:1], null, v8, s4, 0
	v_cmp_eq_f32_e64 s7, s8, 0
	v_mov_b32_e32 v10, 0
	s_delay_alu instid0(VALU_DEP_3) | instskip(NEXT) | instid1(VALU_DEP_1)
	v_mad_u64_u32 v[2:3], null, v8, s5, v[1:2]
	v_mov_b32_e32 v1, v2
	s_delay_alu instid0(VALU_DEP_1) | instskip(NEXT) | instid1(VALU_DEP_1)
	v_lshlrev_b64 v[0:1], 2, v[0:1]
	v_add_co_u32 v0, vcc_lo, s2, v0
	s_delay_alu instid0(VALU_DEP_2)
	v_add_co_ci_u32_e32 v1, vcc_lo, s3, v1, vcc_lo
	s_and_b32 vcc_lo, exec_lo, s7
	global_load_b32 v0, v[0:1], off
	v_lshlrev_b32_e32 v1, 2, v8
	s_waitcnt vmcnt(0)
	ds_store_b32 v1, v0 offset:5120
	s_cbranch_vccnz .LBB79_20
; %bb.19:
	v_mad_u64_u32 v[0:1], null, v8, s18, 0
	s_delay_alu instid0(VALU_DEP_1) | instskip(NEXT) | instid1(VALU_DEP_1)
	v_mad_u64_u32 v[2:3], null, v8, s19, v[1:2]
	v_mov_b32_e32 v1, v2
	s_delay_alu instid0(VALU_DEP_1) | instskip(NEXT) | instid1(VALU_DEP_1)
	v_lshlrev_b64 v[0:1], 2, v[0:1]
	v_add_co_u32 v0, vcc_lo, s13, v0
	s_delay_alu instid0(VALU_DEP_2)
	v_add_co_ci_u32_e32 v1, vcc_lo, s16, v1, vcc_lo
	global_load_b32 v0, v[0:1], off
	s_waitcnt vmcnt(0)
	v_mul_f32_e32 v10, s8, v0
.LBB79_20:
	s_or_b32 exec_lo, exec_lo, s6
	s_cbranch_execz .LBB79_22
	s_branch .LBB79_30
.LBB79_21:
                                        ; implicit-def: $vgpr10
	s_and_not1_b32 vcc_lo, exec_lo, s6
	s_cbranch_vccnz .LBB79_30
.LBB79_22:
	v_mov_b32_e32 v10, 0
	s_and_saveexec_b32 s6, s0
	s_cbranch_execz .LBB79_29
; %bb.23:
	s_mov_b32 s7, exec_lo
                                        ; implicit-def: $sgpr14
	v_cmpx_le_i32_e64 s9, v8
	s_xor_b32 s7, exec_lo, s7
	s_cbranch_execz .LBB79_25
; %bb.24:
	v_dual_mov_b32 v1, 0 :: v_dual_lshlrev_b32 v0, 2, v8
	s_mov_b32 s14, 0
	ds_store_b32 v0, v1 offset:5120
.LBB79_25:
	s_or_saveexec_b32 s7, s7
	v_mov_b32_e32 v10, s14
	s_xor_b32 exec_lo, exec_lo, s7
	s_cbranch_execz .LBB79_28
; %bb.26:
	v_mad_u64_u32 v[0:1], null, v8, s4, 0
	v_mov_b32_e32 v10, 0
	s_delay_alu instid0(VALU_DEP_2) | instskip(NEXT) | instid1(VALU_DEP_1)
	v_mad_u64_u32 v[2:3], null, v8, s5, v[1:2]
	v_mov_b32_e32 v1, v2
	s_delay_alu instid0(VALU_DEP_1) | instskip(NEXT) | instid1(VALU_DEP_1)
	v_lshlrev_b64 v[0:1], 2, v[0:1]
	v_add_co_u32 v0, vcc_lo, s2, v0
	s_delay_alu instid0(VALU_DEP_2)
	v_add_co_ci_u32_e32 v1, vcc_lo, s3, v1, vcc_lo
	v_cmp_eq_f32_e64 s2, s8, 0
	global_load_b32 v0, v[0:1], off
	v_lshlrev_b32_e32 v1, 2, v8
	s_and_b32 vcc_lo, exec_lo, s2
	s_waitcnt vmcnt(0)
	ds_store_b32 v1, v0 offset:5120
	s_cbranch_vccnz .LBB79_28
; %bb.27:
	v_mad_u64_u32 v[0:1], null, v8, s18, 0
	s_delay_alu instid0(VALU_DEP_1) | instskip(NEXT) | instid1(VALU_DEP_1)
	v_mad_u64_u32 v[2:3], null, v8, s19, v[1:2]
	v_mov_b32_e32 v1, v2
	s_delay_alu instid0(VALU_DEP_1) | instskip(NEXT) | instid1(VALU_DEP_1)
	v_lshlrev_b64 v[0:1], 2, v[0:1]
	v_add_co_u32 v0, vcc_lo, s13, v0
	s_delay_alu instid0(VALU_DEP_2)
	v_add_co_ci_u32_e32 v1, vcc_lo, s16, v1, vcc_lo
	global_load_b32 v0, v[0:1], off
	s_waitcnt vmcnt(0)
	v_mul_f32_e32 v10, s8, v0
.LBB79_28:
	s_or_b32 exec_lo, exec_lo, s7
.LBB79_29:
	s_delay_alu instid0(SALU_CYCLE_1)
	s_or_b32 exec_lo, exec_lo, s6
.LBB79_30:
	v_mad_u64_u32 v[0:1], null, v9, s24, 0
	s_mul_i32 s3, s15, s27
	s_mul_hi_u32 s4, s15, s26
	s_mul_i32 s2, s15, s26
	s_add_i32 s3, s4, s3
	v_lshl_add_u32 v13, v9, 5, v8
	s_lshl_b64 s[4:5], s[2:3], 2
	s_delay_alu instid0(VALU_DEP_2)
	v_mad_u64_u32 v[2:3], null, v9, s25, v[1:2]
	s_add_u32 s6, s20, s4
	s_addc_u32 s7, s21, s5
	s_lshl_b64 s[2:3], s[22:23], 2
	v_lshlrev_b32_e32 v11, 2, v8
	s_add_u32 s14, s6, s2
	s_addc_u32 s15, s7, s3
	s_add_u32 s6, s24, 1
	v_dual_mov_b32 v1, v2 :: v_dual_lshlrev_b32 v12, 2, v13
	s_addc_u32 s7, s25, 0
	s_mul_i32 s11, s6, s11
	s_mul_hi_u32 s17, s6, s10
	s_mul_i32 s7, s7, s10
	s_add_i32 s11, s17, s11
	s_mul_i32 s6, s6, s10
	s_add_i32 s7, s11, s7
	v_lshlrev_b64 v[0:1], 2, v[0:1]
	s_lshl_b64 s[6:7], s[6:7], 2
	s_delay_alu instid0(SALU_CYCLE_1) | instskip(SKIP_2) | instid1(VALU_DEP_1)
	s_add_u32 s10, s14, s6
	s_addc_u32 s11, s15, s7
	s_mov_b32 s14, 0
	v_add_co_u32 v14, vcc_lo, s10, v0
	v_add_co_ci_u32_e32 v15, vcc_lo, s11, v1, vcc_lo
	s_delay_alu instid0(VALU_DEP_2) | instskip(NEXT) | instid1(VALU_DEP_2)
	v_add_co_u32 v0, vcc_lo, v14, v11
	v_add_co_ci_u32_e32 v1, vcc_lo, 0, v15, vcc_lo
	s_and_not1_b32 vcc_lo, exec_lo, s1
	s_cbranch_vccnz .LBB79_32
; %bb.31:
	s_lshl_b64 s[10:11], s[24:25], 4
	s_delay_alu instid0(VALU_DEP_1)
	v_mad_u64_u32 v[2:3], null, s24, 48, v[0:1]
	v_add_co_u32 v4, vcc_lo, v0, s10
	v_add_co_ci_u32_e32 v5, vcc_lo, s11, v1, vcc_lo
	v_mad_u64_u32 v[6:7], null, 0x50, s24, v[0:1]
	s_clause 0x1
	global_load_b32 v23, v[0:1], off
	global_load_b32 v24, v[4:5], off
	v_add_co_u32 v4, vcc_lo, v4, s10
	v_mad_u64_u32 v[16:17], null, 0x60, s24, v[0:1]
	v_add_co_ci_u32_e32 v5, vcc_lo, s11, v5, vcc_lo
	s_delay_alu instid0(VALU_DEP_3) | instskip(SKIP_3) | instid1(VALU_DEP_2)
	v_mad_u64_u32 v[18:19], null, s25, 48, v[3:4]
	v_mad_u64_u32 v[19:20], null, 0x50, s25, v[7:8]
	s_lshl_b64 s[10:11], s[24:25], 5
	s_mov_b32 s14, -1
	v_mad_u64_u32 v[20:21], null, 0x60, s25, v[17:18]
	v_add_co_u32 v21, vcc_lo, v4, s10
	v_add_co_ci_u32_e32 v22, vcc_lo, s11, v5, vcc_lo
	v_mov_b32_e32 v3, v18
	v_mov_b32_e32 v7, v19
	;; [unrolled: 1-line block ×3, first 2 shown]
	global_load_b32 v18, v[4:5], off
	global_load_b32 v19, v[21:22], off
	s_clause 0x2
	global_load_b32 v20, v[2:3], off
	global_load_b32 v7, v[6:7], off
	;; [unrolled: 1-line block ×3, first 2 shown]
	v_mad_u64_u32 v[2:3], null, 0x70, s24, v[0:1]
	s_delay_alu instid0(VALU_DEP_1)
	v_mad_u64_u32 v[5:6], null, 0x70, s25, v[3:4]
	v_add_nc_u32_e32 v4, 0x380, v13
	v_lshlrev_b32_e32 v6, 2, v13
	s_waitcnt vmcnt(5)
	ds_store_2addr_stride64_b32 v6, v23, v24 offset1:2
	s_waitcnt vmcnt(2)
	ds_store_2addr_stride64_b32 v6, v18, v20 offset0:4 offset1:6
	s_waitcnt vmcnt(1)
	ds_store_2addr_stride64_b32 v6, v19, v7 offset0:8 offset1:10
	s_waitcnt vmcnt(0)
	ds_store_b32 v6, v16 offset:3072
	v_mov_b32_e32 v3, v5
	s_cbranch_execz .LBB79_33
	s_branch .LBB79_45
.LBB79_32:
                                        ; implicit-def: $vgpr2_vgpr3
                                        ; implicit-def: $vgpr4
.LBB79_33:
	v_mov_b32_e32 v2, 0
	s_mov_b32 s15, exec_lo
                                        ; implicit-def: $vgpr4
	ds_store_2addr_stride64_b32 v12, v2, v2 offset1:2
	ds_store_2addr_stride64_b32 v12, v2, v2 offset0:4 offset1:6
	ds_store_2addr_stride64_b32 v12, v2, v2 offset0:8 offset1:10
	;; [unrolled: 1-line block ×3, first 2 shown]
                                        ; implicit-def: $vgpr2_vgpr3
	v_cmpx_gt_i32_e64 s9, v8
	s_cbranch_execz .LBB79_44
; %bb.34:
	s_cmp_lt_u32 s9, 4
	s_mov_b32 s17, 0
	s_cbranch_scc1 .LBB79_41
; %bb.35:
	s_lshr_b32 s17, s9, 2
	s_mov_b32 s22, 0
	s_add_i32 s10, s17, -1
	s_delay_alu instid0(SALU_CYCLE_1)
	s_cmp_lt_u32 s10, 3
	s_cbranch_scc1 .LBB79_38
; %bb.36:
	v_lshlrev_b32_e32 v2, 2, v9
	s_and_b32 s22, s17, 0x3ffffffc
	s_add_u32 s10, s6, s4
	s_addc_u32 s11, s7, s5
	s_add_u32 s23, s20, s2
	v_add_nc_u32_e32 v18, 48, v2
	v_add_nc_u32_e32 v19, 32, v2
	s_addc_u32 s26, s21, s3
	s_add_u32 s10, s23, s10
	s_addc_u32 s11, s26, s11
	v_add_nc_u32_e32 v20, 16, v2
	v_mad_u64_u32 v[2:3], null, s24, v18, s[10:11]
	v_mad_u64_u32 v[4:5], null, s24, v19, s[10:11]
	s_delay_alu instid0(VALU_DEP_3) | instskip(SKIP_2) | instid1(VALU_DEP_2)
	v_mad_u64_u32 v[6:7], null, s24, v20, s[10:11]
	s_lshl_b64 s[10:11], s[24:25], 6
	s_mov_b32 s23, 0
	v_mad_u64_u32 v[16:17], null, s25, v18, v[3:4]
	s_delay_alu instid0(VALU_DEP_1) | instskip(SKIP_1) | instid1(VALU_DEP_4)
	v_mov_b32_e32 v3, v16
	v_mov_b32_e32 v16, v12
	v_mad_u64_u32 v[17:18], null, s25, v19, v[5:6]
	v_mad_u64_u32 v[18:19], null, s25, v20, v[7:8]
	s_delay_alu instid0(VALU_DEP_2) | instskip(NEXT) | instid1(VALU_DEP_2)
	v_mov_b32_e32 v5, v17
	v_mov_b32_e32 v7, v18
	s_set_inst_prefetch_distance 0x1
	.p2align	6
.LBB79_37:                              ; =>This Inner Loop Header: Depth=1
	v_add_co_u32 v17, vcc_lo, v14, v11
	v_add_co_ci_u32_e32 v18, vcc_lo, 0, v15, vcc_lo
	v_add_co_u32 v19, vcc_lo, v6, v11
	v_add_co_ci_u32_e32 v20, vcc_lo, 0, v7, vcc_lo
	;; [unrolled: 2-line block ×4, first 2 shown]
	global_load_b32 v17, v[17:18], off
	global_load_b32 v18, v[19:20], off
	;; [unrolled: 1-line block ×4, first 2 shown]
	v_add_co_u32 v2, vcc_lo, v2, s10
	v_add_co_ci_u32_e32 v3, vcc_lo, s11, v3, vcc_lo
	v_add_co_u32 v4, vcc_lo, v4, s10
	v_add_co_ci_u32_e32 v5, vcc_lo, s11, v5, vcc_lo
	;; [unrolled: 2-line block ×4, first 2 shown]
	s_add_i32 s23, s23, 4
	s_waitcnt vmcnt(2)
	ds_store_2addr_stride64_b32 v16, v17, v18 offset1:2
	s_waitcnt vmcnt(0)
	ds_store_2addr_stride64_b32 v16, v19, v20 offset0:4 offset1:6
	v_add_nc_u32_e32 v16, 0x800, v16
	s_cmp_lg_u32 s22, s23
	s_cbranch_scc1 .LBB79_37
.LBB79_38:
	s_set_inst_prefetch_distance 0x2
	s_bfe_u32 s23, s9, 0x20002
	s_mov_b32 s11, 0
	s_cmp_eq_u32 s23, 0
	s_cbranch_scc1 .LBB79_41
; %bb.39:
	s_lshl_b32 s26, s22, 9
	s_add_u32 s6, s6, s4
	v_lshlrev_b32_e32 v2, 2, v9
	s_addc_u32 s7, s7, s5
	s_lshl_b32 s10, s22, 2
	s_delay_alu instid0(SALU_CYCLE_1) | instskip(SKIP_2) | instid1(VALU_DEP_1)
	s_lshl_b64 s[4:5], s[10:11], 2
	s_add_u32 s2, s2, s6
	v_add_co_u32 v4, s4, v2, s4
	v_add_co_ci_u32_e64 v5, null, 0, s5, s4
	s_addc_u32 s3, s3, s7
	s_delay_alu instid0(VALU_DEP_2) | instid1(SALU_CYCLE_1)
	v_mad_u64_u32 v[2:3], null, s24, v4, s[2:3]
	s_delay_alu instid0(VALU_DEP_2) | instskip(SKIP_2) | instid1(VALU_DEP_3)
	v_mul_lo_u32 v5, s24, v5
	v_mul_lo_u32 v4, s25, v4
	s_lshl_b64 s[2:3], s[24:25], 4
	v_add_co_u32 v2, vcc_lo, v2, v11
	s_delay_alu instid0(VALU_DEP_2) | instskip(SKIP_1) | instid1(VALU_DEP_2)
	v_add3_u32 v3, v4, v3, v5
	v_lshlrev_b32_e32 v4, 7, v9
	v_add_co_ci_u32_e32 v3, vcc_lo, 0, v3, vcc_lo
	s_delay_alu instid0(VALU_DEP_4) | instskip(NEXT) | instid1(VALU_DEP_3)
	v_add_co_u32 v2, vcc_lo, s20, v2
	v_add3_u32 v4, s26, v4, v11
	s_delay_alu instid0(VALU_DEP_3)
	v_add_co_ci_u32_e32 v3, vcc_lo, s21, v3, vcc_lo
.LBB79_40:                              ; =>This Inner Loop Header: Depth=1
	global_load_b32 v5, v[2:3], off
	v_add_co_u32 v2, vcc_lo, v2, s2
	v_add_co_ci_u32_e32 v3, vcc_lo, s3, v3, vcc_lo
	s_add_i32 s23, s23, -1
	s_delay_alu instid0(SALU_CYCLE_1)
	s_cmp_lg_u32 s23, 0
	s_waitcnt vmcnt(0)
	ds_store_b32 v4, v5
	v_add_nc_u32_e32 v4, 0x200, v4
	s_cbranch_scc1 .LBB79_40
.LBB79_41:
	s_and_b32 s2, s9, 3
	s_mov_b32 s3, s14
	v_cmp_gt_u32_e32 vcc_lo, s2, v9
                                        ; implicit-def: $vgpr2_vgpr3
                                        ; implicit-def: $vgpr4
	s_and_saveexec_b32 s2, vcc_lo
; %bb.42:
	s_lshl_b32 s3, s17, 2
	v_lshl_add_u32 v4, s17, 7, v13
	s_mul_i32 s5, s3, s25
	s_mul_hi_u32 s6, s3, s24
	s_mul_i32 s4, s3, s24
	s_add_i32 s5, s6, s5
	s_or_b32 s3, s14, exec_lo
	s_lshl_b64 s[4:5], s[4:5], 2
	s_delay_alu instid0(SALU_CYCLE_1)
	v_add_co_u32 v2, vcc_lo, v0, s4
	v_add_co_ci_u32_e32 v3, vcc_lo, s5, v1, vcc_lo
; %bb.43:
	s_or_b32 exec_lo, exec_lo, s2
	s_delay_alu instid0(SALU_CYCLE_1) | instskip(SKIP_1) | instid1(SALU_CYCLE_1)
	s_and_not1_b32 s2, s14, exec_lo
	s_and_b32 s3, s3, exec_lo
	s_or_b32 s14, s2, s3
.LBB79_44:
	s_or_b32 exec_lo, exec_lo, s15
.LBB79_45:
	s_and_saveexec_b32 s2, s14
	s_cbranch_execz .LBB79_47
; %bb.46:
	global_load_b32 v0, v[2:3], off
	v_lshlrev_b32_e32 v1, 2, v4
	s_waitcnt vmcnt(0)
	ds_store_b32 v1, v0
.LBB79_47:
	s_or_b32 exec_lo, exec_lo, s2
	v_lshlrev_b32_e32 v1, 5, v8
	s_mov_b32 s2, exec_lo
	s_waitcnt lgkmcnt(0)
	s_waitcnt_vscnt null, 0x0
	s_barrier
	buffer_gl0_inv
	v_cmpx_ge_u32_e64 v8, v9
	s_xor_b32 s2, exec_lo, s2
; %bb.48:
	v_lshlrev_b32_e32 v1, 5, v8
; %bb.49:
	s_and_not1_saveexec_b32 s2, s2
	s_cbranch_execz .LBB79_51
; %bb.50:
	s_delay_alu instid0(VALU_DEP_1)
	v_add_lshl_u32 v0, v1, v9, 2
	ds_load_b32 v0, v0
	s_waitcnt lgkmcnt(0)
	ds_store_b32 v12, v0
.LBB79_51:
	s_or_b32 exec_lo, exec_lo, s2
	v_sub_nc_u32_e32 v0, v8, v9
	s_mov_b32 s2, exec_lo
	s_delay_alu instid0(VALU_DEP_1) | instskip(NEXT) | instid1(VALU_DEP_1)
	v_sub_nc_u32_e32 v2, 0, v0
	v_max_i32_e32 v3, v0, v2
	v_lshlrev_b32_e32 v0, 5, v9
	v_add_lshl_u32 v2, v1, v9, 2
	s_delay_alu instid0(VALU_DEP_3)
	v_cmpx_gt_u32_e32 4, v3
	s_cbranch_execz .LBB79_53
; %bb.52:
	ds_load_b32 v1, v2 offset:16
	v_add_lshl_u32 v4, v0, v8, 2
	s_waitcnt lgkmcnt(0)
	ds_store_b32 v4, v1 offset:512
.LBB79_53:
	s_or_b32 exec_lo, exec_lo, s2
	s_delay_alu instid0(SALU_CYCLE_1)
	s_mov_b32 s2, exec_lo
	v_cmpx_gt_u32_e32 8, v3
	s_cbranch_execz .LBB79_55
; %bb.54:
	ds_load_b32 v1, v2 offset:32
	v_add_lshl_u32 v4, v0, v8, 2
	s_waitcnt lgkmcnt(0)
	ds_store_b32 v4, v1 offset:1024
.LBB79_55:
	s_or_b32 exec_lo, exec_lo, s2
	s_delay_alu instid0(SALU_CYCLE_1)
	s_mov_b32 s2, exec_lo
	v_cmpx_gt_u32_e32 12, v3
	s_cbranch_execz .LBB79_57
; %bb.56:
	ds_load_b32 v1, v2 offset:48
	v_add_lshl_u32 v4, v0, v8, 2
	s_waitcnt lgkmcnt(0)
	ds_store_b32 v4, v1 offset:1536
.LBB79_57:
	s_or_b32 exec_lo, exec_lo, s2
	v_add_nc_u32_e32 v1, 16, v9
	s_mov_b32 s2, exec_lo
	s_delay_alu instid0(VALU_DEP_1)
	v_lshlrev_b32_e32 v1, 5, v1
	v_cmpx_gt_u32_e32 16, v3
	s_cbranch_execz .LBB79_59
; %bb.58:
	ds_load_b32 v4, v2 offset:64
	v_add_lshl_u32 v5, v1, v8, 2
	s_waitcnt lgkmcnt(0)
	ds_store_b32 v5, v4
.LBB79_59:
	s_or_b32 exec_lo, exec_lo, s2
	s_delay_alu instid0(SALU_CYCLE_1)
	s_mov_b32 s2, exec_lo
	v_cmpx_gt_u32_e32 20, v3
	s_cbranch_execz .LBB79_61
; %bb.60:
	ds_load_b32 v4, v2 offset:80
	s_waitcnt lgkmcnt(0)
	ds_store_b32 v12, v4 offset:2560
.LBB79_61:
	s_or_b32 exec_lo, exec_lo, s2
	s_delay_alu instid0(SALU_CYCLE_1)
	s_mov_b32 s2, exec_lo
	v_cmpx_gt_u32_e32 24, v3
	s_cbranch_execz .LBB79_63
; %bb.62:
	ds_load_b32 v4, v2 offset:96
	s_waitcnt lgkmcnt(0)
	ds_store_b32 v12, v4 offset:3072
.LBB79_63:
	s_or_b32 exec_lo, exec_lo, s2
	v_cmp_lt_u32_e32 vcc_lo, 27, v3
	v_add_nc_u32_e32 v4, 28, v9
                                        ; implicit-def: $vgpr3
	s_and_saveexec_b32 s2, vcc_lo
	s_delay_alu instid0(SALU_CYCLE_1)
	s_xor_b32 s2, exec_lo, s2
; %bb.64:
	v_add_nc_u32_e32 v4, 28, v9
                                        ; implicit-def: $vgpr2
	s_delay_alu instid0(VALU_DEP_1)
	v_lshl_add_u32 v3, v4, 5, v8
; %bb.65:
	s_and_not1_saveexec_b32 s2, s2
	s_cbranch_execz .LBB79_67
; %bb.66:
	ds_load_b32 v2, v2 offset:112
	v_lshl_add_u32 v3, v4, 5, v8
	s_delay_alu instid0(VALU_DEP_1)
	v_lshlrev_b32_e32 v5, 2, v3
	s_waitcnt lgkmcnt(0)
	ds_store_b32 v5, v2
.LBB79_67:
	s_or_b32 exec_lo, exec_lo, s2
	v_lshlrev_b32_e32 v2, 2, v9
	s_waitcnt lgkmcnt(0)
	s_barrier
	buffer_gl0_inv
	v_add_lshl_u32 v19, v0, v8, 2
	v_add_nc_u32_e32 v7, 0x1400, v2
	v_add_lshl_u32 v20, v1, v8, 2
	v_lshlrev_b32_e32 v3, 2, v3
	ds_load_2addr_b32 v[5:6], v7 offset1:4
	ds_load_b32 v9, v12
	ds_load_2addr_stride64_b32 v[13:14], v19 offset0:2 offset1:4
	ds_load_2addr_b32 v[15:16], v7 offset0:8 offset1:12
	s_waitcnt lgkmcnt(2)
	v_fma_f32 v5, v9, v5, 0
	s_waitcnt lgkmcnt(1)
	s_delay_alu instid0(VALU_DEP_1) | instskip(SKIP_1) | instid1(VALU_DEP_1)
	v_dual_fmac_f32 v5, v13, v6 :: v_dual_lshlrev_b32 v4, 2, v4
	s_waitcnt lgkmcnt(0)
	v_fmac_f32_e32 v5, v14, v15
	ds_load_2addr_stride64_b32 v[0:1], v19 offset0:6 offset1:10
	ds_load_b32 v4, v4 offset:5120
	ds_load_2addr_b32 v[17:18], v7 offset0:16 offset1:20
	ds_load_b32 v7, v20
	ds_load_b32 v3, v3
	ds_load_b32 v6, v19 offset:3072
	ds_load_b32 v2, v2 offset:5216
	s_waitcnt lgkmcnt(6)
	v_fmac_f32_e32 v5, v0, v16
	s_waitcnt lgkmcnt(3)
	s_delay_alu instid0(VALU_DEP_1) | instskip(NEXT) | instid1(VALU_DEP_1)
	v_fmac_f32_e32 v5, v7, v17
	v_fmac_f32_e32 v5, v1, v18
	s_waitcnt lgkmcnt(0)
	s_delay_alu instid0(VALU_DEP_1) | instskip(NEXT) | instid1(VALU_DEP_1)
	v_fmac_f32_e32 v5, v6, v2
	v_fmac_f32_e32 v5, v3, v4
	ds_store_b32 v12, v5 offset:4096
	s_waitcnt lgkmcnt(0)
	s_barrier
	buffer_gl0_inv
	s_and_saveexec_b32 s2, s0
	s_cbranch_execz .LBB79_12
; %bb.68:
	v_add_nc_u32_e32 v2, 0x1000, v11
	v_cmp_neq_f32_e64 vcc_lo, s8, 0
	s_mov_b32 s0, -1
	ds_load_2addr_b32 v[0:1], v2 offset1:32
	ds_load_2addr_b32 v[2:3], v2 offset0:64 offset1:96
	s_waitcnt lgkmcnt(1)
	v_add_f32_e32 v0, 0, v0
	s_delay_alu instid0(VALU_DEP_1) | instskip(SKIP_1) | instid1(VALU_DEP_1)
	v_add_f32_e32 v0, v0, v1
	s_waitcnt lgkmcnt(0)
	v_add_f32_e32 v0, v0, v2
	s_delay_alu instid0(VALU_DEP_1) | instskip(NEXT) | instid1(VALU_DEP_1)
	v_add_f32_e32 v0, v0, v3
	v_mul_f32_e32 v1, s12, v0
	v_fmac_f32_e32 v10, s12, v0
	s_delay_alu instid0(VALU_DEP_1)
	v_cndmask_b32_e32 v0, v1, v10, vcc_lo
	s_and_b32 vcc_lo, exec_lo, s1
	s_cbranch_vccz .LBB79_70
; %bb.69:
	v_mad_u64_u32 v[1:2], null, v8, s18, 0
	s_mov_b32 s0, 0
	s_delay_alu instid0(VALU_DEP_1) | instskip(NEXT) | instid1(VALU_DEP_1)
	v_mad_u64_u32 v[3:4], null, v8, s19, v[2:3]
	v_mov_b32_e32 v2, v3
	s_delay_alu instid0(VALU_DEP_1) | instskip(NEXT) | instid1(VALU_DEP_1)
	v_lshlrev_b64 v[1:2], 2, v[1:2]
	v_add_co_u32 v1, vcc_lo, s13, v1
	s_delay_alu instid0(VALU_DEP_2)
	v_add_co_ci_u32_e32 v2, vcc_lo, s16, v2, vcc_lo
	global_store_b32 v[1:2], v0, off
.LBB79_70:
	s_and_not1_b32 vcc_lo, exec_lo, s0
	s_cbranch_vccnz .LBB79_12
; %bb.71:
	v_cmp_gt_i32_e32 vcc_lo, s9, v8
	s_and_b32 exec_lo, exec_lo, vcc_lo
	s_cbranch_execz .LBB79_12
; %bb.72:
	v_mad_u64_u32 v[1:2], null, v8, s18, 0
	s_delay_alu instid0(VALU_DEP_1) | instskip(NEXT) | instid1(VALU_DEP_1)
	v_mad_u64_u32 v[3:4], null, v8, s19, v[2:3]
	v_mov_b32_e32 v2, v3
	s_delay_alu instid0(VALU_DEP_1) | instskip(NEXT) | instid1(VALU_DEP_1)
	v_lshlrev_b64 v[1:2], 2, v[1:2]
	v_add_co_u32 v1, vcc_lo, s13, v1
	s_delay_alu instid0(VALU_DEP_2)
	v_add_co_ci_u32_e32 v2, vcc_lo, s16, v2, vcc_lo
	global_store_b32 v[1:2], v0, off
	s_nop 0
	s_sendmsg sendmsg(MSG_DEALLOC_VGPRS)
	s_endpgm
	.section	.rodata,"a",@progbits
	.p2align	6, 0x0
	.amdhsa_kernel _ZL58rocblas_symv_kernel_lower_double_buffered_diagonal_genericILi32ELi4E24rocblas_internal_val_ptrIfEPKfPfEvbiT1_lT2_lllS6_lllS5_lT3_lllii
		.amdhsa_group_segment_fixed_size 5248
		.amdhsa_private_segment_fixed_size 0
		.amdhsa_kernarg_size 400
		.amdhsa_user_sgpr_count 14
		.amdhsa_user_sgpr_dispatch_ptr 0
		.amdhsa_user_sgpr_queue_ptr 0
		.amdhsa_user_sgpr_kernarg_segment_ptr 1
		.amdhsa_user_sgpr_dispatch_id 0
		.amdhsa_user_sgpr_private_segment_size 0
		.amdhsa_wavefront_size32 1
		.amdhsa_uses_dynamic_stack 0
		.amdhsa_enable_private_segment 0
		.amdhsa_system_sgpr_workgroup_id_x 1
		.amdhsa_system_sgpr_workgroup_id_y 0
		.amdhsa_system_sgpr_workgroup_id_z 1
		.amdhsa_system_sgpr_workgroup_info 0
		.amdhsa_system_vgpr_workitem_id 1
		.amdhsa_next_free_vgpr 25
		.amdhsa_next_free_sgpr 35
		.amdhsa_reserve_vcc 1
		.amdhsa_float_round_mode_32 0
		.amdhsa_float_round_mode_16_64 0
		.amdhsa_float_denorm_mode_32 3
		.amdhsa_float_denorm_mode_16_64 3
		.amdhsa_dx10_clamp 1
		.amdhsa_ieee_mode 1
		.amdhsa_fp16_overflow 0
		.amdhsa_workgroup_processor_mode 1
		.amdhsa_memory_ordered 1
		.amdhsa_forward_progress 0
		.amdhsa_shared_vgpr_count 0
		.amdhsa_exception_fp_ieee_invalid_op 0
		.amdhsa_exception_fp_denorm_src 0
		.amdhsa_exception_fp_ieee_div_zero 0
		.amdhsa_exception_fp_ieee_overflow 0
		.amdhsa_exception_fp_ieee_underflow 0
		.amdhsa_exception_fp_ieee_inexact 0
		.amdhsa_exception_int_div_zero 0
	.end_amdhsa_kernel
	.section	.text._ZL58rocblas_symv_kernel_lower_double_buffered_diagonal_genericILi32ELi4E24rocblas_internal_val_ptrIfEPKfPfEvbiT1_lT2_lllS6_lllS5_lT3_lllii,"axG",@progbits,_ZL58rocblas_symv_kernel_lower_double_buffered_diagonal_genericILi32ELi4E24rocblas_internal_val_ptrIfEPKfPfEvbiT1_lT2_lllS6_lllS5_lT3_lllii,comdat
.Lfunc_end79:
	.size	_ZL58rocblas_symv_kernel_lower_double_buffered_diagonal_genericILi32ELi4E24rocblas_internal_val_ptrIfEPKfPfEvbiT1_lT2_lllS6_lllS5_lT3_lllii, .Lfunc_end79-_ZL58rocblas_symv_kernel_lower_double_buffered_diagonal_genericILi32ELi4E24rocblas_internal_val_ptrIfEPKfPfEvbiT1_lT2_lllS6_lllS5_lT3_lllii
                                        ; -- End function
	.section	.AMDGPU.csdata,"",@progbits
; Kernel info:
; codeLenInByte = 3372
; NumSgprs: 37
; NumVgprs: 25
; ScratchSize: 0
; MemoryBound: 0
; FloatMode: 240
; IeeeMode: 1
; LDSByteSize: 5248 bytes/workgroup (compile time only)
; SGPRBlocks: 4
; VGPRBlocks: 3
; NumSGPRsForWavesPerEU: 37
; NumVGPRsForWavesPerEU: 25
; Occupancy: 16
; WaveLimiterHint : 0
; COMPUTE_PGM_RSRC2:SCRATCH_EN: 0
; COMPUTE_PGM_RSRC2:USER_SGPR: 14
; COMPUTE_PGM_RSRC2:TRAP_HANDLER: 0
; COMPUTE_PGM_RSRC2:TGID_X_EN: 1
; COMPUTE_PGM_RSRC2:TGID_Y_EN: 0
; COMPUTE_PGM_RSRC2:TGID_Z_EN: 1
; COMPUTE_PGM_RSRC2:TIDIG_COMP_CNT: 1
	.section	.text._ZL62rocblas_symv_kernel_lower_double_buffered_non_diagonal_genericILi32ELi4ELi4E24rocblas_internal_val_ptrIfEPKfPfEvbiT2_lT3_lllS6_lllT4_lllii,"axG",@progbits,_ZL62rocblas_symv_kernel_lower_double_buffered_non_diagonal_genericILi32ELi4ELi4E24rocblas_internal_val_ptrIfEPKfPfEvbiT2_lT3_lllS6_lllT4_lllii,comdat
	.globl	_ZL62rocblas_symv_kernel_lower_double_buffered_non_diagonal_genericILi32ELi4ELi4E24rocblas_internal_val_ptrIfEPKfPfEvbiT2_lT3_lllS6_lllT4_lllii ; -- Begin function _ZL62rocblas_symv_kernel_lower_double_buffered_non_diagonal_genericILi32ELi4ELi4E24rocblas_internal_val_ptrIfEPKfPfEvbiT2_lT3_lllS6_lllT4_lllii
	.p2align	8
	.type	_ZL62rocblas_symv_kernel_lower_double_buffered_non_diagonal_genericILi32ELi4ELi4E24rocblas_internal_val_ptrIfEPKfPfEvbiT2_lT3_lllS6_lllT4_lllii,@function
_ZL62rocblas_symv_kernel_lower_double_buffered_non_diagonal_genericILi32ELi4ELi4E24rocblas_internal_val_ptrIfEPKfPfEvbiT2_lT3_lllS6_lllT4_lllii: ; @_ZL62rocblas_symv_kernel_lower_double_buffered_non_diagonal_genericILi32ELi4ELi4E24rocblas_internal_val_ptrIfEPKfPfEvbiT2_lT3_lllS6_lllT4_lllii
; %bb.0:
	s_clause 0x1
	s_load_b32 s2, s[0:1], 0x0
	s_load_b512 s[16:31], s[0:1], 0x8
	s_waitcnt lgkmcnt(0)
	s_bitcmp0_b32 s2, 0
	s_mov_b32 s2, 0
	s_cbranch_scc0 .LBB80_2
; %bb.1:
	s_mul_i32 s3, s15, s19
	s_mul_hi_u32 s4, s15, s18
	s_delay_alu instid0(SALU_CYCLE_1) | instskip(SKIP_1) | instid1(SALU_CYCLE_1)
	s_add_i32 s5, s4, s3
	s_mul_i32 s4, s15, s18
	s_lshl_b64 s[4:5], s[4:5], 2
	s_delay_alu instid0(SALU_CYCLE_1)
	s_add_u32 s4, s16, s4
	s_addc_u32 s5, s17, s5
	s_load_b32 s3, s[4:5], 0x0
	s_and_not1_b32 vcc_lo, exec_lo, s2
	s_cbranch_vccz .LBB80_3
	s_branch .LBB80_4
.LBB80_2:
                                        ; implicit-def: $sgpr3
.LBB80_3:
	s_waitcnt lgkmcnt(0)
	s_mov_b32 s3, s16
.LBB80_4:
	s_waitcnt lgkmcnt(0)
	v_cmp_eq_f32_e64 s2, s3, 0
	s_delay_alu instid0(VALU_DEP_1)
	s_and_b32 vcc_lo, exec_lo, s2
	s_cbranch_vccnz .LBB80_37
; %bb.5:
	s_load_b64 s[8:9], s[0:1], 0x80
	s_waitcnt lgkmcnt(0)
	v_cvt_f32_u32_e32 v1, s9
	s_add_i32 s10, s8, -1
	s_delay_alu instid0(SALU_CYCLE_1) | instskip(NEXT) | instid1(VALU_DEP_1)
	s_cmp_eq_u32 s13, s10
	v_rcp_iflag_f32_e32 v1, v1
	s_waitcnt_depctr 0xfff
	v_mul_f32_e32 v1, 0x4f7ffffe, v1
	s_delay_alu instid0(VALU_DEP_1) | instskip(NEXT) | instid1(VALU_DEP_1)
	v_cvt_u32_f32_e32 v1, v1
	v_readfirstlane_b32 s2, v1
	s_cbranch_scc1 .LBB80_37
; %bb.6:
	s_load_b128 s[4:7], s[0:1], 0x48
	s_not_b32 s11, s13
	s_sub_i32 s12, 0, s9
	s_add_i32 s10, s10, s11
	s_mul_i32 s12, s12, s2
	v_bfe_u32 v1, v0, 10, 10
	v_and_b32_e32 v22, 0x3ff, v0
	s_waitcnt lgkmcnt(0)
	s_mul_i32 s7, s15, s7
	s_mul_hi_u32 s11, s15, s6
	s_mul_i32 s6, s15, s6
	s_add_i32 s7, s11, s7
	s_mul_hi_u32 s11, s2, s12
	s_lshl_b64 s[6:7], s[6:7], 2
	s_add_i32 s11, s2, s11
	s_add_u32 s2, s28, s6
	s_addc_u32 s12, s29, s7
	s_lshl_b64 s[6:7], s[30:31], 2
	s_mul_hi_u32 s11, s10, s11
	s_add_u32 s16, s2, s6
	s_addc_u32 s17, s12, s7
	s_lshl_b32 s12, s13, 5
	s_delay_alu instid0(SALU_CYCLE_1)
	s_mul_i32 s2, s12, s5
	s_mul_hi_u32 s6, s12, s4
	s_ashr_i32 s30, s12, 31
	s_add_i32 s2, s6, s2
	s_mul_i32 s7, s30, s4
	s_mul_i32 s6, s12, s4
	s_add_i32 s7, s2, s7
	v_cmp_eq_u32_e64 s2, 0, v1
	s_lshl_b64 s[6:7], s[6:7], 2
	s_delay_alu instid0(SALU_CYCLE_1) | instskip(SKIP_1) | instid1(VALU_DEP_1)
	s_add_u32 s6, s16, s6
	s_addc_u32 s7, s17, s7
	s_and_saveexec_b32 s16, s2
	s_cbranch_execz .LBB80_8
; %bb.7:
	v_mad_u64_u32 v[2:3], null, v22, s4, 0
	s_delay_alu instid0(VALU_DEP_1) | instskip(NEXT) | instid1(VALU_DEP_1)
	v_mov_b32_e32 v0, v3
	v_mad_u64_u32 v[3:4], null, v22, s5, v[0:1]
	s_delay_alu instid0(VALU_DEP_1) | instskip(NEXT) | instid1(VALU_DEP_1)
	v_lshlrev_b64 v[2:3], 2, v[2:3]
	v_add_co_u32 v2, vcc_lo, s6, v2
	s_delay_alu instid0(VALU_DEP_2)
	v_add_co_ci_u32_e32 v3, vcc_lo, s7, v3, vcc_lo
	global_load_b32 v0, v[2:3], off
	v_lshlrev_b32_e32 v2, 2, v22
	s_waitcnt vmcnt(0)
	ds_store_b32 v2, v0 offset:3072
.LBB80_8:
	s_or_b32 exec_lo, exec_lo, s16
	s_mul_i32 s16, s11, s9
	s_add_i32 s17, s11, 1
	s_sub_i32 s16, s10, s16
	s_delay_alu instid0(SALU_CYCLE_1)
	s_sub_i32 s18, s16, s9
	s_cmp_ge_u32 s16, s9
	s_cselect_b32 s11, s17, s11
	s_cselect_b32 s16, s18, s16
	s_add_i32 s17, s11, 1
	s_cmp_ge_u32 s16, s9
	s_cselect_b32 s11, s17, s11
	s_add_i32 s16, s9, -1
	s_mov_b32 s29, s11
	s_cmp_eq_u32 s14, s16
	s_cselect_b32 s28, -1, 0
	s_cmp_lg_u32 s14, s16
	s_cbranch_scc1 .LBB80_10
; %bb.9:
	s_mul_i32 s9, s11, s9
	s_delay_alu instid0(SALU_CYCLE_1) | instskip(NEXT) | instid1(SALU_CYCLE_1)
	s_sub_i32 s9, s10, s9
	s_add_i32 s29, s9, s11
.LBB80_10:
	s_cmp_lg_u32 s14, s16
	s_cselect_b32 s9, -1, 0
	s_cmp_eq_u32 s29, 0
	s_cselect_b32 s10, -1, 0
	s_delay_alu instid0(SALU_CYCLE_1) | instskip(NEXT) | instid1(SALU_CYCLE_1)
	s_and_b32 s9, s9, s10
	s_and_b32 vcc_lo, exec_lo, s9
	s_cbranch_vccnz .LBB80_37
; %bb.11:
	v_lshl_add_u32 v0, v1, 5, v22
	s_mul_i32 s9, s15, s27
	s_mul_hi_u32 s10, s15, s26
	s_mul_i32 s14, s14, s11
	s_add_i32 s11, s10, s9
	v_lshrrev_b32_e32 v23, 4, v0
	s_mul_i32 s10, s15, s26
	s_lshl_b32 s16, s14, 5
	s_lshl_b64 s[10:11], s[10:11], 2
	s_ashr_i32 s17, s16, 31
	s_add_u32 s9, s20, s10
	v_dual_mov_b32 v5, 0 :: v_dual_and_b32 v4, 15, v22
	v_lshlrev_b32_e32 v24, 2, v23
	s_addc_u32 s14, s21, s11
	s_lshl_b64 s[10:11], s[22:23], 2
	s_waitcnt lgkmcnt(0)
	s_add_u32 s9, s9, s10
	s_addc_u32 s14, s14, s11
	s_add_u32 s10, s24, 1
	v_mad_u64_u32 v[6:7], null, v24, s24, v[4:5]
	s_mul_i32 s11, s10, s30
	s_mul_hi_u32 s18, s10, s12
	s_addc_u32 s19, s25, 0
	s_add_i32 s11, s18, s11
	s_mul_i32 s19, s19, s12
	s_mul_i32 s10, s10, s12
	s_add_i32 s11, s11, s19
	s_load_b64 s[18:19], s[0:1], 0x58
	s_lshl_b64 s[10:11], s[10:11], 2
	v_mov_b32_e32 v0, v7
	s_add_u32 s9, s9, s10
	s_addc_u32 s14, s14, s11
	s_lshl_b64 s[10:11], s[16:17], 2
	s_waitcnt lgkmcnt(0)
	s_barrier
	s_add_u32 s20, s9, s10
	s_mul_i32 s9, s16, s5
	s_mul_hi_u32 s10, s16, s4
	v_mad_u64_u32 v[1:2], null, v24, s25, v[0:1]
	s_addc_u32 s21, s14, s11
	s_add_i32 s9, s10, s9
	s_mul_i32 s10, s17, s4
	buffer_gl0_inv
	s_add_i32 s11, s9, s10
	s_mul_i32 s10, s16, s4
	v_mov_b32_e32 v7, v1
	s_lshl_b64 s[10:11], s[10:11], 2
	s_delay_alu instid0(SALU_CYCLE_1)
	s_add_u32 s22, s6, s10
	s_addc_u32 s23, s7, s11
	s_add_i32 s8, s8, -2
	s_lshl_b64 s[6:7], s[4:5], 5
	s_cmp_ge_u32 s13, s8
	s_cbranch_scc1 .LBB80_13
; %bb.12:
	v_lshlrev_b64 v[0:1], 2, v[6:7]
	v_mad_u64_u32 v[2:3], null, v4, s4, 0
	s_lshl_b64 s[8:9], s[6:7], 2
	s_delay_alu instid0(SALU_CYCLE_1) | instskip(NEXT) | instid1(VALU_DEP_2)
	s_add_u32 s13, s22, s8
	v_add_co_u32 v0, vcc_lo, s20, v0
	s_delay_alu instid0(VALU_DEP_3) | instskip(NEXT) | instid1(VALU_DEP_3)
	v_add_co_ci_u32_e32 v1, vcc_lo, s21, v1, vcc_lo
	v_mad_u64_u32 v[10:11], null, v4, s5, v[3:4]
	s_addc_u32 s14, s23, s9
	s_delay_alu instid0(VALU_DEP_2) | instskip(SKIP_2) | instid1(VALU_DEP_2)
	v_mad_u64_u32 v[8:9], null, s24, 12, v[0:1]
	s_lshl_b64 s[8:9], s[24:25], 2
	s_lshl_b64 s[10:11], s[24:25], 3
	v_mov_b32_e32 v3, v10
	s_delay_alu instid0(VALU_DEP_2) | instskip(NEXT) | instid1(VALU_DEP_2)
	v_mov_b32_e32 v5, v9
	v_lshlrev_b64 v[2:3], 2, v[2:3]
	s_delay_alu instid0(VALU_DEP_2)
	v_mad_u64_u32 v[9:10], null, s25, 12, v[5:6]
	v_add_co_u32 v10, vcc_lo, v0, s8
	v_add_co_ci_u32_e32 v11, vcc_lo, s9, v1, vcc_lo
	v_add_co_u32 v12, vcc_lo, v0, s10
	v_add_co_ci_u32_e32 v13, vcc_lo, s11, v1, vcc_lo
	;; [unrolled: 2-line block ×3, first 2 shown]
	global_load_b32 v32, v[0:1], off offset:128
	s_clause 0x2
	global_load_b32 v33, v[10:11], off offset:128
	global_load_b32 v34, v[12:13], off offset:128
	;; [unrolled: 1-line block ×3, first 2 shown]
	global_load_b32 v5, v[2:3], off
	s_branch .LBB80_14
.LBB80_13:
                                        ; implicit-def: $vgpr32
                                        ; implicit-def: $vgpr33
                                        ; implicit-def: $vgpr34
                                        ; implicit-def: $vgpr35
.LBB80_14:
	s_clause 0x1
	s_load_b64 s[26:27], s[0:1], 0x70
	s_load_b128 s[8:11], s[0:1], 0x60
	v_dual_mov_b32 v26, 0 :: v_dual_lshlrev_b32 v25, 2, v4
	v_or_b32_e32 v30, 16, v4
	s_waitcnt lgkmcnt(0)
	s_mul_i32 s13, s15, s27
	s_mul_hi_u32 s27, s15, s26
	s_mul_i32 s14, s15, s26
	s_add_i32 s15, s27, s13
	s_mul_i32 s26, s12, s11
	s_lshl_b64 s[14:15], s[14:15], 2
	s_mul_hi_u32 s13, s12, s10
	s_add_u32 s14, s18, s14
	s_addc_u32 s15, s19, s15
	s_lshl_b64 s[8:9], s[8:9], 2
	s_mul_i32 s27, s30, s10
	s_add_u32 s14, s14, s8
	s_addc_u32 s15, s15, s9
	s_add_i32 s8, s13, s26
	s_mul_i32 s12, s12, s10
	s_add_i32 s13, s8, s27
	s_mul_i32 s19, s16, s11
	s_lshl_b64 s[8:9], s[12:13], 2
	s_mul_hi_u32 s26, s16, s10
	s_mul_i32 s12, s17, s10
	s_add_u32 s17, s14, s8
	s_addc_u32 s18, s15, s9
	s_add_i32 s9, s26, s19
	s_mul_i32 s8, s16, s10
	s_add_i32 s9, s9, s12
	s_mov_b32 s16, 0
	s_lshl_b64 s[8:9], s[8:9], 2
	s_delay_alu instid0(SALU_CYCLE_1)
	s_add_u32 s14, s17, s8
	s_addc_u32 s15, s18, s9
	s_cmp_lt_i32 s29, 1
	s_cbranch_scc1 .LBB80_24
; %bb.15:
	v_mad_u64_u32 v[0:1], null, v30, s4, 0
	v_mad_u64_u32 v[2:3], null, v4, s4, 0
	;; [unrolled: 1-line block ×3, first 2 shown]
	v_lshl_or_b32 v13, v23, 7, v25
	v_lshl_add_u32 v38, v24, 2, 0xc00
	v_lshl_add_u32 v39, v22, 2, 0x800
	s_lshl_b64 s[26:27], s[24:25], 3
	v_mad_u64_u32 v[9:10], null, v30, s5, v[1:2]
	v_dual_mov_b32 v8, v17 :: v_dual_add_nc_u32 v37, 0x800, v13
	v_mad_u64_u32 v[10:11], null, v4, s5, v[3:4]
	s_waitcnt vmcnt(2)
	v_dual_mov_b32 v27, 0 :: v_dual_mov_b32 v42, v34
	s_delay_alu instid0(VALU_DEP_3) | instskip(SKIP_1) | instid1(VALU_DEP_4)
	v_mad_u64_u32 v[11:12], null, v22, s11, v[8:9]
	v_dual_mov_b32 v1, v9 :: v_dual_mov_b32 v8, s14
	v_dual_mov_b32 v3, v10 :: v_dual_mov_b32 v28, 0
	v_lshlrev_b64 v[12:13], 2, v[6:7]
	s_delay_alu instid0(VALU_DEP_4) | instskip(NEXT) | instid1(VALU_DEP_4)
	v_dual_mov_b32 v26, 0 :: v_dual_mov_b32 v17, v11
	v_lshlrev_b64 v[10:11], 2, v[0:1]
	s_delay_alu instid0(VALU_DEP_4) | instskip(SKIP_1) | instid1(VALU_DEP_4)
	v_lshlrev_b64 v[14:15], 2, v[2:3]
	v_dual_mov_b32 v9, s15 :: v_dual_mov_b32 v40, v32
	v_lshlrev_b64 v[16:17], 2, v[16:17]
	v_mov_b32_e32 v29, 0
	v_mov_b32_e32 v41, v33
	s_waitcnt vmcnt(1)
	v_mov_b32_e32 v43, v35
	s_add_i32 s19, s29, -1
	s_lshl_b64 s[8:9], s[10:11], 7
	s_lshl_b64 s[12:13], s[24:25], 2
	s_sub_u32 s26, 0, s26
	s_subb_u32 s27, 0, s27
	s_lshl_b64 s[14:15], s[6:7], 2
.LBB80_16:                              ; =>This Loop Header: Depth=1
                                        ;     Child Loop BB80_20 Depth 2
	v_add_co_u32 v18, vcc_lo, s20, v12
	v_add_co_ci_u32_e32 v19, vcc_lo, s21, v13, vcc_lo
	s_add_u32 s22, s22, s14
	s_delay_alu instid0(VALU_DEP_2) | instskip(NEXT) | instid1(VALU_DEP_2)
	v_add_co_u32 v0, vcc_lo, v18, s12
	v_add_co_ci_u32_e32 v1, vcc_lo, s13, v19, vcc_lo
	s_addc_u32 s23, s23, s15
	s_delay_alu instid0(VALU_DEP_2) | instskip(NEXT) | instid1(VALU_DEP_2)
	v_add_co_u32 v2, vcc_lo, v0, s12
	v_add_co_ci_u32_e32 v3, vcc_lo, s13, v1, vcc_lo
	v_add_co_u32 v44, vcc_lo, s22, v10
	v_add_co_ci_u32_e32 v45, vcc_lo, s23, v11, vcc_lo
	s_delay_alu instid0(VALU_DEP_4) | instskip(NEXT) | instid1(VALU_DEP_4)
	v_add_co_u32 v20, vcc_lo, v2, s12
	v_add_co_ci_u32_e32 v21, vcc_lo, s13, v3, vcc_lo
	global_load_b32 v31, v[44:45], off
	s_clause 0x3
	global_load_b32 v45, v[0:1], off offset:192
	global_load_b32 v44, v[2:3], off offset:192
	global_load_b32 v47, v[18:19], off offset:192
	global_load_b32 v46, v[20:21], off offset:192
	ds_load_b128 v[0:3], v38
	s_waitcnt vmcnt(5)
	v_mov_b32_e32 v36, v5
	s_cmp_eq_u32 s16, s19
	s_cbranch_scc1 .LBB80_18
; %bb.17:                               ;   in Loop: Header=BB80_16 Depth=1
	v_add_co_u32 v20, vcc_lo, v20, s26
	v_add_co_ci_u32_e32 v21, vcc_lo, s27, v21, vcc_lo
	s_add_u32 s30, s22, s14
	s_delay_alu instid0(VALU_DEP_2) | instskip(NEXT) | instid1(VALU_DEP_2)
	v_add_co_u32 v42, vcc_lo, v20, s12
	v_add_co_ci_u32_e32 v43, vcc_lo, s13, v21, vcc_lo
	s_addc_u32 s31, s23, s15
	s_delay_alu instid0(VALU_DEP_2) | instskip(NEXT) | instid1(VALU_DEP_2)
	v_add_co_u32 v48, vcc_lo, v42, s12
	v_add_co_ci_u32_e32 v49, vcc_lo, s13, v43, vcc_lo
	v_add_co_u32 v50, vcc_lo, s30, v14
	v_add_co_ci_u32_e32 v51, vcc_lo, s31, v15, vcc_lo
	s_clause 0x1
	global_load_b32 v40, v[18:19], off offset:256
	global_load_b32 v41, v[20:21], off offset:256
	;; [unrolled: 1-line block ×4, first 2 shown]
	global_load_b32 v36, v[50:51], off
.LBB80_18:                              ;   in Loop: Header=BB80_16 Depth=1
	s_waitcnt lgkmcnt(0)
	v_fma_f32 v18, v32, v0, 0
	s_waitcnt vmcnt(1)
	v_fma_f32 v0, v47, v0, 0
	s_waitcnt vmcnt(0)
	s_barrier
	buffer_gl0_inv
	v_fmac_f32_e32 v18, v33, v1
	v_fmac_f32_e32 v0, v45, v1
	s_delay_alu instid0(VALU_DEP_2) | instskip(NEXT) | instid1(VALU_DEP_2)
	v_fmac_f32_e32 v18, v34, v2
	v_fmac_f32_e32 v0, v44, v2
	s_delay_alu instid0(VALU_DEP_2) | instskip(NEXT) | instid1(VALU_DEP_2)
	v_fmac_f32_e32 v18, v35, v3
	v_fmac_f32_e32 v0, v46, v3
	ds_store_2addr_b32 v37, v18, v0 offset1:16
	s_waitcnt lgkmcnt(0)
	s_barrier
	buffer_gl0_inv
	s_and_saveexec_b32 s30, s2
	s_cbranch_execz .LBB80_22
; %bb.19:                               ;   in Loop: Header=BB80_16 Depth=1
	v_add_co_u32 v8, vcc_lo, v8, s8
	v_add_co_ci_u32_e32 v9, vcc_lo, s9, v9, vcc_lo
	s_mov_b32 s31, 0
	s_delay_alu instid0(VALU_DEP_2) | instskip(NEXT) | instid1(VALU_DEP_2)
	v_add_co_u32 v0, vcc_lo, v8, v16
	v_add_co_ci_u32_e32 v1, vcc_lo, v9, v17, vcc_lo
	global_load_b32 v3, v[0:1], off
	ds_load_2addr_b32 v[18:19], v39 offset1:32
	ds_load_2addr_b32 v[20:21], v39 offset0:64 offset1:96
	ds_load_2addr_b32 v[48:49], v39 offset0:128 offset1:160
	s_waitcnt lgkmcnt(2)
	v_add_f32_e32 v2, 0, v18
	s_delay_alu instid0(VALU_DEP_1) | instskip(SKIP_3) | instid1(VALU_DEP_1)
	v_add_f32_e32 v2, v2, v19
	ds_load_2addr_b32 v[18:19], v39 offset0:192 offset1:224
	s_waitcnt lgkmcnt(2)
	v_add_f32_e32 v2, v2, v20
	v_add_f32_e32 v2, v2, v21
	s_waitcnt lgkmcnt(1)
	s_delay_alu instid0(VALU_DEP_1) | instskip(NEXT) | instid1(VALU_DEP_1)
	v_add_f32_e32 v2, v2, v48
	v_add_f32_e32 v2, v2, v49
	s_waitcnt lgkmcnt(0)
	s_delay_alu instid0(VALU_DEP_1) | instskip(NEXT) | instid1(VALU_DEP_1)
	v_add_f32_e32 v2, v2, v18
	v_add_f32_e32 v2, v2, v19
	s_delay_alu instid0(VALU_DEP_1)
	v_mul_f32_e32 v18, s3, v2
.LBB80_20:                              ;   Parent Loop BB80_16 Depth=1
                                        ; =>  This Inner Loop Header: Depth=2
	s_waitcnt vmcnt(0)
	s_delay_alu instid0(VALU_DEP_1)
	v_add_f32_e32 v2, v3, v18
	global_atomic_cmpswap_b32 v2, v[0:1], v[2:3], off glc
	s_waitcnt vmcnt(0)
	v_cmp_eq_u32_e32 vcc_lo, v2, v3
	v_mov_b32_e32 v3, v2
	s_or_b32 s31, vcc_lo, s31
	s_delay_alu instid0(SALU_CYCLE_1)
	s_and_not1_b32 exec_lo, exec_lo, s31
	s_cbranch_execnz .LBB80_20
; %bb.21:                               ;   in Loop: Header=BB80_16 Depth=1
	s_or_b32 exec_lo, exec_lo, s31
.LBB80_22:                              ;   in Loop: Header=BB80_16 Depth=1
	s_delay_alu instid0(SALU_CYCLE_1)
	s_or_b32 exec_lo, exec_lo, s30
	v_fmac_f32_e32 v26, v5, v35
	v_fmac_f32_e32 v27, v5, v32
	s_add_u32 s20, s20, 0x80
	s_addc_u32 s21, s21, 0
	s_add_i32 s16, s16, 1
	v_fmac_f32_e32 v26, v31, v46
	v_dual_fmac_f32 v28, v5, v34 :: v_dual_fmac_f32 v27, v31, v47
	v_fmac_f32_e32 v29, v5, v33
	s_cmp_eq_u32 s16, s29
	s_delay_alu instid0(VALU_DEP_2) | instskip(NEXT) | instid1(VALU_DEP_2)
	v_fmac_f32_e32 v28, v31, v44
	v_fmac_f32_e32 v29, v31, v45
	s_cbranch_scc1 .LBB80_25
; %bb.23:                               ;   in Loop: Header=BB80_16 Depth=1
	v_dual_mov_b32 v5, v36 :: v_dual_mov_b32 v34, v42
	v_dual_mov_b32 v32, v40 :: v_dual_mov_b32 v33, v41
	v_mov_b32_e32 v35, v43
	s_branch .LBB80_16
.LBB80_24:
	v_dual_mov_b32 v8, s14 :: v_dual_mov_b32 v9, s15
	v_dual_mov_b32 v28, 0 :: v_dual_mov_b32 v29, 0
	s_waitcnt vmcnt(0)
	v_dual_mov_b32 v27, 0 :: v_dual_mov_b32 v36, v5
	v_mov_b32_e32 v31, 0
.LBB80_25:
	s_and_b32 vcc_lo, exec_lo, s28
	s_cbranch_vccz .LBB80_34
; %bb.26:
	s_load_b32 s0, s[0:1], 0x78
	s_lshl_b64 s[6:7], s[6:7], 2
	v_dual_mov_b32 v5, 0 :: v_dual_mov_b32 v2, 0
	v_dual_mov_b32 v3, 0 :: v_dual_mov_b32 v0, 0
	v_mov_b32_e32 v1, 0
	s_add_u32 s1, s22, s6
	s_addc_u32 s6, s23, s7
	s_mov_b32 s7, exec_lo
	s_waitcnt lgkmcnt(0)
	v_cmpx_gt_i32_e64 s0, v4
	s_cbranch_execz .LBB80_28
; %bb.27:
	v_lshlrev_b64 v[0:1], 2, v[6:7]
	v_mad_u64_u32 v[2:3], null, v4, s4, 0
	s_lshl_b64 s[8:9], s[24:25], 2
	s_lshl_b64 s[12:13], s[24:25], 3
	s_delay_alu instid0(VALU_DEP_2) | instskip(NEXT) | instid1(VALU_DEP_3)
	v_add_co_u32 v0, vcc_lo, s20, v0
	v_add_co_ci_u32_e32 v1, vcc_lo, s21, v1, vcc_lo
	s_delay_alu instid0(VALU_DEP_3) | instskip(NEXT) | instid1(VALU_DEP_2)
	v_mad_u64_u32 v[12:13], null, v4, s5, v[3:4]
	v_mad_u64_u32 v[10:11], null, s24, 12, v[0:1]
	s_delay_alu instid0(VALU_DEP_2) | instskip(NEXT) | instid1(VALU_DEP_2)
	v_mov_b32_e32 v3, v12
	v_mad_u64_u32 v[12:13], null, s25, 12, v[11:12]
	v_add_co_u32 v13, vcc_lo, v0, s8
	s_delay_alu instid0(VALU_DEP_3) | instskip(SKIP_3) | instid1(VALU_DEP_4)
	v_lshlrev_b64 v[2:3], 2, v[2:3]
	v_add_co_ci_u32_e32 v14, vcc_lo, s9, v1, vcc_lo
	v_add_co_u32 v15, vcc_lo, v0, s12
	v_add_co_ci_u32_e32 v16, vcc_lo, s13, v1, vcc_lo
	v_add_co_u32 v17, vcc_lo, s1, v2
	v_mov_b32_e32 v11, v12
	v_add_co_ci_u32_e32 v18, vcc_lo, s6, v3, vcc_lo
	s_clause 0x3
	global_load_b32 v3, v[0:1], off offset:128
	global_load_b32 v2, v[13:14], off offset:128
	;; [unrolled: 1-line block ×4, first 2 shown]
	global_load_b32 v36, v[17:18], off
.LBB80_28:
	s_or_b32 exec_lo, exec_lo, s7
	v_dual_mov_b32 v10, 0 :: v_dual_mov_b32 v11, 0
	v_mov_b32_e32 v12, 0
	s_mov_b32 s7, exec_lo
	v_cmpx_gt_i32_e64 s0, v30
	s_cbranch_execz .LBB80_30
; %bb.29:
	v_lshlrev_b64 v[5:6], 2, v[6:7]
	v_mad_u64_u32 v[10:11], null, v30, s4, 0
	s_lshl_b64 s[8:9], s[24:25], 3
	s_delay_alu instid0(VALU_DEP_2) | instskip(NEXT) | instid1(VALU_DEP_3)
	v_add_co_u32 v5, vcc_lo, s20, v5
	v_add_co_ci_u32_e32 v6, vcc_lo, s21, v6, vcc_lo
	s_delay_alu instid0(VALU_DEP_3) | instskip(NEXT) | instid1(VALU_DEP_3)
	v_mov_b32_e32 v7, v11
	v_add_co_u32 v12, vcc_lo, 0x80, v5
	s_delay_alu instid0(VALU_DEP_3) | instskip(NEXT) | instid1(VALU_DEP_3)
	v_add_co_ci_u32_e32 v13, vcc_lo, 0, v6, vcc_lo
	v_mad_u64_u32 v[16:17], null, v30, s5, v[7:8]
	s_lshl_b64 s[4:5], s[24:25], 2
	s_delay_alu instid0(VALU_DEP_2) | instskip(NEXT) | instid1(VALU_DEP_2)
	v_mad_u64_u32 v[14:15], null, s24, 12, v[12:13]
	v_mov_b32_e32 v11, v16
	s_delay_alu instid0(VALU_DEP_2) | instskip(NEXT) | instid1(VALU_DEP_2)
	v_mov_b32_e32 v7, v15
	v_lshlrev_b64 v[10:11], 2, v[10:11]
	s_delay_alu instid0(VALU_DEP_2)
	v_mad_u64_u32 v[15:16], null, s25, 12, v[7:8]
	v_add_co_u32 v16, vcc_lo, v12, s4
	v_add_co_ci_u32_e32 v17, vcc_lo, s5, v13, vcc_lo
	v_add_co_u32 v12, vcc_lo, v12, s8
	v_add_co_ci_u32_e32 v13, vcc_lo, s9, v13, vcc_lo
	;; [unrolled: 2-line block ×3, first 2 shown]
	s_clause 0x3
	global_load_b32 v5, v[5:6], off offset:192
	global_load_b32 v10, v[16:17], off offset:64
	;; [unrolled: 1-line block ×4, first 2 shown]
	global_load_b32 v31, v[18:19], off
.LBB80_30:
	s_or_b32 exec_lo, exec_lo, s7
	s_waitcnt vmcnt(0)
	v_dual_fmac_f32 v27, v36, v3 :: v_dual_lshlrev_b32 v6, 2, v24
	v_cmp_gt_i32_e32 vcc_lo, s0, v22
	v_fmac_f32_e32 v28, v36, v1
	ds_load_b128 v[13:16], v6 offset:3072
	s_waitcnt lgkmcnt(0)
	s_and_b32 s1, s2, vcc_lo
	s_barrier
	buffer_gl0_inv
	v_fma_f32 v6, v5, v13, 0
	v_fma_f32 v7, v3, v13, 0
	s_delay_alu instid0(VALU_DEP_1) | instskip(NEXT) | instid1(VALU_DEP_1)
	v_fmac_f32_e32 v7, v2, v14
	v_dual_fmac_f32 v6, v10, v14 :: v_dual_fmac_f32 v7, v1, v15
	s_delay_alu instid0(VALU_DEP_1) | instskip(SKIP_2) | instid1(VALU_DEP_4)
	v_dual_fmac_f32 v29, v36, v2 :: v_dual_fmac_f32 v6, v11, v15
	v_lshl_or_b32 v2, v23, 7, v25
	v_fmac_f32_e32 v26, v36, v0
	v_fmac_f32_e32 v7, v0, v16
	s_delay_alu instid0(VALU_DEP_3)
	v_dual_fmac_f32 v6, v12, v16 :: v_dual_add_nc_u32 v1, 0x800, v2
	ds_store_2addr_b32 v1, v7, v6 offset1:16
	s_waitcnt lgkmcnt(0)
	s_barrier
	buffer_gl0_inv
	s_and_saveexec_b32 s0, s1
	s_cbranch_execz .LBB80_33
; %bb.31:
	v_mad_u64_u32 v[0:1], null, v22, s10, 0
	s_lshl_b64 s[4:5], s[10:11], 7
	s_mov_b32 s1, 0
	s_delay_alu instid0(VALU_DEP_1) | instskip(NEXT) | instid1(VALU_DEP_1)
	v_mad_u64_u32 v[2:3], null, v22, s11, v[1:2]
	v_mov_b32_e32 v1, v2
	v_add_co_u32 v2, vcc_lo, v8, s4
	v_add_co_ci_u32_e32 v3, vcc_lo, s5, v9, vcc_lo
	s_delay_alu instid0(VALU_DEP_3) | instskip(NEXT) | instid1(VALU_DEP_1)
	v_lshlrev_b64 v[0:1], 2, v[0:1]
	v_add_co_u32 v0, vcc_lo, v2, v0
	v_lshlrev_b32_e32 v2, 2, v22
	s_delay_alu instid0(VALU_DEP_3) | instskip(NEXT) | instid1(VALU_DEP_2)
	v_add_co_ci_u32_e32 v1, vcc_lo, v3, v1, vcc_lo
	v_add_nc_u32_e32 v2, 0x800, v2
	global_load_b32 v3, v[0:1], off
	ds_load_2addr_b32 v[6:7], v2 offset1:32
	ds_load_2addr_b32 v[8:9], v2 offset0:64 offset1:96
	ds_load_2addr_b32 v[13:14], v2 offset0:128 offset1:160
	s_waitcnt lgkmcnt(2)
	v_add_f32_e32 v6, 0, v6
	s_delay_alu instid0(VALU_DEP_1) | instskip(SKIP_1) | instid1(VALU_DEP_1)
	v_add_f32_e32 v6, v6, v7
	s_waitcnt lgkmcnt(1)
	v_add_f32_e32 v8, v6, v8
	ds_load_2addr_b32 v[6:7], v2 offset0:192 offset1:224
	v_add_f32_e32 v2, v8, v9
	s_waitcnt lgkmcnt(1)
	s_delay_alu instid0(VALU_DEP_1) | instskip(NEXT) | instid1(VALU_DEP_1)
	v_add_f32_e32 v2, v2, v13
	v_add_f32_e32 v2, v2, v14
	s_waitcnt lgkmcnt(0)
	s_delay_alu instid0(VALU_DEP_1) | instskip(NEXT) | instid1(VALU_DEP_1)
	v_add_f32_e32 v2, v2, v6
	v_add_f32_e32 v2, v2, v7
	s_delay_alu instid0(VALU_DEP_1)
	v_mul_f32_e32 v6, s3, v2
.LBB80_32:                              ; =>This Inner Loop Header: Depth=1
	s_waitcnt vmcnt(0)
	s_delay_alu instid0(VALU_DEP_1)
	v_add_f32_e32 v2, v3, v6
	global_atomic_cmpswap_b32 v2, v[0:1], v[2:3], off glc
	s_waitcnt vmcnt(0)
	v_cmp_eq_u32_e32 vcc_lo, v2, v3
	v_mov_b32_e32 v3, v2
	s_or_b32 s1, vcc_lo, s1
	s_delay_alu instid0(SALU_CYCLE_1)
	s_and_not1_b32 exec_lo, exec_lo, s1
	s_cbranch_execnz .LBB80_32
.LBB80_33:
	s_or_b32 exec_lo, exec_lo, s0
	v_fmac_f32_e32 v27, v31, v5
	v_fmac_f32_e32 v29, v31, v10
	;; [unrolled: 1-line block ×4, first 2 shown]
.LBB80_34:
	v_lshl_or_b32 v0, v23, 8, v25
	ds_store_2addr_b32 v0, v27, v29 offset1:16
	ds_store_2addr_b32 v0, v28, v26 offset0:32 offset1:48
	s_waitcnt lgkmcnt(0)
	s_barrier
	buffer_gl0_inv
	s_and_saveexec_b32 s0, s2
	s_cbranch_execz .LBB80_37
; %bb.35:
	v_mad_u64_u32 v[0:1], null, v22, s10, 0
	v_add_nc_u32_e32 v7, 3, v22
	v_add_nc_u32_e32 v9, 4, v22
	;; [unrolled: 1-line block ×5, first 2 shown]
	s_mov_b32 s0, 0
	v_mad_u64_u32 v[2:3], null, v22, s11, v[1:2]
	s_delay_alu instid0(VALU_DEP_1) | instskip(NEXT) | instid1(VALU_DEP_1)
	v_dual_mov_b32 v1, v2 :: v_dual_lshlrev_b32 v2, 4, v22
	v_lshlrev_b64 v[0:1], 2, v[0:1]
	s_delay_alu instid0(VALU_DEP_2)
	v_or_b32_e32 v4, v4, v2
	v_and_or_b32 v7, v7, 15, v2
	v_and_or_b32 v9, v9, 15, v2
	v_and_or_b32 v10, v10, 15, v2
	v_and_or_b32 v11, v11, 15, v2
	v_add_co_u32 v0, vcc_lo, s17, v0
	v_add_co_ci_u32_e32 v1, vcc_lo, s18, v1, vcc_lo
	v_lshlrev_b32_e32 v8, 2, v4
	v_and_or_b32 v12, v12, 15, v2
	v_lshlrev_b32_e32 v7, 2, v7
	global_load_b32 v3, v[0:1], off
	v_lshlrev_b32_e32 v9, 2, v9
	ds_load_b32 v8, v8
	v_add_nc_u32_e32 v5, 1, v22
	v_lshlrev_b32_e32 v10, 2, v10
	v_lshlrev_b32_e32 v11, 2, v11
	;; [unrolled: 1-line block ×3, first 2 shown]
	v_xor_b32_e32 v4, 8, v4
	v_and_or_b32 v5, v5, 15, v2
	s_delay_alu instid0(VALU_DEP_2) | instskip(NEXT) | instid1(VALU_DEP_2)
	v_lshlrev_b32_e32 v4, 2, v4
	v_lshlrev_b32_e32 v5, 2, v5
	ds_load_b32 v5, v5
	v_add_nc_u32_e32 v6, 2, v22
	s_delay_alu instid0(VALU_DEP_1) | instskip(NEXT) | instid1(VALU_DEP_1)
	v_and_or_b32 v6, v6, 15, v2
	v_lshlrev_b32_e32 v6, 2, v6
	ds_load_b32 v6, v6
	ds_load_b32 v7, v7
	;; [unrolled: 1-line block ×6, first 2 shown]
	s_waitcnt lgkmcnt(7)
	v_add_f32_e32 v8, 0, v8
	ds_load_b32 v4, v4
	s_waitcnt lgkmcnt(7)
	v_dual_add_f32 v5, v8, v5 :: v_dual_add_nc_u32 v8, 11, v22
	s_delay_alu instid0(VALU_DEP_1) | instskip(SKIP_1) | instid1(VALU_DEP_1)
	v_and_or_b32 v8, v8, 15, v2
	s_waitcnt lgkmcnt(6)
	v_dual_add_f32 v5, v5, v6 :: v_dual_lshlrev_b32 v8, 2, v8
	s_waitcnt lgkmcnt(5)
	s_delay_alu instid0(VALU_DEP_1) | instskip(SKIP_1) | instid1(VALU_DEP_2)
	v_dual_add_f32 v5, v5, v7 :: v_dual_add_nc_u32 v6, 9, v22
	v_add_nc_u32_e32 v7, 10, v22
	v_and_or_b32 v6, v6, 15, v2
	s_waitcnt lgkmcnt(4)
	s_delay_alu instid0(VALU_DEP_3) | instskip(NEXT) | instid1(VALU_DEP_3)
	v_add_f32_e32 v5, v5, v9
	v_and_or_b32 v7, v7, 15, v2
	s_delay_alu instid0(VALU_DEP_3)
	v_lshlrev_b32_e32 v6, 2, v6
	v_add_nc_u32_e32 v9, 12, v22
	s_waitcnt lgkmcnt(3)
	v_add_f32_e32 v5, v5, v10
	v_lshlrev_b32_e32 v7, 2, v7
	ds_load_b32 v6, v6
	v_add_nc_u32_e32 v10, 13, v22
	v_and_or_b32 v9, v9, 15, v2
	s_waitcnt lgkmcnt(3)
	v_add_f32_e32 v5, v5, v11
	ds_load_b32 v7, v7
	v_add_nc_u32_e32 v11, 14, v22
	v_and_or_b32 v10, v10, 15, v2
	v_lshlrev_b32_e32 v9, 2, v9
	s_waitcnt lgkmcnt(3)
	v_dual_add_f32 v5, v5, v12 :: v_dual_add_nc_u32 v12, -1, v22
	v_and_or_b32 v11, v11, 15, v2
	v_lshlrev_b32_e32 v10, 2, v10
	s_waitcnt lgkmcnt(2)
	s_delay_alu instid0(VALU_DEP_3) | instskip(SKIP_2) | instid1(VALU_DEP_2)
	v_add_f32_e32 v4, v5, v4
	v_and_or_b32 v2, v12, 15, v2
	v_lshlrev_b32_e32 v11, 2, v11
	v_lshlrev_b32_e32 v2, 2, v2
	ds_load_b32 v8, v8
	ds_load_b32 v9, v9
	;; [unrolled: 1-line block ×5, first 2 shown]
	s_waitcnt lgkmcnt(6)
	v_add_f32_e32 v4, v4, v6
	s_waitcnt lgkmcnt(5)
	s_delay_alu instid0(VALU_DEP_1) | instskip(SKIP_1) | instid1(VALU_DEP_1)
	v_add_f32_e32 v4, v4, v7
	s_waitcnt lgkmcnt(4)
	v_add_f32_e32 v4, v4, v8
	s_waitcnt lgkmcnt(3)
	s_delay_alu instid0(VALU_DEP_1) | instskip(SKIP_1) | instid1(VALU_DEP_1)
	v_add_f32_e32 v4, v4, v9
	;; [unrolled: 5-line block ×3, first 2 shown]
	s_waitcnt lgkmcnt(0)
	v_add_f32_e32 v2, v4, v2
	s_delay_alu instid0(VALU_DEP_1)
	v_mul_f32_e32 v4, s3, v2
.LBB80_36:                              ; =>This Inner Loop Header: Depth=1
	s_waitcnt vmcnt(0)
	s_delay_alu instid0(VALU_DEP_1)
	v_add_f32_e32 v2, v3, v4
	global_atomic_cmpswap_b32 v2, v[0:1], v[2:3], off glc
	s_waitcnt vmcnt(0)
	v_cmp_eq_u32_e32 vcc_lo, v2, v3
	v_mov_b32_e32 v3, v2
	s_or_b32 s0, vcc_lo, s0
	s_delay_alu instid0(SALU_CYCLE_1)
	s_and_not1_b32 exec_lo, exec_lo, s0
	s_cbranch_execnz .LBB80_36
.LBB80_37:
	s_endpgm
	.section	.rodata,"a",@progbits
	.p2align	6, 0x0
	.amdhsa_kernel _ZL62rocblas_symv_kernel_lower_double_buffered_non_diagonal_genericILi32ELi4ELi4E24rocblas_internal_val_ptrIfEPKfPfEvbiT2_lT3_lllS6_lllT4_lllii
		.amdhsa_group_segment_fixed_size 3200
		.amdhsa_private_segment_fixed_size 0
		.amdhsa_kernarg_size 384
		.amdhsa_user_sgpr_count 13
		.amdhsa_user_sgpr_dispatch_ptr 0
		.amdhsa_user_sgpr_queue_ptr 0
		.amdhsa_user_sgpr_kernarg_segment_ptr 1
		.amdhsa_user_sgpr_dispatch_id 0
		.amdhsa_user_sgpr_private_segment_size 0
		.amdhsa_wavefront_size32 1
		.amdhsa_uses_dynamic_stack 0
		.amdhsa_enable_private_segment 0
		.amdhsa_system_sgpr_workgroup_id_x 1
		.amdhsa_system_sgpr_workgroup_id_y 1
		.amdhsa_system_sgpr_workgroup_id_z 1
		.amdhsa_system_sgpr_workgroup_info 0
		.amdhsa_system_vgpr_workitem_id 1
		.amdhsa_next_free_vgpr 52
		.amdhsa_next_free_sgpr 32
		.amdhsa_reserve_vcc 1
		.amdhsa_float_round_mode_32 0
		.amdhsa_float_round_mode_16_64 0
		.amdhsa_float_denorm_mode_32 3
		.amdhsa_float_denorm_mode_16_64 3
		.amdhsa_dx10_clamp 1
		.amdhsa_ieee_mode 1
		.amdhsa_fp16_overflow 0
		.amdhsa_workgroup_processor_mode 1
		.amdhsa_memory_ordered 1
		.amdhsa_forward_progress 0
		.amdhsa_shared_vgpr_count 0
		.amdhsa_exception_fp_ieee_invalid_op 0
		.amdhsa_exception_fp_denorm_src 0
		.amdhsa_exception_fp_ieee_div_zero 0
		.amdhsa_exception_fp_ieee_overflow 0
		.amdhsa_exception_fp_ieee_underflow 0
		.amdhsa_exception_fp_ieee_inexact 0
		.amdhsa_exception_int_div_zero 0
	.end_amdhsa_kernel
	.section	.text._ZL62rocblas_symv_kernel_lower_double_buffered_non_diagonal_genericILi32ELi4ELi4E24rocblas_internal_val_ptrIfEPKfPfEvbiT2_lT3_lllS6_lllT4_lllii,"axG",@progbits,_ZL62rocblas_symv_kernel_lower_double_buffered_non_diagonal_genericILi32ELi4ELi4E24rocblas_internal_val_ptrIfEPKfPfEvbiT2_lT3_lllS6_lllT4_lllii,comdat
.Lfunc_end80:
	.size	_ZL62rocblas_symv_kernel_lower_double_buffered_non_diagonal_genericILi32ELi4ELi4E24rocblas_internal_val_ptrIfEPKfPfEvbiT2_lT3_lllS6_lllT4_lllii, .Lfunc_end80-_ZL62rocblas_symv_kernel_lower_double_buffered_non_diagonal_genericILi32ELi4ELi4E24rocblas_internal_val_ptrIfEPKfPfEvbiT2_lT3_lllS6_lllT4_lllii
                                        ; -- End function
	.section	.AMDGPU.csdata,"",@progbits
; Kernel info:
; codeLenInByte = 3640
; NumSgprs: 34
; NumVgprs: 52
; ScratchSize: 0
; MemoryBound: 0
; FloatMode: 240
; IeeeMode: 1
; LDSByteSize: 3200 bytes/workgroup (compile time only)
; SGPRBlocks: 4
; VGPRBlocks: 6
; NumSGPRsForWavesPerEU: 34
; NumVGPRsForWavesPerEU: 52
; Occupancy: 16
; WaveLimiterHint : 0
; COMPUTE_PGM_RSRC2:SCRATCH_EN: 0
; COMPUTE_PGM_RSRC2:USER_SGPR: 13
; COMPUTE_PGM_RSRC2:TRAP_HANDLER: 0
; COMPUTE_PGM_RSRC2:TGID_X_EN: 1
; COMPUTE_PGM_RSRC2:TGID_Y_EN: 1
; COMPUTE_PGM_RSRC2:TGID_Z_EN: 1
; COMPUTE_PGM_RSRC2:TIDIG_COMP_CNT: 1
	.section	.text._ZL26rocblas_hemvn_kernel_lowerILb0ELi64ELi4ELi33ELi32ELi16ElPKfS1_PfEviT6_lT7_lT5_lS4_lS5_lS3_lT8_i,"axG",@progbits,_ZL26rocblas_hemvn_kernel_lowerILb0ELi64ELi4ELi33ELi32ELi16ElPKfS1_PfEviT6_lT7_lT5_lS4_lS5_lS3_lT8_i,comdat
	.globl	_ZL26rocblas_hemvn_kernel_lowerILb0ELi64ELi4ELi33ELi32ELi16ElPKfS1_PfEviT6_lT7_lT5_lS4_lS5_lS3_lT8_i ; -- Begin function _ZL26rocblas_hemvn_kernel_lowerILb0ELi64ELi4ELi33ELi32ELi16ElPKfS1_PfEviT6_lT7_lT5_lS4_lS5_lS3_lT8_i
	.p2align	8
	.type	_ZL26rocblas_hemvn_kernel_lowerILb0ELi64ELi4ELi33ELi32ELi16ElPKfS1_PfEviT6_lT7_lT5_lS4_lS5_lS3_lT8_i,@function
_ZL26rocblas_hemvn_kernel_lowerILb0ELi64ELi4ELi33ELi32ELi16ElPKfS1_PfEviT6_lT7_lT5_lS4_lS5_lS3_lT8_i: ; @_ZL26rocblas_hemvn_kernel_lowerILb0ELi64ELi4ELi33ELi32ELi16ElPKfS1_PfEviT6_lT7_lT5_lS4_lS5_lS3_lT8_i
; %bb.0:
	s_load_b64 s[4:5], s[0:1], 0x84
	s_add_u32 s2, s0, 0x78
	s_addc_u32 s3, s1, 0
	s_waitcnt lgkmcnt(0)
	s_lshr_b32 s6, s4, 16
	s_and_b32 s4, s4, 0xffff
	s_and_b32 s5, s5, 0xffff
	s_mul_i32 s4, s6, s4
	s_delay_alu instid0(SALU_CYCLE_1) | instskip(NEXT) | instid1(SALU_CYCLE_1)
	s_mul_i32 s4, s4, s5
	s_cmpk_lg_i32 s4, 0x100
	s_cbranch_scc1 .LBB81_76
; %bb.1:
	s_clause 0x1
	s_load_b512 s[16:31], s[0:1], 0x8
	s_load_b256 s[36:43], s[0:1], 0x48
	s_waitcnt lgkmcnt(0)
	s_mul_i32 s5, s15, s19
	s_mul_hi_u32 s6, s15, s18
	s_mul_i32 s4, s15, s18
	s_add_i32 s5, s6, s5
	s_mul_i32 s6, s15, s43
	s_lshl_b64 s[4:5], s[4:5], 2
	s_mul_hi_u32 s7, s15, s42
	s_add_u32 s4, s16, s4
	s_addc_u32 s5, s17, s5
	s_add_i32 s7, s7, s6
	s_mul_i32 s6, s15, s42
	s_delay_alu instid0(SALU_CYCLE_1) | instskip(NEXT) | instid1(SALU_CYCLE_1)
	s_lshl_b64 s[6:7], s[6:7], 2
	s_add_u32 s6, s40, s6
	s_addc_u32 s7, s41, s7
	s_load_b32 s4, s[4:5], 0x0
	s_load_b32 s5, s[6:7], 0x0
	s_waitcnt lgkmcnt(0)
	v_cmp_eq_f32_e64 s4, s4, 0
	v_cmp_eq_f32_e64 s5, s5, 1.0
	s_delay_alu instid0(VALU_DEP_1) | instskip(NEXT) | instid1(SALU_CYCLE_1)
	s_and_b32 s5, s4, s5
	s_and_b32 vcc_lo, exec_lo, s5
	s_cbranch_vccnz .LBB81_76
; %bb.2:
	s_and_b32 vcc_lo, exec_lo, s4
	s_cbranch_vccnz .LBB81_76
; %bb.3:
	s_mul_i32 s5, s15, s39
	s_mul_hi_u32 s6, s15, s38
	s_mul_i32 s4, s15, s38
	s_add_i32 s5, s6, s5
	v_and_b32_e32 v18, 0x3ff, v0
	s_lshl_b64 s[4:5], s[4:5], 2
	s_clause 0x1
	s_load_b32 s33, s[0:1], 0x0
	s_load_b64 s[16:17], s[0:1], 0x68
	s_add_u32 s6, s28, s4
	s_addc_u32 s7, s29, s5
	s_lshl_b64 s[4:5], s[30:31], 2
	s_load_b32 s28, s[2:3], 0x0
	s_add_u32 s4, s6, s4
	s_addc_u32 s5, s7, s5
	s_lshl_b32 s10, s14, 6
	v_bfe_u32 v16, v0, 10, 10
	v_add_nc_u32_e32 v4, s10, v18
	s_delay_alu instid0(VALU_DEP_1) | instskip(SKIP_2) | instid1(VALU_DEP_3)
	v_ashrrev_i32_e32 v5, 31, v4
	v_mul_lo_u32 v3, v4, s37
	v_mad_u64_u32 v[1:2], null, v4, s36, 0
	v_mul_lo_u32 v6, v5, s36
	s_waitcnt lgkmcnt(0)
	s_ashr_i32 s29, s33, 31
	s_delay_alu instid0(SALU_CYCLE_1) | instskip(NEXT) | instid1(SALU_CYCLE_1)
	s_lshr_b32 s0, s29, 26
	s_add_i32 s1, s33, s0
	s_add_i32 s2, s28, -1
	s_and_not1_b32 s1, s1, 63
	s_delay_alu instid0(VALU_DEP_1)
	v_add3_u32 v2, v2, v3, v6
	v_cmp_ne_u32_e64 s0, 0, v16
	s_sub_i32 s3, s33, s1
	v_cmp_eq_u32_e64 s1, 0, v16
	s_cmp_eq_u32 s14, s2
	v_lshlrev_b64 v[0:1], 2, v[1:2]
	s_cselect_b32 s12, s3, 0
	s_delay_alu instid0(VALU_DEP_1) | instskip(NEXT) | instid1(VALU_DEP_2)
	v_add_co_u32 v6, vcc_lo, s4, v0
	v_add_co_ci_u32_e32 v7, vcc_lo, s5, v1, vcc_lo
	s_and_saveexec_b32 s2, s1
	s_cbranch_execz .LBB81_7
; %bb.4:
	v_cmp_gt_i32_e32 vcc_lo, s12, v18
	s_cmp_eq_u32 s12, 0
	v_mov_b32_e32 v0, 0
	s_cselect_b32 s3, -1, 0
	s_delay_alu instid0(SALU_CYCLE_1) | instskip(NEXT) | instid1(SALU_CYCLE_1)
	s_or_b32 s4, s3, vcc_lo
	s_and_saveexec_b32 s3, s4
	s_cbranch_execz .LBB81_6
; %bb.5:
	global_load_b32 v0, v[6:7], off
.LBB81_6:
	s_or_b32 exec_lo, exec_lo, s3
	v_lshlrev_b32_e32 v1, 2, v18
	s_waitcnt vmcnt(0)
	ds_store_b32 v1, v0 offset:4544
.LBB81_7:
	s_or_b32 exec_lo, exec_lo, s2
	v_lshl_add_u32 v19, v16, 6, v18
	v_dual_mov_b32 v1, 0 :: v_dual_and_b32 v0, 31, v18
	s_mul_i32 s3, s15, s27
	s_mul_hi_u32 s4, s15, s26
	s_delay_alu instid0(VALU_DEP_2)
	v_lshrrev_b32_e32 v3, 5, v19
	s_mul_i32 s2, s15, s26
	s_add_i32 s3, s4, s3
	s_mul_i32 s6, s10, s25
	s_lshl_b64 s[2:3], s[2:3], 2
	v_mad_u64_u32 v[8:9], null, v3, s24, v[0:1]
	s_add_u32 s4, s20, s2
	s_addc_u32 s5, s21, s3
	s_lshl_b64 s[2:3], s[22:23], 2
	s_mul_hi_u32 s7, s10, s24
	s_add_u32 s4, s4, s2
	s_addc_u32 s5, s5, s3
	s_delay_alu instid0(VALU_DEP_1) | instskip(SKIP_1) | instid1(SALU_CYCLE_1)
	v_mov_b32_e32 v1, v9
	s_ashr_i32 s11, s10, 31
	s_lshl_b64 s[2:3], s[10:11], 2
	s_mul_i32 s8, s11, s24
	s_delay_alu instid0(VALU_DEP_1)
	v_mad_u64_u32 v[9:10], null, v3, s25, v[1:2]
	s_add_u32 s4, s4, s2
	s_addc_u32 s5, s5, s3
	s_add_i32 s3, s7, s6
	s_mul_i32 s2, s10, s24
	s_add_i32 s3, s3, s8
	s_delay_alu instid0(SALU_CYCLE_1) | instskip(NEXT) | instid1(VALU_DEP_1)
	s_lshl_b64 s[18:19], s[2:3], 2
	v_lshlrev_b64 v[8:9], 2, v[8:9]
	s_add_u32 s2, s18, s4
	s_addc_u32 s3, s19, s5
	s_cmp_lg_u32 s12, 0
	s_cselect_b32 s26, -1, 0
	s_delay_alu instid0(VALU_DEP_1)
	v_add_co_u32 v1, vcc_lo, s2, v8
	v_add_co_ci_u32_e32 v2, vcc_lo, s3, v9, vcc_lo
	s_cmp_eq_u32 s12, 0
	s_mov_b32 s2, 0
	s_cselect_b32 s7, -1, 0
	s_and_b32 vcc_lo, exec_lo, s26
	s_cbranch_vccnz .LBB81_9
; %bb.8:
	v_mad_u64_u32 v[10:11], null, 0x60, s24, v[1:2]
	s_lshl_b64 s[4:5], s[24:25], 5
	s_delay_alu instid0(VALU_DEP_1) | instskip(SKIP_2) | instid1(VALU_DEP_2)
	v_mad_u64_u32 v[12:13], null, 0x60, s25, v[11:12]
	v_add_co_u32 v13, vcc_lo, v1, s4
	v_add_co_ci_u32_e32 v14, vcc_lo, s5, v2, vcc_lo
	v_add_co_u32 v20, vcc_lo, v13, s4
	s_delay_alu instid0(VALU_DEP_2)
	v_add_co_ci_u32_e32 v21, vcc_lo, s5, v14, vcc_lo
	v_mov_b32_e32 v11, v12
	s_clause 0x1
	global_load_b32 v12, v[1:2], off
	global_load_b32 v13, v[13:14], off
	;; [unrolled: 1-line block ×4, first 2 shown]
	v_mul_u32_u24_e32 v11, 33, v3
	s_delay_alu instid0(VALU_DEP_1)
	v_add_lshl_u32 v11, v11, v0, 2
	s_waitcnt vmcnt(3)
	ds_store_b32 v11, v12
	s_waitcnt vmcnt(2)
	ds_store_b32 v11, v13 offset:1056
	s_waitcnt vmcnt(1)
	ds_store_b32 v11, v14 offset:2112
	;; [unrolled: 2-line block ×3, first 2 shown]
	s_and_not1_b32 vcc_lo, exec_lo, s2
	s_cbranch_vccz .LBB81_10
	s_branch .LBB81_19
.LBB81_9:
.LBB81_10:
	v_lshlrev_b32_e32 v12, 2, v0
	s_ashr_i32 s13, s12, 31
	v_dual_mov_b32 v14, 0 :: v_dual_mov_b32 v15, 0
	s_lshl_b64 s[4:5], s[12:13], 2
	s_delay_alu instid0(VALU_DEP_2) | instskip(SKIP_2) | instid1(VALU_DEP_2)
	v_sub_co_u32 v10, vcc_lo, v1, v12
	v_subrev_co_ci_u32_e32 v11, vcc_lo, 0, v2, vcc_lo
	s_mov_b32 s3, exec_lo
	v_add_co_u32 v10, vcc_lo, v10, s4
	s_delay_alu instid0(VALU_DEP_2) | instskip(NEXT) | instid1(VALU_DEP_2)
	v_add_co_ci_u32_e32 v11, vcc_lo, s5, v11, vcc_lo
	v_add_co_u32 v10, vcc_lo, v10, -4
	s_delay_alu instid0(VALU_DEP_2) | instskip(SKIP_1) | instid1(VALU_DEP_2)
	v_add_co_ci_u32_e32 v11, vcc_lo, -1, v11, vcc_lo
	v_cmp_gt_i32_e32 vcc_lo, s12, v0
	v_dual_cndmask_b32 v11, v11, v2 :: v_dual_cndmask_b32 v10, v10, v1
	v_cmpx_gt_i32_e64 s12, v3
	s_cbranch_execz .LBB81_12
; %bb.11:
	global_load_b32 v15, v[10:11], off
.LBB81_12:
	s_or_b32 exec_lo, exec_lo, s3
	v_mul_u32_u24_e32 v13, 33, v3
	v_add_nc_u32_e32 v17, 8, v3
	s_mov_b32 s3, exec_lo
	s_delay_alu instid0(VALU_DEP_2)
	v_add_lshl_u32 v13, v13, v0, 2
	s_waitcnt vmcnt(0)
	ds_store_b32 v13, v15
	v_cmpx_gt_i32_e64 s12, v17
	s_cbranch_execz .LBB81_14
; %bb.13:
	s_lshl_b64 s[8:9], s[24:25], 5
	s_delay_alu instid0(SALU_CYCLE_1) | instskip(NEXT) | instid1(VALU_DEP_1)
	v_add_co_u32 v14, s2, v10, s8
	v_add_co_ci_u32_e64 v15, s2, s9, v11, s2
	global_load_b32 v14, v[14:15], off
.LBB81_14:
	s_or_b32 exec_lo, exec_lo, s3
	v_add_nc_u32_e32 v17, 16, v3
	v_mov_b32_e32 v15, 0
	s_waitcnt vmcnt(0)
	ds_store_b32 v13, v14 offset:1056
	v_cmp_gt_i32_e64 s2, s12, v17
	v_mov_b32_e32 v17, 0
	s_delay_alu instid0(VALU_DEP_2)
	s_and_saveexec_b32 s3, s2
	s_cbranch_execz .LBB81_16
; %bb.15:
	s_lshl_b64 s[8:9], s[24:25], 6
	s_delay_alu instid0(SALU_CYCLE_1) | instskip(NEXT) | instid1(VALU_DEP_1)
	v_add_co_u32 v20, s2, v10, s8
	v_add_co_ci_u32_e64 v21, s2, s9, v11, s2
	global_load_b32 v17, v[20:21], off
.LBB81_16:
	s_or_b32 exec_lo, exec_lo, s3
	v_add_nc_u32_e32 v14, 24, v3
	s_mov_b32 s3, exec_lo
	s_waitcnt vmcnt(0)
	ds_store_b32 v13, v17 offset:2112
	v_cmpx_gt_i32_e64 s12, v14
	s_cbranch_execz .LBB81_18
; %bb.17:
	v_mad_u64_u32 v[14:15], null, 0x60, s24, v[10:11]
	s_delay_alu instid0(VALU_DEP_1) | instskip(NEXT) | instid1(VALU_DEP_1)
	v_mad_u64_u32 v[20:21], null, 0x60, s25, v[15:16]
	v_mov_b32_e32 v15, v20
	global_load_b32 v15, v[14:15], off
.LBB81_18:
	s_or_b32 exec_lo, exec_lo, s3
	v_add_co_u32 v10, s2, v10, v12
	s_delay_alu instid0(VALU_DEP_1) | instskip(SKIP_3) | instid1(VALU_DEP_1)
	v_add_co_ci_u32_e64 v11, s2, 0, v11, s2
	s_waitcnt vmcnt(0)
	ds_store_b32 v13, v15 offset:3168
	v_sub_co_u32 v10, s2, v10, s4
	v_subrev_co_ci_u32_e64 v11, s2, s5, v11, s2
	s_delay_alu instid0(VALU_DEP_2) | instskip(NEXT) | instid1(VALU_DEP_1)
	v_add_co_u32 v10, s2, v10, 4
	v_add_co_ci_u32_e64 v11, s2, 0, v11, s2
	s_delay_alu instid0(VALU_DEP_1)
	v_dual_cndmask_b32 v1, v10, v1 :: v_dual_cndmask_b32 v2, v11, v2
.LBB81_19:
	v_lshlrev_b32_e32 v12, 2, v3
	v_mul_u32_u24_e32 v20, 33, v0
	v_mul_u32_u24_e32 v11, 0x84, v3
	s_waitcnt lgkmcnt(0)
	s_barrier
	v_cmp_lt_u32_e64 s3, v12, v0
	v_add_lshl_u32 v14, v12, v20, 2
	buffer_gl0_inv
	s_and_saveexec_b32 s2, s3
	s_cbranch_execz .LBB81_21
; %bb.20:
	v_add_lshl_u32 v10, v11, v0, 2
	ds_load_b32 v10, v10
	s_waitcnt lgkmcnt(0)
	ds_store_b32 v14, v10
.LBB81_21:
	s_or_b32 exec_lo, exec_lo, s2
	v_or_b32_e32 v10, 1, v12
	s_delay_alu instid0(VALU_DEP_1) | instskip(NEXT) | instid1(VALU_DEP_1)
	v_cmp_lt_u32_e64 s4, v10, v0
	s_and_saveexec_b32 s2, s4
	s_cbranch_execz .LBB81_23
; %bb.22:
	v_mul_u32_u24_e32 v10, 33, v10
	s_delay_alu instid0(VALU_DEP_1)
	v_add_lshl_u32 v10, v10, v0, 2
	ds_load_b32 v10, v10
	s_waitcnt lgkmcnt(0)
	ds_store_b32 v14, v10 offset:4
.LBB81_23:
	s_or_b32 exec_lo, exec_lo, s2
	v_or_b32_e32 v10, 2, v12
	s_delay_alu instid0(VALU_DEP_1) | instskip(NEXT) | instid1(VALU_DEP_1)
	v_cmp_lt_u32_e64 s5, v10, v0
	s_and_saveexec_b32 s2, s5
	s_cbranch_execz .LBB81_25
; %bb.24:
	v_mul_u32_u24_e32 v10, 33, v10
	s_delay_alu instid0(VALU_DEP_1)
	v_add_lshl_u32 v10, v10, v0, 2
	ds_load_b32 v10, v10
	s_waitcnt lgkmcnt(0)
	ds_store_b32 v14, v10 offset:8
.LBB81_25:
	s_or_b32 exec_lo, exec_lo, s2
	v_or_b32_e32 v10, 3, v12
	s_delay_alu instid0(VALU_DEP_1) | instskip(SKIP_1) | instid1(VALU_DEP_2)
	v_mad_u32_u24 v13, v10, 33, v0
	v_cmp_lt_u32_e64 s6, v10, v0
	v_lshlrev_b32_e32 v10, 2, v13
	s_delay_alu instid0(VALU_DEP_2)
	s_and_saveexec_b32 s2, s6
	s_cbranch_execz .LBB81_27
; %bb.26:
	ds_load_b32 v13, v10
	s_waitcnt lgkmcnt(0)
	ds_store_b32 v14, v13 offset:12
.LBB81_27:
	s_or_b32 exec_lo, exec_lo, s2
	v_add_lshl_u32 v11, v11, v0, 2
	v_lshlrev_b32_e32 v13, 2, v12
	v_add_nc_u32_e32 v15, 0xfffffef8, v10
	s_waitcnt lgkmcnt(0)
	s_barrier
	buffer_gl0_inv
	ds_load_b32 v17, v11
	ds_load_b128 v[21:24], v13 offset:4544
	ds_load_2addr_b32 v[25:26], v15 offset1:33
	ds_load_b32 v27, v10
	v_cmp_gt_u32_e64 s2, 32, v19
	s_waitcnt lgkmcnt(0)
	s_barrier
	buffer_gl0_inv
	v_fma_f32 v28, v17, v21, 0
	v_add_lshl_u32 v21, v3, v20, 2
	s_delay_alu instid0(VALU_DEP_2) | instskip(NEXT) | instid1(VALU_DEP_1)
	v_fmac_f32_e32 v28, v25, v22
	v_dual_fmac_f32 v28, v26, v23 :: v_dual_mov_b32 v17, 0
	s_delay_alu instid0(VALU_DEP_1)
	v_fmac_f32_e32 v28, v27, v24
	ds_store_b32 v21, v28
	s_waitcnt lgkmcnt(0)
	s_barrier
	buffer_gl0_inv
	s_and_saveexec_b32 s8, s2
	s_cbranch_execz .LBB81_29
; %bb.28:
	v_lshlrev_b32_e32 v17, 2, v20
	ds_load_2addr_b32 v[22:23], v17 offset1:1
	ds_load_2addr_b32 v[24:25], v17 offset0:2 offset1:3
	ds_load_2addr_b32 v[26:27], v17 offset0:4 offset1:5
	;; [unrolled: 1-line block ×3, first 2 shown]
	s_waitcnt lgkmcnt(3)
	v_add_f32_e32 v17, v22, v23
	s_waitcnt lgkmcnt(2)
	s_delay_alu instid0(VALU_DEP_1) | instskip(NEXT) | instid1(VALU_DEP_1)
	v_add_f32_e32 v17, v17, v24
	v_add_f32_e32 v17, v17, v25
	s_waitcnt lgkmcnt(1)
	s_delay_alu instid0(VALU_DEP_1) | instskip(NEXT) | instid1(VALU_DEP_1)
	v_add_f32_e32 v17, v17, v26
	;; [unrolled: 4-line block ×3, first 2 shown]
	v_add_f32_e32 v17, v17, v29
.LBB81_29:
	s_or_b32 exec_lo, exec_lo, s8
	s_lshl_b64 s[8:9], s[24:25], 7
	v_cndmask_b32_e64 v22, 0, 1, s7
	v_add_co_u32 v1, vcc_lo, v1, s8
	v_add_co_ci_u32_e32 v2, vcc_lo, s9, v2, vcc_lo
	s_lshl_b64 s[20:21], s[24:25], 5
	s_delay_alu instid0(VALU_DEP_2) | instskip(NEXT) | instid1(VALU_DEP_2)
	v_add_co_u32 v23, vcc_lo, 0x80, v1
	v_add_co_ci_u32_e32 v24, vcc_lo, 0, v2, vcc_lo
	s_and_not1_b32 vcc_lo, exec_lo, s7
	s_barrier
	buffer_gl0_inv
	s_cbranch_vccnz .LBB81_31
; %bb.30:
	v_mad_u64_u32 v[25:26], null, 0x60, s24, v[1:2]
	s_delay_alu instid0(VALU_DEP_1) | instskip(SKIP_2) | instid1(VALU_DEP_2)
	v_mad_u64_u32 v[27:28], null, 0x60, s25, v[26:27]
	v_add_co_u32 v28, vcc_lo, v1, s20
	v_add_co_ci_u32_e32 v29, vcc_lo, s21, v2, vcc_lo
	v_add_co_u32 v30, vcc_lo, v28, s20
	s_delay_alu instid0(VALU_DEP_2)
	v_add_co_ci_u32_e32 v31, vcc_lo, s21, v29, vcc_lo
	v_mov_b32_e32 v26, v27
	s_clause 0x3
	global_load_b32 v1, v[1:2], off offset:128
	global_load_b32 v2, v[28:29], off offset:128
	;; [unrolled: 1-line block ×4, first 2 shown]
	v_mul_u32_u24_e32 v26, 33, v3
	s_delay_alu instid0(VALU_DEP_1)
	v_add_lshl_u32 v26, v26, v0, 2
	s_waitcnt vmcnt(3)
	ds_store_b32 v26, v1
	s_waitcnt vmcnt(2)
	ds_store_b32 v26, v2 offset:1056
	s_waitcnt vmcnt(1)
	ds_store_b32 v26, v27 offset:2112
	;; [unrolled: 2-line block ×3, first 2 shown]
	s_cbranch_execz .LBB81_32
	s_branch .LBB81_41
.LBB81_31:
.LBB81_32:
	v_dual_mov_b32 v28, 0 :: v_dual_lshlrev_b32 v25, 2, v0
	s_ashr_i32 s13, s12, 31
	v_or_b32_e32 v26, 32, v0
	s_lshl_b64 s[22:23], s[12:13], 2
	s_delay_alu instid0(VALU_DEP_2) | instskip(SKIP_2) | instid1(VALU_DEP_2)
	v_sub_co_u32 v1, vcc_lo, v23, v25
	v_subrev_co_ci_u32_e32 v2, vcc_lo, 0, v24, vcc_lo
	s_sub_i32 s13, s12, 32
	v_add_co_u32 v1, vcc_lo, v1, s22
	s_delay_alu instid0(VALU_DEP_2) | instskip(SKIP_1) | instid1(VALU_DEP_2)
	v_add_co_ci_u32_e32 v2, vcc_lo, s23, v2, vcc_lo
	s_mov_b32 s27, exec_lo
	v_add_co_u32 v1, vcc_lo, 0xffffff7c, v1
	s_delay_alu instid0(VALU_DEP_2) | instskip(SKIP_1) | instid1(VALU_DEP_2)
	v_add_co_ci_u32_e32 v2, vcc_lo, -1, v2, vcc_lo
	v_cmp_gt_i32_e32 vcc_lo, s12, v26
	v_dual_mov_b32 v27, 0 :: v_dual_cndmask_b32 v2, v2, v24
	s_delay_alu instid0(VALU_DEP_4)
	v_cndmask_b32_e32 v1, v1, v23, vcc_lo
	v_cmpx_gt_i32_e64 s13, v3
	s_cbranch_execz .LBB81_34
; %bb.33:
	global_load_b32 v28, v[1:2], off
.LBB81_34:
	s_or_b32 exec_lo, exec_lo, s27
	v_mul_u32_u24_e32 v26, 33, v3
	v_add_nc_u32_e32 v29, 8, v3
	s_mov_b32 s27, exec_lo
	s_delay_alu instid0(VALU_DEP_2)
	v_add_lshl_u32 v26, v26, v0, 2
	s_waitcnt vmcnt(0)
	ds_store_b32 v26, v28
	v_cmpx_gt_i32_e64 s13, v29
	s_cbranch_execz .LBB81_36
; %bb.35:
	v_add_co_u32 v27, s7, v1, s20
	s_delay_alu instid0(VALU_DEP_1)
	v_add_co_ci_u32_e64 v28, s7, s21, v2, s7
	global_load_b32 v27, v[27:28], off
.LBB81_36:
	s_or_b32 exec_lo, exec_lo, s27
	v_dual_mov_b32 v28, 0 :: v_dual_add_nc_u32 v29, 16, v3
	s_waitcnt vmcnt(0)
	ds_store_b32 v26, v27 offset:1056
	v_cmp_gt_i32_e64 s7, s13, v29
	v_mov_b32_e32 v29, 0
	s_delay_alu instid0(VALU_DEP_2)
	s_and_saveexec_b32 s27, s7
	s_cbranch_execz .LBB81_38
; %bb.37:
	s_lshl_b64 s[30:31], s[24:25], 6
	s_delay_alu instid0(SALU_CYCLE_1) | instskip(NEXT) | instid1(VALU_DEP_1)
	v_add_co_u32 v29, s7, v1, s30
	v_add_co_ci_u32_e64 v30, s7, s31, v2, s7
	global_load_b32 v29, v[29:30], off
.LBB81_38:
	s_or_b32 exec_lo, exec_lo, s27
	v_add_nc_u32_e32 v27, 24, v3
	s_waitcnt vmcnt(0)
	ds_store_b32 v26, v29 offset:2112
	v_cmp_gt_i32_e64 s7, s13, v27
	s_delay_alu instid0(VALU_DEP_1)
	s_and_saveexec_b32 s13, s7
	s_cbranch_execz .LBB81_40
; %bb.39:
	v_mad_u64_u32 v[27:28], null, 0x60, s24, v[1:2]
	s_delay_alu instid0(VALU_DEP_1) | instskip(NEXT) | instid1(VALU_DEP_1)
	v_mad_u64_u32 v[29:30], null, 0x60, s25, v[28:29]
	v_mov_b32_e32 v28, v29
	global_load_b32 v28, v[27:28], off
.LBB81_40:
	s_or_b32 exec_lo, exec_lo, s13
	v_add_co_u32 v1, s7, v1, v25
	s_delay_alu instid0(VALU_DEP_1) | instskip(SKIP_3) | instid1(VALU_DEP_1)
	v_add_co_ci_u32_e64 v2, s7, 0, v2, s7
	s_waitcnt vmcnt(0)
	ds_store_b32 v26, v28 offset:3168
	v_sub_co_u32 v1, s7, v1, s22
	v_subrev_co_ci_u32_e64 v2, s7, s23, v2, s7
	s_delay_alu instid0(VALU_DEP_2) | instskip(NEXT) | instid1(VALU_DEP_1)
	v_add_co_u32 v1, s7, 0x84, v1
	v_add_co_ci_u32_e64 v2, s7, 0, v2, s7
	s_delay_alu instid0(VALU_DEP_1)
	v_dual_cndmask_b32 v23, v1, v23 :: v_dual_cndmask_b32 v24, v2, v24
.LBB81_41:
	v_add_nc_u32_e32 v13, 0x11c0, v13
	s_waitcnt lgkmcnt(0)
	s_barrier
	buffer_gl0_inv
	s_and_saveexec_b32 s7, s3
	s_cbranch_execnz .LBB81_50
; %bb.42:
	s_or_b32 exec_lo, exec_lo, s7
	s_and_saveexec_b32 s3, s4
	s_cbranch_execnz .LBB81_51
.LBB81_43:
	s_or_b32 exec_lo, exec_lo, s3
	s_and_saveexec_b32 s3, s5
	s_cbranch_execnz .LBB81_52
.LBB81_44:
	s_or_b32 exec_lo, exec_lo, s3
	s_and_saveexec_b32 s3, s6
	s_cbranch_execz .LBB81_46
.LBB81_45:
	ds_load_b32 v1, v10
	s_waitcnt lgkmcnt(0)
	ds_store_b32 v14, v1 offset:12
.LBB81_46:
	s_or_b32 exec_lo, exec_lo, s3
	s_waitcnt lgkmcnt(0)
	s_barrier
	buffer_gl0_inv
	ds_load_b32 v11, v11
	ds_load_b128 v[25:28], v13 offset:128
	ds_load_2addr_b32 v[1:2], v15 offset1:33
	ds_load_b32 v10, v10
	v_cmp_eq_u32_e64 s3, 1, v3
	s_waitcnt lgkmcnt(0)
	s_barrier
	buffer_gl0_inv
	v_fma_f32 v11, v11, v25, 0
	s_delay_alu instid0(VALU_DEP_1) | instskip(NEXT) | instid1(VALU_DEP_1)
	v_fmac_f32_e32 v11, v1, v26
	v_fmac_f32_e32 v11, v2, v27
	s_delay_alu instid0(VALU_DEP_1)
	v_fmac_f32_e32 v11, v10, v28
	ds_store_b32 v21, v11
	s_waitcnt lgkmcnt(0)
	s_barrier
	buffer_gl0_inv
	s_and_saveexec_b32 s4, s3
	s_cbranch_execz .LBB81_48
; %bb.47:
	v_lshlrev_b32_e32 v15, 2, v20
	ds_load_2addr_b32 v[1:2], v15 offset1:1
	ds_load_2addr_b32 v[10:11], v15 offset0:2 offset1:3
	ds_load_2addr_b32 v[25:26], v15 offset0:4 offset1:5
	;; [unrolled: 1-line block ×3, first 2 shown]
	s_waitcnt lgkmcnt(3)
	v_add_f32_e32 v1, v1, v2
	s_waitcnt lgkmcnt(2)
	s_delay_alu instid0(VALU_DEP_1) | instskip(NEXT) | instid1(VALU_DEP_1)
	v_add_f32_e32 v1, v1, v10
	v_add_f32_e32 v1, v1, v11
	s_waitcnt lgkmcnt(1)
	s_delay_alu instid0(VALU_DEP_1) | instskip(NEXT) | instid1(VALU_DEP_1)
	v_add_f32_e32 v1, v1, v25
	;; [unrolled: 4-line block ×3, first 2 shown]
	v_add_f32_e32 v17, v1, v28
.LBB81_48:
	s_or_b32 exec_lo, exec_lo, s4
	s_lshl_b64 s[4:5], s[20:21], 2
	v_cmp_ne_u32_e32 vcc_lo, 1, v22
	v_sub_co_u32 v10, s4, v23, s4
	s_delay_alu instid0(VALU_DEP_1)
	v_subrev_co_ci_u32_e64 v11, s4, s5, v24, s4
	s_barrier
	buffer_gl0_inv
	s_cbranch_vccnz .LBB81_53
; %bb.49:
	v_mad_u64_u32 v[1:2], null, 0x60, s24, v[10:11]
	v_add_nc_u32_e32 v15, 8, v3
	s_delay_alu instid0(VALU_DEP_2) | instskip(SKIP_2) | instid1(VALU_DEP_2)
	v_mad_u64_u32 v[22:23], null, 0x60, s25, v[2:3]
	v_add_co_u32 v23, vcc_lo, v10, s20
	v_add_co_ci_u32_e32 v24, vcc_lo, s21, v11, vcc_lo
	v_add_co_u32 v25, vcc_lo, v23, s20
	s_delay_alu instid0(VALU_DEP_2)
	v_add_co_ci_u32_e32 v26, vcc_lo, s21, v24, vcc_lo
	v_mov_b32_e32 v2, v22
	s_clause 0x3
	global_load_b32 v27, v[10:11], off
	global_load_b32 v28, v[23:24], off
	;; [unrolled: 1-line block ×4, first 2 shown]
	v_mad_u32_u24 v22, v3, 33, v0
	v_add_nc_u32_e32 v23, 16, v3
	v_add_nc_u32_e32 v24, 24, v3
	s_delay_alu instid0(VALU_DEP_3)
	v_lshlrev_b32_e32 v30, 2, v22
	v_add_nc_u32_e32 v25, 0x108, v22
	v_add_nc_u32_e32 v1, 0x210, v22
	;; [unrolled: 1-line block ×3, first 2 shown]
	s_waitcnt vmcnt(3)
	ds_store_b32 v30, v27
	s_waitcnt vmcnt(2)
	ds_store_b32 v30, v28 offset:1056
	s_waitcnt vmcnt(1)
	ds_store_b32 v30, v26 offset:2112
	;; [unrolled: 2-line block ×3, first 2 shown]
	s_cbranch_execz .LBB81_54
	s_branch .LBB81_63
.LBB81_50:
	ds_load_b32 v1, v11
	s_waitcnt lgkmcnt(0)
	ds_store_b32 v14, v1
	s_or_b32 exec_lo, exec_lo, s7
	s_and_saveexec_b32 s3, s4
	s_cbranch_execz .LBB81_43
.LBB81_51:
	ds_load_b32 v1, v15
	s_waitcnt lgkmcnt(0)
	ds_store_b32 v14, v1 offset:4
	s_or_b32 exec_lo, exec_lo, s3
	s_and_saveexec_b32 s3, s5
	s_cbranch_execz .LBB81_44
.LBB81_52:
	ds_load_b32 v1, v15 offset:132
	s_waitcnt lgkmcnt(0)
	ds_store_b32 v14, v1 offset:8
	s_or_b32 exec_lo, exec_lo, s3
	s_and_saveexec_b32 s3, s6
	s_cbranch_execnz .LBB81_45
	s_branch .LBB81_46
.LBB81_53:
                                        ; implicit-def: $vgpr22
                                        ; implicit-def: $vgpr15
                                        ; implicit-def: $vgpr25
                                        ; implicit-def: $vgpr23
                                        ; implicit-def: $vgpr1
                                        ; implicit-def: $vgpr24
                                        ; implicit-def: $vgpr2
.LBB81_54:
	v_dual_mov_b32 v24, 0 :: v_dual_lshlrev_b32 v25, 2, v0
	s_ashr_i32 s13, s12, 31
	v_or_b32_e32 v15, 32, v0
	s_lshl_b64 s[6:7], s[12:13], 2
	s_delay_alu instid0(VALU_DEP_2) | instskip(SKIP_2) | instid1(VALU_DEP_3)
	v_sub_co_u32 v1, vcc_lo, v10, v25
	v_subrev_co_ci_u32_e32 v2, vcc_lo, 0, v11, vcc_lo
	v_mov_b32_e32 v23, 0
	v_add_co_u32 v1, vcc_lo, v1, s6
	s_delay_alu instid0(VALU_DEP_3) | instskip(SKIP_1) | instid1(VALU_DEP_2)
	v_add_co_ci_u32_e32 v2, vcc_lo, s7, v2, vcc_lo
	s_mov_b32 s5, exec_lo
	v_add_co_u32 v1, vcc_lo, 0xffffff7c, v1
	s_delay_alu instid0(VALU_DEP_2) | instskip(SKIP_1) | instid1(VALU_DEP_2)
	v_add_co_ci_u32_e32 v2, vcc_lo, -1, v2, vcc_lo
	v_cmp_gt_i32_e32 vcc_lo, s12, v15
	v_dual_cndmask_b32 v2, v2, v11 :: v_dual_cndmask_b32 v1, v1, v10
	v_cmpx_gt_i32_e64 s12, v3
	s_cbranch_execz .LBB81_56
; %bb.55:
	global_load_b32 v23, v[1:2], off
.LBB81_56:
	s_or_b32 exec_lo, exec_lo, s5
	v_mad_u32_u24 v22, v3, 33, v0
	v_add_nc_u32_e32 v15, 8, v3
	s_mov_b32 s5, exec_lo
	s_delay_alu instid0(VALU_DEP_2)
	v_lshlrev_b32_e32 v0, 2, v22
	s_waitcnt vmcnt(0)
	ds_store_b32 v0, v23
	v_cmpx_gt_i32_e64 s12, v15
	s_cbranch_execz .LBB81_58
; %bb.57:
	v_add_co_u32 v23, s4, v1, s20
	s_delay_alu instid0(VALU_DEP_1)
	v_add_co_ci_u32_e64 v24, s4, s21, v2, s4
	global_load_b32 v24, v[23:24], off
.LBB81_58:
	s_or_b32 exec_lo, exec_lo, s5
	v_dual_mov_b32 v26, 0 :: v_dual_add_nc_u32 v23, 16, v3
	v_mov_b32_e32 v27, 0
	s_mov_b32 s5, exec_lo
	s_waitcnt vmcnt(0)
	ds_store_b32 v0, v24 offset:1056
	v_cmpx_gt_i32_e64 s12, v23
	s_cbranch_execz .LBB81_60
; %bb.59:
	s_lshl_b64 s[20:21], s[24:25], 6
	s_delay_alu instid0(SALU_CYCLE_1) | instskip(NEXT) | instid1(VALU_DEP_1)
	v_add_co_u32 v27, s4, v1, s20
	v_add_co_ci_u32_e64 v28, s4, s21, v2, s4
	global_load_b32 v27, v[27:28], off
.LBB81_60:
	s_or_b32 exec_lo, exec_lo, s5
	v_add_nc_u32_e32 v24, 24, v3
	s_mov_b32 s5, exec_lo
	s_waitcnt vmcnt(0)
	ds_store_b32 v0, v27 offset:2112
	v_cmpx_gt_i32_e64 s12, v24
	s_cbranch_execz .LBB81_62
; %bb.61:
	v_mad_u64_u32 v[26:27], null, 0x60, s24, v[1:2]
	s_delay_alu instid0(VALU_DEP_1) | instskip(NEXT) | instid1(VALU_DEP_1)
	v_mov_b32_e32 v3, v27
	v_mad_u64_u32 v[27:28], null, 0x60, s25, v[3:4]
	global_load_b32 v26, v[26:27], off
.LBB81_62:
	s_or_b32 exec_lo, exec_lo, s5
	v_add_co_u32 v1, s4, v1, v25
	s_delay_alu instid0(VALU_DEP_1) | instskip(SKIP_1) | instid1(VALU_DEP_3)
	v_add_co_ci_u32_e64 v2, s4, 0, v2, s4
	v_add_nc_u32_e32 v25, 0x108, v22
	v_sub_co_u32 v1, s4, v1, s6
	s_delay_alu instid0(VALU_DEP_1) | instskip(SKIP_3) | instid1(VALU_DEP_1)
	v_subrev_co_ci_u32_e64 v2, s4, s7, v2, s4
	s_waitcnt vmcnt(0)
	ds_store_b32 v0, v26 offset:3168
	v_add_co_u32 v3, s4, 0x84, v1
	v_add_co_ci_u32_e64 v27, s4, 0, v2, s4
	v_add_nc_u32_e32 v1, 0x210, v22
	v_add_nc_u32_e32 v2, 0x318, v22
	s_delay_alu instid0(VALU_DEP_4) | instskip(NEXT) | instid1(VALU_DEP_4)
	v_cndmask_b32_e32 v10, v3, v10, vcc_lo
	v_cndmask_b32_e32 v11, v27, v11, vcc_lo
.LBB81_63:
	v_lshlrev_b32_e32 v0, 2, v22
	v_lshlrev_b32_e32 v3, 2, v25
	s_waitcnt lgkmcnt(0)
	s_barrier
	buffer_gl0_inv
	ds_load_b32 v12, v12 offset:4544
	v_lshlrev_b32_e32 v15, 2, v15
	ds_load_b32 v22, v0
	ds_load_b32 v25, v3
	v_lshlrev_b32_e32 v0, 2, v1
	v_lshlrev_b32_e32 v1, 2, v23
	;; [unrolled: 1-line block ×3, first 2 shown]
	ds_load_b32 v23, v15 offset:4544
	v_lshlrev_b32_e32 v3, 2, v24
	ds_load_b32 v24, v0
	ds_load_b32 v26, v1 offset:4544
	ds_load_b32 v27, v2
	ds_load_b32 v28, v3 offset:4544
	ds_load_b128 v[0:3], v13 offset:128
	s_waitcnt lgkmcnt(7)
	v_fma_f32 v22, v22, v12, 0
	ds_load_2addr_b32 v[12:13], v14 offset0:2 offset1:3
	ds_load_2addr_b32 v[14:15], v14 offset1:1
	s_waitcnt lgkmcnt(0)
	s_barrier
	buffer_gl0_inv
	v_fmac_f32_e32 v22, v25, v23
	s_delay_alu instid0(VALU_DEP_1) | instskip(NEXT) | instid1(VALU_DEP_1)
	v_fmac_f32_e32 v22, v24, v26
	v_fmac_f32_e32 v22, v27, v28
	ds_store_b32 v21, v22
	s_waitcnt lgkmcnt(0)
	s_barrier
	buffer_gl0_inv
	s_and_saveexec_b32 s4, s3
	s_cbranch_execz .LBB81_65
; %bb.64:
	v_lshlrev_b32_e32 v28, 2, v20
	ds_load_2addr_b32 v[22:23], v28 offset1:1
	ds_load_2addr_b32 v[24:25], v28 offset0:2 offset1:3
	ds_load_2addr_b32 v[26:27], v28 offset0:4 offset1:5
	;; [unrolled: 1-line block ×3, first 2 shown]
	s_waitcnt lgkmcnt(3)
	v_add_f32_e32 v17, v17, v22
	s_delay_alu instid0(VALU_DEP_1) | instskip(SKIP_1) | instid1(VALU_DEP_1)
	v_add_f32_e32 v17, v17, v23
	s_waitcnt lgkmcnt(2)
	v_add_f32_e32 v17, v17, v24
	s_delay_alu instid0(VALU_DEP_1) | instskip(SKIP_1) | instid1(VALU_DEP_1)
	v_add_f32_e32 v17, v17, v25
	;; [unrolled: 4-line block ×3, first 2 shown]
	s_waitcnt lgkmcnt(0)
	v_add_f32_e32 v17, v17, v28
	s_delay_alu instid0(VALU_DEP_1)
	v_add_f32_e32 v17, v17, v29
.LBB81_65:
	s_or_b32 exec_lo, exec_lo, s4
	v_fma_f32 v0, v14, v0, 0
	s_barrier
	buffer_gl0_inv
	v_fmac_f32_e32 v0, v15, v1
	s_delay_alu instid0(VALU_DEP_1) | instskip(NEXT) | instid1(VALU_DEP_1)
	v_fmac_f32_e32 v0, v12, v2
	v_fmac_f32_e32 v0, v13, v3
	ds_store_b32 v21, v0
	s_waitcnt lgkmcnt(0)
	s_barrier
	buffer_gl0_inv
	s_and_saveexec_b32 s3, s2
	s_cbranch_execz .LBB81_67
; %bb.66:
	v_lshlrev_b32_e32 v14, 2, v20
	ds_load_2addr_b32 v[0:1], v14 offset1:1
	ds_load_2addr_b32 v[2:3], v14 offset0:2 offset1:3
	ds_load_2addr_b32 v[12:13], v14 offset0:4 offset1:5
	ds_load_2addr_b32 v[14:15], v14 offset0:6 offset1:7
	s_waitcnt lgkmcnt(3)
	v_add_f32_e32 v0, v17, v0
	s_delay_alu instid0(VALU_DEP_1) | instskip(SKIP_1) | instid1(VALU_DEP_1)
	v_add_f32_e32 v0, v0, v1
	s_waitcnt lgkmcnt(2)
	v_add_f32_e32 v0, v0, v2
	s_delay_alu instid0(VALU_DEP_1) | instskip(SKIP_1) | instid1(VALU_DEP_1)
	v_add_f32_e32 v0, v0, v3
	;; [unrolled: 4-line block ×3, first 2 shown]
	s_waitcnt lgkmcnt(0)
	v_add_f32_e32 v0, v0, v14
	s_delay_alu instid0(VALU_DEP_1)
	v_add_f32_e32 v17, v0, v15
.LBB81_67:
	s_or_b32 exec_lo, exec_lo, s3
	s_mul_hi_u32 s2, s33, s15
	s_mul_i32 s29, s29, s15
	s_mul_i32 s3, s33, s15
	s_add_i32 s2, s2, s29
	s_mul_hi_u32 s5, s3, s28
	s_mul_i32 s4, s2, s28
	s_mul_i32 s2, s3, s28
	s_add_i32 s3, s5, s4
	s_mul_i32 s4, s14, s33
	s_lshl_b64 s[2:3], s[2:3], 2
	v_cmp_le_i32_e32 vcc_lo, s12, v18
	s_add_u32 s6, s16, s2
	s_addc_u32 s7, s17, s3
	s_ashr_i32 s5, s4, 31
	v_lshlrev_b32_e32 v12, 2, v18
	s_lshl_b64 s[2:3], s[4:5], 2
	s_delay_alu instid0(SALU_CYCLE_1)
	s_add_u32 s15, s6, s2
	s_addc_u32 s16, s7, s3
	s_and_b32 vcc_lo, s26, vcc_lo
	s_cmp_lt_i32 s14, 1
	s_barrier
	buffer_gl0_inv
	s_cbranch_scc1 .LBB81_74
; %bb.68:
	v_lshlrev_b32_e32 v1, 2, v16
	v_sub_co_u32 v10, s2, v10, s18
	s_delay_alu instid0(VALU_DEP_1) | instskip(NEXT) | instid1(VALU_DEP_3)
	v_subrev_co_ci_u32_e64 v11, s2, s19, v11, s2
	v_mad_u64_u32 v[2:3], null, v1, s24, 0
	s_delay_alu instid0(VALU_DEP_3) | instskip(NEXT) | instid1(VALU_DEP_1)
	v_sub_co_u32 v8, s2, v10, v8
	v_sub_co_ci_u32_e64 v9, s2, v11, v9, s2
	s_mul_i32 s3, s10, s37
	s_mul_hi_u32 s5, s10, s36
	s_delay_alu instid0(VALU_DEP_3)
	v_mov_b32_e32 v0, v3
	s_mul_i32 s11, s11, s36
	s_ashr_i32 s13, s12, 31
	s_add_i32 s3, s5, s3
	s_lshl_b64 s[6:7], s[12:13], 2
	v_mad_u64_u32 v[13:14], null, v1, s25, v[0:1]
	v_and_b32_e32 v0, 15, v18
	s_add_i32 s5, s3, s11
	s_mul_i32 s3, s25, 12
	s_mul_hi_u32 s12, s24, 12
	v_dual_mov_b32 v1, 0 :: v_dual_and_b32 v20, 48, v18
	s_delay_alu instid0(VALU_DEP_3)
	v_mov_b32_e32 v3, v13
	s_add_i32 s17, s12, s3
	s_mul_i32 s3, s25, 0x48
	s_mul_hi_u32 s12, s24, 0x48
	v_lshrrev_b32_e32 v10, 2, v19
	v_lshlrev_b64 v[2:3], 2, v[2:3]
	s_add_i32 s19, s12, s3
	s_mul_i32 s3, s25, 0x4c
	s_mul_hi_u32 s12, s24, 0x4c
	s_mul_i32 s4, s10, s36
	s_add_i32 s21, s12, s3
	v_add_co_u32 v2, s2, v8, v2
	s_delay_alu instid0(VALU_DEP_1) | instskip(SKIP_1) | instid1(VALU_DEP_2)
	v_add_co_ci_u32_e64 v3, s2, v9, v3, s2
	s_mul_i32 s3, s25, 0x88
	v_add_co_u32 v8, s2, v2, s6
	s_delay_alu instid0(VALU_DEP_1)
	v_add_co_ci_u32_e64 v9, s2, s7, v3, s2
	v_add_co_u32 v2, s2, v2, v12
	s_mul_hi_u32 s12, s24, 0x88
	v_add_co_ci_u32_e64 v3, s2, 0, v3, s2
	s_add_i32 s23, s12, s3
	s_mul_i32 s3, s25, 0x8c
	s_mul_hi_u32 s12, s24, 0x8c
	v_add_co_u32 v8, s2, 0xffffff7c, v8
	s_add_i32 s27, s12, s3
	s_mul_i32 s3, s25, 0xc8
	s_mul_hi_u32 s12, s24, 0xc8
	v_add_co_ci_u32_e64 v9, s2, -1, v9, s2
	v_add_co_u32 v2, s2, 0xffffff80, v2
	s_add_i32 s29, s12, s3
	s_mul_i32 s3, s25, 0xcc
	s_mul_hi_u32 s12, s24, 0xcc
	s_lshl_b64 s[4:5], s[4:5], 2
	v_add_co_ci_u32_e64 v3, s2, -1, v3, s2
	v_lshlrev_b32_e32 v11, 2, v20
	v_or_b32_e32 v13, 60, v12
	v_and_b32_e32 v14, 0x1fff0, v19
	v_and_b32_e32 v18, 0x7ffc, v10
	s_add_i32 s31, s12, s3
	s_mul_i32 s3, s25, 0xc4
	s_mul_hi_u32 s12, s24, 0xc4
	v_sub_co_u32 v6, s2, v6, s4
	s_add_i32 s34, s12, s3
	s_mul_i32 s3, s25, 0xc0
	s_mul_hi_u32 s12, s24, 0xc0
	v_subrev_co_ci_u32_e64 v7, s2, s5, v7, s2
	s_add_i32 s38, s12, s3
	s_mul_i32 s3, s25, 0x84
	s_mul_hi_u32 s12, s24, 0x84
	v_dual_cndmask_b32 v3, v3, v9 :: v_dual_cndmask_b32 v2, v2, v8
	v_add_nc_u32_e32 v8, 0x10c0, v12
	v_add_nc_u32_e32 v9, 0x11c0, v12
	v_cmp_gt_u32_e64 s2, 64, v19
	v_mad_u32_u24 v10, 0x10c, v0, v11
	v_mad_u32_u24 v11, 0x10c, v0, v13
	v_mad_u32_u24 v13, 0x10c, v0, v14
	v_lshl_add_u32 v14, v16, 4, 0x10c0
	v_mad_u32_u24 v15, 0x430, v16, v12
	v_mad_u32_u24 v18, 0x10c, v0, v18
	v_or_b32_e32 v19, v20, v0
	s_add_i32 s40, s12, s3
	s_mul_i32 s3, s25, 0x44
	s_mul_hi_u32 s12, s24, 0x44
	s_lshl_b64 s[4:5], s[24:25], 2
	s_lshl_b64 s[6:7], s[24:25], 8
	;; [unrolled: 1-line block ×3, first 2 shown]
	s_mul_i32 s18, s24, 12
	s_mul_i32 s20, s24, 0x48
	;; [unrolled: 1-line block ×10, first 2 shown]
	s_add_i32 s42, s12, s3
	s_mul_i32 s43, s24, 0x44
	s_lshl_b64 s[12:13], s[24:25], 6
	s_mov_b32 s24, 0
	s_branch .LBB81_70
.LBB81_69:                              ;   in Loop: Header=BB81_70 Depth=1
	s_or_b32 exec_lo, exec_lo, s25
	v_fmac_f32_e32 v17, v20, v24
	v_add_co_u32 v2, s3, v2, s6
	s_delay_alu instid0(VALU_DEP_1) | instskip(NEXT) | instid1(VALU_DEP_3)
	v_add_co_ci_u32_e64 v3, s3, s7, v3, s3
	v_fmac_f32_e32 v17, v22, v25
	s_add_i32 s14, s14, -1
	s_add_i32 s24, s24, 64
	s_cmp_eq_u32 s14, 0
	s_waitcnt_vscnt null, 0x0
	v_fmac_f32_e32 v17, v21, v26
	s_barrier
	buffer_gl0_inv
	v_fmac_f32_e32 v17, v23, v27
	s_delay_alu instid0(VALU_DEP_1) | instskip(NEXT) | instid1(VALU_DEP_1)
	v_fmac_f32_e32 v17, v28, v32
	v_fmac_f32_e32 v17, v30, v33
	s_delay_alu instid0(VALU_DEP_1) | instskip(NEXT) | instid1(VALU_DEP_1)
	v_fmac_f32_e32 v17, v29, v34
	;; [unrolled: 3-line block ×6, first 2 shown]
	v_fmac_f32_e32 v17, v44, v49
	s_cbranch_scc1 .LBB81_74
.LBB81_70:                              ; =>This Inner Loop Header: Depth=1
	s_and_saveexec_b32 s25, s1
	s_cbranch_execz .LBB81_72
; %bb.71:                               ;   in Loop: Header=BB81_70 Depth=1
	s_mul_i32 s3, s24, s37
	s_mul_hi_u32 s45, s24, s36
	s_mul_i32 s44, s24, s36
	s_add_i32 s45, s45, s3
	s_delay_alu instid0(SALU_CYCLE_1) | instskip(NEXT) | instid1(SALU_CYCLE_1)
	s_lshl_b64 s[44:45], s[44:45], 2
	v_add_co_u32 v20, s3, v6, s44
	s_delay_alu instid0(VALU_DEP_1)
	v_add_co_ci_u32_e64 v21, s3, s45, v7, s3
	global_load_b32 v0, v[20:21], off
	s_waitcnt vmcnt(0)
	ds_store_b32 v8, v0
.LBB81_72:                              ;   in Loop: Header=BB81_70 Depth=1
	s_or_b32 exec_lo, exec_lo, s25
	v_add_co_u32 v21, s3, v2, s4
	s_delay_alu instid0(VALU_DEP_1) | instskip(SKIP_1) | instid1(VALU_DEP_1)
	v_add_co_ci_u32_e64 v22, s3, s5, v3, s3
	v_add_co_u32 v23, s3, v2, s10
	v_add_co_ci_u32_e64 v24, s3, s11, v3, s3
	v_add_co_u32 v25, s3, v2, s18
	s_waitcnt lgkmcnt(0)
	s_barrier
	buffer_gl0_inv
	global_load_b32 v20, v[2:3], off
	v_add_co_ci_u32_e64 v26, s3, s17, v3, s3
	s_clause 0x2
	global_load_b32 v22, v[21:22], off
	global_load_b32 v21, v[23:24], off
	;; [unrolled: 1-line block ×3, first 2 shown]
	ds_load_b32 v0, v9
	ds_load_b32 v24, v14
	v_add_co_u32 v28, s3, v2, s12
	s_delay_alu instid0(VALU_DEP_1) | instskip(SKIP_1) | instid1(VALU_DEP_1)
	v_add_co_ci_u32_e64 v29, s3, s13, v3, s3
	v_add_co_u32 v30, s3, v2, s43
	v_add_co_ci_u32_e64 v31, s3, s42, v3, s3
	v_add_co_u32 v32, s3, v2, s20
	s_delay_alu instid0(VALU_DEP_1) | instskip(SKIP_1) | instid1(VALU_DEP_1)
	v_add_co_ci_u32_e64 v33, s3, s19, v3, s3
	v_add_co_u32 v34, s3, v2, s22
	v_add_co_ci_u32_e64 v35, s3, s21, v3, s3
	;; [unrolled: 5-line block ×6, first 2 shown]
	s_waitcnt vmcnt(3) lgkmcnt(1)
	v_mul_f32_e32 v25, v20, v0
	s_waitcnt vmcnt(2)
	v_mul_f32_e32 v26, v22, v0
	s_waitcnt vmcnt(1)
	;; [unrolled: 2-line block ×3, first 2 shown]
	v_mul_f32_e32 v0, v23, v0
	ds_store_b32 v15, v25
	ds_load_b32 v25, v14 offset:4
	ds_store_b32 v15, v26 offset:268
	ds_load_b32 v26, v14 offset:8
	ds_store_b32 v15, v27 offset:536
	;; [unrolled: 2-line block ×3, first 2 shown]
	s_waitcnt lgkmcnt(0)
	s_barrier
	buffer_gl0_inv
	ds_load_2addr_b32 v[52:53], v13 offset1:1
	ds_load_2addr_b32 v[54:55], v13 offset0:2 offset1:3
	s_waitcnt lgkmcnt(0)
	s_barrier
	buffer_gl0_inv
	s_clause 0x3
	global_load_b32 v28, v[28:29], off
	global_load_b32 v30, v[30:31], off
	;; [unrolled: 1-line block ×4, first 2 shown]
	ds_load_b32 v0, v9
	ds_load_b32 v32, v14 offset:64
	s_waitcnt vmcnt(2) lgkmcnt(1)
	v_mul_f32_e32 v34, v30, v0
	v_mul_f32_e32 v33, v28, v0
	s_waitcnt vmcnt(1)
	v_mul_f32_e32 v35, v29, v0
	s_waitcnt vmcnt(0)
	v_mul_f32_e32 v0, v31, v0
	ds_store_b32 v15, v33
	ds_load_b32 v33, v14 offset:68
	ds_store_b32 v15, v34 offset:268
	ds_load_b32 v34, v14 offset:72
	ds_store_b32 v15, v35 offset:536
	;; [unrolled: 2-line block ×3, first 2 shown]
	s_waitcnt lgkmcnt(0)
	s_barrier
	buffer_gl0_inv
	ds_load_2addr_b32 v[56:57], v13 offset1:1
	ds_load_2addr_b32 v[58:59], v13 offset0:2 offset1:3
	s_waitcnt lgkmcnt(0)
	s_barrier
	buffer_gl0_inv
	s_clause 0x3
	global_load_b32 v36, v[36:37], off
	global_load_b32 v38, v[38:39], off
	global_load_b32 v37, v[40:41], off
	global_load_b32 v39, v[42:43], off
	ds_load_b32 v0, v9
	ds_load_b32 v40, v14 offset:128
	s_waitcnt vmcnt(2) lgkmcnt(1)
	v_mul_f32_e32 v42, v38, v0
	v_mul_f32_e32 v41, v36, v0
	s_waitcnt vmcnt(1)
	v_mul_f32_e32 v43, v37, v0
	s_waitcnt vmcnt(0)
	v_mul_f32_e32 v0, v39, v0
	ds_store_b32 v15, v41
	ds_load_b32 v41, v14 offset:132
	ds_store_b32 v15, v42 offset:268
	ds_load_b32 v42, v14 offset:136
	ds_store_b32 v15, v43 offset:536
	;; [unrolled: 2-line block ×3, first 2 shown]
	s_waitcnt lgkmcnt(0)
	s_barrier
	buffer_gl0_inv
	ds_load_2addr_b32 v[62:63], v13 offset1:1
	ds_load_2addr_b32 v[64:65], v13 offset0:2 offset1:3
	s_waitcnt lgkmcnt(0)
	s_barrier
	buffer_gl0_inv
	s_clause 0x3
	global_load_b32 v47, v[44:45], off
	global_load_b32 v46, v[48:49], off
	;; [unrolled: 1-line block ×4, first 2 shown]
	ds_load_b32 v0, v9
	ds_load_b32 v48, v14 offset:192
	s_waitcnt vmcnt(3) lgkmcnt(1)
	v_mul_f32_e32 v49, v47, v0
	s_waitcnt vmcnt(2)
	v_mul_f32_e32 v50, v46, v0
	s_waitcnt vmcnt(1)
	;; [unrolled: 2-line block ×3, first 2 shown]
	v_mul_f32_e32 v0, v44, v0
	ds_store_b32 v15, v49
	ds_load_b32 v51, v14 offset:196
	ds_store_b32 v15, v50 offset:268
	ds_load_b32 v50, v14 offset:200
	ds_store_b32 v15, v60 offset:536
	;; [unrolled: 2-line block ×3, first 2 shown]
	s_waitcnt lgkmcnt(0)
	s_barrier
	buffer_gl0_inv
	ds_load_2addr_b32 v[60:61], v13 offset1:1
	ds_load_2addr_b32 v[66:67], v13 offset0:2 offset1:3
	v_add_f32_e32 v0, 0, v52
	v_add_f32_e32 v52, 0, v56
	;; [unrolled: 1-line block ×3, first 2 shown]
	s_waitcnt lgkmcnt(0)
	s_barrier
	v_add_f32_e32 v0, v0, v53
	v_add_f32_e32 v52, v52, v57
	;; [unrolled: 1-line block ×3, first 2 shown]
	buffer_gl0_inv
	v_add_f32_e32 v0, v0, v54
	v_dual_add_f32 v52, v52, v58 :: v_dual_add_f32 v53, v53, v64
	s_delay_alu instid0(VALU_DEP_2) | instskip(NEXT) | instid1(VALU_DEP_2)
	v_add_f32_e32 v0, v0, v55
	v_dual_add_f32 v52, v52, v59 :: v_dual_add_f32 v53, v53, v65
	v_add_f32_e32 v60, 0, v60
	s_delay_alu instid0(VALU_DEP_1) | instskip(NEXT) | instid1(VALU_DEP_1)
	v_add_f32_e32 v56, v60, v61
	v_add_f32_e32 v54, v56, v66
	s_delay_alu instid0(VALU_DEP_1)
	v_add_f32_e32 v54, v54, v67
	ds_store_2addr_b32 v18, v0, v52 offset1:16
	ds_store_2addr_b32 v18, v53, v54 offset0:32 offset1:48
	s_waitcnt lgkmcnt(0)
	s_barrier
	buffer_gl0_inv
	s_and_saveexec_b32 s25, s2
	s_cbranch_execz .LBB81_69
; %bb.73:                               ;   in Loop: Header=BB81_70 Depth=1
	ds_load_2addr_b32 v[52:53], v10 offset1:1
	ds_load_2addr_b32 v[54:55], v10 offset0:2 offset1:3
	ds_load_2addr_b32 v[56:57], v10 offset0:4 offset1:5
	ds_load_2addr_b32 v[58:59], v10 offset0:6 offset1:7
	s_waitcnt lgkmcnt(3)
	v_add_f32_e32 v0, v52, v53
	ds_load_2addr_b32 v[52:53], v10 offset0:8 offset1:9
	s_waitcnt lgkmcnt(3)
	v_add_f32_e32 v0, v0, v54
	s_delay_alu instid0(VALU_DEP_1) | instskip(SKIP_3) | instid1(VALU_DEP_1)
	v_add_f32_e32 v0, v0, v55
	ds_load_2addr_b32 v[54:55], v10 offset0:10 offset1:11
	s_waitcnt lgkmcnt(3)
	v_add_f32_e32 v0, v0, v56
	v_add_f32_e32 v0, v0, v57
	s_waitcnt lgkmcnt(2)
	s_delay_alu instid0(VALU_DEP_1) | instskip(SKIP_4) | instid1(VALU_DEP_1)
	v_add_f32_e32 v0, v0, v58
	ds_load_2addr_b32 v[56:57], v10 offset0:12 offset1:13
	ds_load_b32 v58, v10 offset:56
	v_add_f32_e32 v0, v0, v59
	s_waitcnt lgkmcnt(3)
	v_add_f32_e32 v0, v0, v52
	s_delay_alu instid0(VALU_DEP_1) | instskip(SKIP_1) | instid1(VALU_DEP_1)
	v_add_f32_e32 v0, v0, v53
	s_waitcnt lgkmcnt(2)
	v_add_f32_e32 v0, v0, v54
	ds_load_b32 v54, v11
	v_add_f32_e32 v0, v0, v55
	s_waitcnt lgkmcnt(2)
	s_delay_alu instid0(VALU_DEP_1) | instskip(NEXT) | instid1(VALU_DEP_1)
	v_add_f32_e32 v0, v0, v56
	v_add_f32_e32 v52, v0, v57
	s_waitcnt lgkmcnt(1)
	s_delay_alu instid0(VALU_DEP_1) | instskip(NEXT) | instid1(VALU_DEP_1)
	v_dual_add_f32 v55, v52, v58 :: v_dual_add_nc_u32 v0, s24, v19
	v_lshlrev_b64 v[52:53], 2, v[0:1]
	s_waitcnt lgkmcnt(0)
	s_delay_alu instid0(VALU_DEP_2) | instskip(NEXT) | instid1(VALU_DEP_2)
	v_add_f32_e32 v0, v55, v54
	v_add_co_u32 v52, s3, s15, v52
	s_delay_alu instid0(VALU_DEP_1)
	v_add_co_ci_u32_e64 v53, s3, s16, v53, s3
	global_store_b32 v[52:53], v0, off
	s_branch .LBB81_69
.LBB81_74:
	v_mad_u32_u24 v0, 0x10c, v16, v12
	s_or_b32 s0, s0, vcc_lo
	s_delay_alu instid0(SALU_CYCLE_1)
	s_xor_b32 s0, s0, -1
	ds_store_b32 v0, v17
	s_waitcnt lgkmcnt(0)
	s_barrier
	buffer_gl0_inv
	s_and_saveexec_b32 s1, s0
	s_cbranch_execz .LBB81_76
; %bb.75:
	ds_load_2addr_b32 v[0:1], v12 offset1:67
	ds_load_2addr_b32 v[2:3], v12 offset0:134 offset1:201
	s_waitcnt lgkmcnt(1)
	v_add_f32_e32 v0, v0, v1
	s_waitcnt lgkmcnt(0)
	s_delay_alu instid0(VALU_DEP_1) | instskip(SKIP_1) | instid1(VALU_DEP_2)
	v_add_f32_e32 v2, v0, v2
	v_lshlrev_b64 v[0:1], 2, v[4:5]
	v_add_f32_e32 v2, v2, v3
	s_delay_alu instid0(VALU_DEP_2) | instskip(NEXT) | instid1(VALU_DEP_3)
	v_add_co_u32 v0, vcc_lo, s15, v0
	v_add_co_ci_u32_e32 v1, vcc_lo, s16, v1, vcc_lo
	global_store_b32 v[0:1], v2, off
.LBB81_76:
	s_nop 0
	s_sendmsg sendmsg(MSG_DEALLOC_VGPRS)
	s_endpgm
	.section	.rodata,"a",@progbits
	.p2align	6, 0x0
	.amdhsa_kernel _ZL26rocblas_hemvn_kernel_lowerILb0ELi64ELi4ELi33ELi32ELi16ElPKfS1_PfEviT6_lT7_lT5_lS4_lS5_lS3_lT8_i
		.amdhsa_group_segment_fixed_size 4800
		.amdhsa_private_segment_fixed_size 0
		.amdhsa_kernarg_size 376
		.amdhsa_user_sgpr_count 14
		.amdhsa_user_sgpr_dispatch_ptr 0
		.amdhsa_user_sgpr_queue_ptr 0
		.amdhsa_user_sgpr_kernarg_segment_ptr 1
		.amdhsa_user_sgpr_dispatch_id 0
		.amdhsa_user_sgpr_private_segment_size 0
		.amdhsa_wavefront_size32 1
		.amdhsa_uses_dynamic_stack 0
		.amdhsa_enable_private_segment 0
		.amdhsa_system_sgpr_workgroup_id_x 1
		.amdhsa_system_sgpr_workgroup_id_y 0
		.amdhsa_system_sgpr_workgroup_id_z 1
		.amdhsa_system_sgpr_workgroup_info 0
		.amdhsa_system_vgpr_workitem_id 1
		.amdhsa_next_free_vgpr 68
		.amdhsa_next_free_sgpr 46
		.amdhsa_reserve_vcc 1
		.amdhsa_float_round_mode_32 0
		.amdhsa_float_round_mode_16_64 0
		.amdhsa_float_denorm_mode_32 3
		.amdhsa_float_denorm_mode_16_64 3
		.amdhsa_dx10_clamp 1
		.amdhsa_ieee_mode 1
		.amdhsa_fp16_overflow 0
		.amdhsa_workgroup_processor_mode 1
		.amdhsa_memory_ordered 1
		.amdhsa_forward_progress 0
		.amdhsa_shared_vgpr_count 0
		.amdhsa_exception_fp_ieee_invalid_op 0
		.amdhsa_exception_fp_denorm_src 0
		.amdhsa_exception_fp_ieee_div_zero 0
		.amdhsa_exception_fp_ieee_overflow 0
		.amdhsa_exception_fp_ieee_underflow 0
		.amdhsa_exception_fp_ieee_inexact 0
		.amdhsa_exception_int_div_zero 0
	.end_amdhsa_kernel
	.section	.text._ZL26rocblas_hemvn_kernel_lowerILb0ELi64ELi4ELi33ELi32ELi16ElPKfS1_PfEviT6_lT7_lT5_lS4_lS5_lS3_lT8_i,"axG",@progbits,_ZL26rocblas_hemvn_kernel_lowerILb0ELi64ELi4ELi33ELi32ELi16ElPKfS1_PfEviT6_lT7_lT5_lS4_lS5_lS3_lT8_i,comdat
.Lfunc_end81:
	.size	_ZL26rocblas_hemvn_kernel_lowerILb0ELi64ELi4ELi33ELi32ELi16ElPKfS1_PfEviT6_lT7_lT5_lS4_lS5_lS3_lT8_i, .Lfunc_end81-_ZL26rocblas_hemvn_kernel_lowerILb0ELi64ELi4ELi33ELi32ELi16ElPKfS1_PfEviT6_lT7_lT5_lS4_lS5_lS3_lT8_i
                                        ; -- End function
	.section	.AMDGPU.csdata,"",@progbits
; Kernel info:
; codeLenInByte = 6672
; NumSgprs: 48
; NumVgprs: 68
; ScratchSize: 0
; MemoryBound: 0
; FloatMode: 240
; IeeeMode: 1
; LDSByteSize: 4800 bytes/workgroup (compile time only)
; SGPRBlocks: 5
; VGPRBlocks: 8
; NumSGPRsForWavesPerEU: 48
; NumVGPRsForWavesPerEU: 68
; Occupancy: 16
; WaveLimiterHint : 0
; COMPUTE_PGM_RSRC2:SCRATCH_EN: 0
; COMPUTE_PGM_RSRC2:USER_SGPR: 14
; COMPUTE_PGM_RSRC2:TRAP_HANDLER: 0
; COMPUTE_PGM_RSRC2:TGID_X_EN: 1
; COMPUTE_PGM_RSRC2:TGID_Y_EN: 0
; COMPUTE_PGM_RSRC2:TGID_Z_EN: 1
; COMPUTE_PGM_RSRC2:TIDIG_COMP_CNT: 1
	.section	.text._ZL36rocblas_hemvn_kernel_lower_block_sumILi64ElPKfPffEviT1_lS3_lT2_lT0_lPT3_i,"axG",@progbits,_ZL36rocblas_hemvn_kernel_lower_block_sumILi64ElPKfPffEviT1_lS3_lT2_lT0_lPT3_i,comdat
	.globl	_ZL36rocblas_hemvn_kernel_lower_block_sumILi64ElPKfPffEviT1_lS3_lT2_lT0_lPT3_i ; -- Begin function _ZL36rocblas_hemvn_kernel_lower_block_sumILi64ElPKfPffEviT1_lS3_lT2_lT0_lPT3_i
	.p2align	8
	.type	_ZL36rocblas_hemvn_kernel_lower_block_sumILi64ElPKfPffEviT1_lS3_lT2_lT0_lPT3_i,@function
_ZL36rocblas_hemvn_kernel_lower_block_sumILi64ElPKfPffEviT1_lS3_lT2_lT0_lPT3_i: ; @_ZL36rocblas_hemvn_kernel_lower_block_sumILi64ElPKfPffEviT1_lS3_lT2_lT0_lPT3_i
; %bb.0:
	s_load_b256 s[4:11], s[0:1], 0x8
	s_waitcnt lgkmcnt(0)
	s_mul_i32 s3, s15, s7
	s_mul_hi_u32 s7, s15, s6
	s_mul_i32 s2, s15, s6
	s_add_i32 s3, s7, s3
	s_mul_i32 s6, s15, s11
	s_lshl_b64 s[2:3], s[2:3], 2
	s_mul_hi_u32 s7, s15, s10
	s_add_u32 s2, s4, s2
	s_addc_u32 s3, s5, s3
	s_add_i32 s5, s7, s6
	s_mul_i32 s4, s15, s10
	s_mov_b32 s11, 0
	s_lshl_b64 s[4:5], s[4:5], 2
	s_delay_alu instid0(SALU_CYCLE_1)
	s_add_u32 s4, s8, s4
	s_addc_u32 s5, s9, s5
	s_load_b32 s3, s[2:3], 0x0
	s_load_b32 s10, s[4:5], 0x0
	s_waitcnt lgkmcnt(0)
	v_cmp_eq_f32_e64 s2, s3, 0
	v_cmp_eq_f32_e64 s4, s10, 1.0
	s_delay_alu instid0(VALU_DEP_1) | instskip(NEXT) | instid1(SALU_CYCLE_1)
	s_and_b32 s2, s2, s4
	s_and_b32 vcc_lo, exec_lo, s2
	s_cbranch_vccnz .LBB82_19
; %bb.1:
	s_clause 0x3
	s_load_b64 s[12:13], s[0:1], 0x40
	s_load_b64 s[16:17], s[0:1], 0x28
	s_load_b128 s[4:7], s[0:1], 0x30
	s_load_b32 s8, s[0:1], 0x0
	v_lshl_or_b32 v0, s14, 6, v0
	s_waitcnt lgkmcnt(0)
	s_mul_i32 s2, s15, s13
	s_mul_hi_u32 s9, s15, s12
	s_mul_i32 s12, s15, s12
	s_add_i32 s13, s9, s2
	v_cmp_neq_f32_e64 s2, s3, 0
	s_lshl_b64 s[12:13], s[12:13], 2
	s_delay_alu instid0(SALU_CYCLE_1) | instskip(SKIP_2) | instid1(SALU_CYCLE_1)
	s_add_u32 s9, s16, s12
	s_addc_u32 s12, s17, s13
	s_lshl_b64 s[4:5], s[4:5], 2
	s_add_u32 s4, s9, s4
	s_addc_u32 s5, s12, s5
	s_and_b32 vcc_lo, exec_lo, s2
	v_cmp_gt_i32_e64 s2, s8, v0
	s_cbranch_vccnz .LBB82_6
; %bb.2:
	s_mov_b32 s9, 0
                                        ; implicit-def: $vgpr3
                                        ; implicit-def: $vgpr1_vgpr2
	s_delay_alu instid0(VALU_DEP_1)
	s_and_saveexec_b32 s12, s2
	s_cbranch_execz .LBB82_7
; %bb.3:
	v_ashrrev_i32_e32 v3, 31, v0
	v_mul_lo_u32 v4, v0, s7
	v_mad_u64_u32 v[1:2], null, v0, s6, 0
	v_cmp_eq_f32_e64 s2, s10, 0
	s_delay_alu instid0(VALU_DEP_4) | instskip(NEXT) | instid1(VALU_DEP_2)
	v_mul_lo_u32 v3, v3, s6
	s_and_b32 vcc_lo, exec_lo, s2
	s_delay_alu instid0(VALU_DEP_1)
	v_add3_u32 v2, v2, v4, v3
	v_mov_b32_e32 v3, 0
	s_cbranch_vccnz .LBB82_5
; %bb.4:
	s_delay_alu instid0(VALU_DEP_2) | instskip(NEXT) | instid1(VALU_DEP_1)
	v_lshlrev_b64 v[3:4], 2, v[1:2]
	v_add_co_u32 v3, vcc_lo, s4, v3
	s_delay_alu instid0(VALU_DEP_2)
	v_add_co_ci_u32_e32 v4, vcc_lo, s5, v4, vcc_lo
	global_load_b32 v3, v[3:4], off
	s_waitcnt vmcnt(0)
	v_mul_f32_e32 v3, s10, v3
.LBB82_5:
	s_mov_b32 s11, exec_lo
	s_or_b32 exec_lo, exec_lo, s12
	s_delay_alu instid0(SALU_CYCLE_1)
	s_and_b32 vcc_lo, exec_lo, s9
	s_cbranch_vccnz .LBB82_8
	s_branch .LBB82_17
.LBB82_6:
                                        ; implicit-def: $vgpr3
                                        ; implicit-def: $vgpr1_vgpr2
	s_cbranch_execnz .LBB82_8
	s_branch .LBB82_17
.LBB82_7:
	s_or_b32 exec_lo, exec_lo, s12
	s_delay_alu instid0(SALU_CYCLE_1)
	s_and_b32 vcc_lo, exec_lo, s9
	s_cbranch_vccz .LBB82_17
.LBB82_8:
	s_mov_b32 s2, exec_lo
                                        ; implicit-def: $vgpr3
                                        ; implicit-def: $vgpr1_vgpr2
	v_cmpx_gt_i32_e64 s8, v0
	s_cbranch_execz .LBB82_16
; %bb.9:
	s_load_b32 s12, s[0:1], 0x58
	v_mov_b32_e32 v4, 0
	s_waitcnt lgkmcnt(0)
	s_cmp_ge_i32 s14, s12
	s_cbranch_scc1 .LBB82_12
; %bb.10:
	s_load_b64 s[0:1], s[0:1], 0x48
	v_mad_u64_u32 v[1:2], null, s14, s8, v[0:1]
	s_ashr_i32 s9, s8, 31
	s_mul_hi_u32 s13, s8, s15
	s_mul_i32 s16, s9, s15
	s_mul_i32 s15, s8, s15
	s_add_i32 s13, s13, s16
	s_mul_hi_u32 s17, s15, s12
	s_delay_alu instid0(VALU_DEP_1)
	v_ashrrev_i32_e32 v2, 31, v1
	s_mul_i32 s13, s13, s12
	s_mul_i32 s16, s15, s12
	s_add_i32 s17, s17, s13
	v_mov_b32_e32 v4, 0
	v_lshlrev_b64 v[1:2], 2, v[1:2]
	s_lshl_b64 s[16:17], s[16:17], 2
	s_waitcnt lgkmcnt(0)
	s_add_u32 s0, s0, s16
	s_addc_u32 s1, s1, s17
	s_delay_alu instid0(VALU_DEP_1)
	v_add_co_u32 v1, vcc_lo, s0, v1
	v_add_co_ci_u32_e32 v2, vcc_lo, s1, v2, vcc_lo
	s_lshl_b64 s[0:1], s[8:9], 2
.LBB82_11:                              ; =>This Inner Loop Header: Depth=1
	global_load_b32 v3, v[1:2], off
	v_add_co_u32 v1, vcc_lo, v1, s0
	v_add_co_ci_u32_e32 v2, vcc_lo, s1, v2, vcc_lo
	s_add_i32 s14, s14, 1
	s_delay_alu instid0(SALU_CYCLE_1)
	s_cmp_ge_i32 s14, s12
	s_waitcnt vmcnt(0)
	v_add_f32_e32 v4, v4, v3
	s_cbranch_scc0 .LBB82_11
.LBB82_12:
	v_ashrrev_i32_e32 v1, 31, v0
	v_mul_lo_u32 v5, v0, s7
	v_cmp_eq_f32_e64 s0, s10, 0
	s_delay_alu instid0(VALU_DEP_3) | instskip(NEXT) | instid1(VALU_DEP_2)
	v_mul_lo_u32 v6, v1, s6
	s_and_b32 vcc_lo, exec_lo, s0
	s_mov_b32 s0, 0
	s_cbranch_vccz .LBB82_20
; %bb.13:
	v_mad_u64_u32 v[1:2], null, v0, s6, 0
	v_mul_f32_e32 v3, s3, v4
	s_delay_alu instid0(VALU_DEP_2)
	v_add3_u32 v2, v2, v5, v6
	s_and_not1_b32 vcc_lo, exec_lo, s0
	s_cbranch_vccnz .LBB82_15
.LBB82_14:
	v_mad_u64_u32 v[1:2], null, v0, s6, 0
	s_delay_alu instid0(VALU_DEP_1) | instskip(NEXT) | instid1(VALU_DEP_1)
	v_add3_u32 v2, v2, v5, v6
	v_lshlrev_b64 v[5:6], 2, v[1:2]
	s_delay_alu instid0(VALU_DEP_1) | instskip(NEXT) | instid1(VALU_DEP_2)
	v_add_co_u32 v5, vcc_lo, s4, v5
	v_add_co_ci_u32_e32 v6, vcc_lo, s5, v6, vcc_lo
	global_load_b32 v0, v[5:6], off
	s_waitcnt vmcnt(0)
	v_mul_f32_e32 v3, s10, v0
	s_delay_alu instid0(VALU_DEP_1)
	v_fmac_f32_e32 v3, s3, v4
.LBB82_15:
	s_or_b32 s11, s11, exec_lo
.LBB82_16:
	s_or_b32 exec_lo, exec_lo, s2
.LBB82_17:
	s_and_saveexec_b32 s0, s11
	s_cbranch_execz .LBB82_19
; %bb.18:
	v_lshlrev_b64 v[0:1], 2, v[1:2]
	s_delay_alu instid0(VALU_DEP_1) | instskip(NEXT) | instid1(VALU_DEP_2)
	v_add_co_u32 v0, vcc_lo, s4, v0
	v_add_co_ci_u32_e32 v1, vcc_lo, s5, v1, vcc_lo
	global_store_b32 v[0:1], v3, off
.LBB82_19:
	s_nop 0
	s_sendmsg sendmsg(MSG_DEALLOC_VGPRS)
	s_endpgm
.LBB82_20:
                                        ; implicit-def: $vgpr3
                                        ; implicit-def: $vgpr1_vgpr2
	s_branch .LBB82_14
	.section	.rodata,"a",@progbits
	.p2align	6, 0x0
	.amdhsa_kernel _ZL36rocblas_hemvn_kernel_lower_block_sumILi64ElPKfPffEviT1_lS3_lT2_lT0_lPT3_i
		.amdhsa_group_segment_fixed_size 0
		.amdhsa_private_segment_fixed_size 0
		.amdhsa_kernarg_size 344
		.amdhsa_user_sgpr_count 14
		.amdhsa_user_sgpr_dispatch_ptr 0
		.amdhsa_user_sgpr_queue_ptr 0
		.amdhsa_user_sgpr_kernarg_segment_ptr 1
		.amdhsa_user_sgpr_dispatch_id 0
		.amdhsa_user_sgpr_private_segment_size 0
		.amdhsa_wavefront_size32 1
		.amdhsa_uses_dynamic_stack 0
		.amdhsa_enable_private_segment 0
		.amdhsa_system_sgpr_workgroup_id_x 1
		.amdhsa_system_sgpr_workgroup_id_y 0
		.amdhsa_system_sgpr_workgroup_id_z 1
		.amdhsa_system_sgpr_workgroup_info 0
		.amdhsa_system_vgpr_workitem_id 0
		.amdhsa_next_free_vgpr 7
		.amdhsa_next_free_sgpr 18
		.amdhsa_reserve_vcc 1
		.amdhsa_float_round_mode_32 0
		.amdhsa_float_round_mode_16_64 0
		.amdhsa_float_denorm_mode_32 3
		.amdhsa_float_denorm_mode_16_64 3
		.amdhsa_dx10_clamp 1
		.amdhsa_ieee_mode 1
		.amdhsa_fp16_overflow 0
		.amdhsa_workgroup_processor_mode 1
		.amdhsa_memory_ordered 1
		.amdhsa_forward_progress 0
		.amdhsa_shared_vgpr_count 0
		.amdhsa_exception_fp_ieee_invalid_op 0
		.amdhsa_exception_fp_denorm_src 0
		.amdhsa_exception_fp_ieee_div_zero 0
		.amdhsa_exception_fp_ieee_overflow 0
		.amdhsa_exception_fp_ieee_underflow 0
		.amdhsa_exception_fp_ieee_inexact 0
		.amdhsa_exception_int_div_zero 0
	.end_amdhsa_kernel
	.section	.text._ZL36rocblas_hemvn_kernel_lower_block_sumILi64ElPKfPffEviT1_lS3_lT2_lT0_lPT3_i,"axG",@progbits,_ZL36rocblas_hemvn_kernel_lower_block_sumILi64ElPKfPffEviT1_lS3_lT2_lT0_lPT3_i,comdat
.Lfunc_end82:
	.size	_ZL36rocblas_hemvn_kernel_lower_block_sumILi64ElPKfPffEviT1_lS3_lT2_lT0_lPT3_i, .Lfunc_end82-_ZL36rocblas_hemvn_kernel_lower_block_sumILi64ElPKfPffEviT1_lS3_lT2_lT0_lPT3_i
                                        ; -- End function
	.section	.AMDGPU.csdata,"",@progbits
; Kernel info:
; codeLenInByte = 816
; NumSgprs: 20
; NumVgprs: 7
; ScratchSize: 0
; MemoryBound: 0
; FloatMode: 240
; IeeeMode: 1
; LDSByteSize: 0 bytes/workgroup (compile time only)
; SGPRBlocks: 2
; VGPRBlocks: 0
; NumSGPRsForWavesPerEU: 20
; NumVGPRsForWavesPerEU: 7
; Occupancy: 16
; WaveLimiterHint : 0
; COMPUTE_PGM_RSRC2:SCRATCH_EN: 0
; COMPUTE_PGM_RSRC2:USER_SGPR: 14
; COMPUTE_PGM_RSRC2:TRAP_HANDLER: 0
; COMPUTE_PGM_RSRC2:TGID_X_EN: 1
; COMPUTE_PGM_RSRC2:TGID_Y_EN: 0
; COMPUTE_PGM_RSRC2:TGID_Z_EN: 1
; COMPUTE_PGM_RSRC2:TIDIG_COMP_CNT: 0
	.section	.text._ZL26rocblas_hemvn_kernel_lowerILb0ELi64ELi4ELi33ELi32ELi16EiPKfS1_PfEviT6_lT7_lT5_lS4_lS5_lS3_lT8_i,"axG",@progbits,_ZL26rocblas_hemvn_kernel_lowerILb0ELi64ELi4ELi33ELi32ELi16EiPKfS1_PfEviT6_lT7_lT5_lS4_lS5_lS3_lT8_i,comdat
	.globl	_ZL26rocblas_hemvn_kernel_lowerILb0ELi64ELi4ELi33ELi32ELi16EiPKfS1_PfEviT6_lT7_lT5_lS4_lS5_lS3_lT8_i ; -- Begin function _ZL26rocblas_hemvn_kernel_lowerILb0ELi64ELi4ELi33ELi32ELi16EiPKfS1_PfEviT6_lT7_lT5_lS4_lS5_lS3_lT8_i
	.p2align	8
	.type	_ZL26rocblas_hemvn_kernel_lowerILb0ELi64ELi4ELi33ELi32ELi16EiPKfS1_PfEviT6_lT7_lT5_lS4_lS5_lS3_lT8_i,@function
_ZL26rocblas_hemvn_kernel_lowerILb0ELi64ELi4ELi33ELi32ELi16EiPKfS1_PfEviT6_lT7_lT5_lS4_lS5_lS3_lT8_i: ; @_ZL26rocblas_hemvn_kernel_lowerILb0ELi64ELi4ELi33ELi32ELi16EiPKfS1_PfEviT6_lT7_lT5_lS4_lS5_lS3_lT8_i
; %bb.0:
	s_load_b64 s[4:5], s[0:1], 0x84
	s_add_u32 s2, s0, 0x78
	s_addc_u32 s3, s1, 0
	s_waitcnt lgkmcnt(0)
	s_lshr_b32 s6, s4, 16
	s_and_b32 s4, s4, 0xffff
	s_and_b32 s5, s5, 0xffff
	s_mul_i32 s4, s6, s4
	s_delay_alu instid0(SALU_CYCLE_1) | instskip(NEXT) | instid1(SALU_CYCLE_1)
	s_mul_i32 s4, s4, s5
	s_cmpk_lg_i32 s4, 0x100
	s_cbranch_scc1 .LBB83_76
; %bb.1:
	s_clause 0x1
	s_load_b256 s[16:23], s[0:1], 0x8
	s_load_b256 s[4:11], s[0:1], 0x50
	s_waitcnt lgkmcnt(0)
	s_mul_i32 s13, s15, s19
	s_mul_hi_u32 s19, s15, s18
	s_mul_i32 s12, s15, s18
	s_add_i32 s13, s19, s13
	s_mul_i32 s9, s15, s9
	s_lshl_b64 s[12:13], s[12:13], 2
	s_mul_hi_u32 s18, s15, s8
	s_add_u32 s12, s16, s12
	s_addc_u32 s13, s17, s13
	s_add_i32 s9, s18, s9
	s_mul_i32 s8, s15, s8
	s_delay_alu instid0(SALU_CYCLE_1) | instskip(NEXT) | instid1(SALU_CYCLE_1)
	s_lshl_b64 s[8:9], s[8:9], 2
	s_add_u32 s6, s6, s8
	s_addc_u32 s7, s7, s9
	s_load_b32 s8, s[12:13], 0x0
	s_load_b32 s7, s[6:7], 0x0
	s_waitcnt lgkmcnt(0)
	v_cmp_eq_f32_e64 s6, s8, 0
	v_cmp_eq_f32_e64 s7, s7, 1.0
	s_delay_alu instid0(VALU_DEP_1) | instskip(NEXT) | instid1(SALU_CYCLE_1)
	s_and_b32 s7, s6, s7
	s_and_b32 vcc_lo, exec_lo, s7
	s_cbranch_vccnz .LBB83_76
; %bb.2:
	s_and_b32 vcc_lo, exec_lo, s6
	s_cbranch_vccnz .LBB83_76
; %bb.3:
	s_clause 0x2
	s_load_b128 s[16:19], s[0:1], 0x30
	s_load_b64 s[6:7], s[0:1], 0x40
	s_load_b32 s24, s[0:1], 0x48
	s_mul_i32 s5, s15, s5
	s_mul_hi_u32 s8, s15, s4
	s_mul_i32 s4, s15, s4
	s_add_i32 s5, s8, s5
	v_and_b32_e32 v17, 0x3ff, v0
	s_lshl_b64 s[4:5], s[4:5], 2
	s_load_b32 s25, s[0:1], 0x0
	s_load_b32 s26, s[2:3], 0x0
	v_bfe_u32 v15, v0, 10, 10
	s_waitcnt lgkmcnt(0)
	s_add_u32 s8, s18, s4
	s_addc_u32 s9, s19, s5
	s_lshl_b64 s[4:5], s[6:7], 2
	s_delay_alu instid0(SALU_CYCLE_1) | instskip(SKIP_2) | instid1(SALU_CYCLE_1)
	s_add_u32 s4, s8, s4
	s_addc_u32 s5, s9, s5
	s_lshl_b32 s12, s14, 6
	v_add_nc_u32_e32 v4, s12, v17
	s_ashr_i32 s27, s25, 31
	s_add_i32 s6, s26, -1
	s_lshr_b32 s2, s27, 26
	s_delay_alu instid0(VALU_DEP_1) | instskip(SKIP_3) | instid1(SALU_CYCLE_1)
	v_mul_lo_u32 v1, v4, s24
	s_add_i32 s3, s25, s2
	v_cmp_ne_u32_e64 s2, 0, v15
	s_and_not1_b32 s3, s3, 63
	s_sub_i32 s7, s25, s3
	v_cmp_eq_u32_e64 s3, 0, v15
	s_cmp_eq_u32 s14, s6
	s_delay_alu instid0(VALU_DEP_3) | instskip(SKIP_1) | instid1(VALU_DEP_1)
	v_ashrrev_i32_e32 v2, 31, v1
	s_cselect_b32 s18, s7, 0
	v_lshlrev_b64 v[0:1], 2, v[1:2]
	s_delay_alu instid0(VALU_DEP_1) | instskip(NEXT) | instid1(VALU_DEP_2)
	v_add_co_u32 v5, vcc_lo, s4, v0
	v_add_co_ci_u32_e32 v6, vcc_lo, s5, v1, vcc_lo
	s_and_saveexec_b32 s4, s3
	s_cbranch_execz .LBB83_7
; %bb.4:
	v_cmp_gt_i32_e32 vcc_lo, s18, v17
	s_cmp_eq_u32 s18, 0
	v_mov_b32_e32 v0, 0
	s_cselect_b32 s5, -1, 0
	s_delay_alu instid0(SALU_CYCLE_1) | instskip(NEXT) | instid1(SALU_CYCLE_1)
	s_or_b32 s6, s5, vcc_lo
	s_and_saveexec_b32 s5, s6
	s_cbranch_execz .LBB83_6
; %bb.5:
	global_load_b32 v0, v[5:6], off
.LBB83_6:
	s_or_b32 exec_lo, exec_lo, s5
	v_lshlrev_b32_e32 v1, 2, v17
	s_waitcnt vmcnt(0)
	ds_store_b32 v1, v0 offset:4544
.LBB83_7:
	s_or_b32 exec_lo, exec_lo, s4
	s_load_b32 s8, s[0:1], 0x28
	v_lshl_add_u32 v18, v15, 6, v17
	v_and_b32_e32 v0, 31, v17
	s_mul_i32 s1, s15, s17
	s_mul_hi_u32 s4, s15, s16
	s_mul_i32 s0, s15, s16
	v_lshrrev_b32_e32 v3, 5, v18
	s_add_i32 s1, s4, s1
	s_delay_alu instid0(SALU_CYCLE_1) | instskip(NEXT) | instid1(SALU_CYCLE_1)
	s_lshl_b64 s[0:1], s[0:1], 2
	s_add_u32 s4, s20, s0
	s_addc_u32 s5, s21, s1
	s_lshl_b64 s[0:1], s[22:23], 2
	s_delay_alu instid0(SALU_CYCLE_1) | instskip(SKIP_2) | instid1(SALU_CYCLE_1)
	s_add_u32 s4, s4, s0
	s_addc_u32 s5, s5, s1
	s_ashr_i32 s13, s12, 31
	s_lshl_b64 s[0:1], s[12:13], 2
	s_waitcnt lgkmcnt(0)
	v_mad_u64_u32 v[1:2], null, v3, s8, v[0:1]
	s_add_u32 s4, s4, s0
	s_mul_i32 s0, s12, s8
	s_addc_u32 s5, s5, s1
	s_ashr_i32 s1, s0, 31
	s_delay_alu instid0(SALU_CYCLE_1) | instskip(NEXT) | instid1(VALU_DEP_1)
	s_lshl_b64 s[16:17], s[0:1], 2
	v_ashrrev_i32_e32 v2, 31, v1
	s_add_u32 s0, s16, s4
	s_addc_u32 s1, s17, s5
	s_cmp_lg_u32 s18, 0
	s_cselect_b32 s13, -1, 0
	v_lshlrev_b64 v[7:8], 2, v[1:2]
	s_cmp_eq_u32 s18, 0
	s_cselect_b32 s7, -1, 0
	s_delay_alu instid0(VALU_DEP_1) | instskip(NEXT) | instid1(VALU_DEP_2)
	v_add_co_u32 v1, vcc_lo, s0, v7
	v_add_co_ci_u32_e32 v2, vcc_lo, s1, v8, vcc_lo
	s_and_b32 vcc_lo, exec_lo, s13
	s_mov_b32 s0, 0
	s_cbranch_vccnz .LBB83_9
; %bb.8:
	s_lshl_b32 s4, s8, 3
	s_ashr_i32 s9, s8, 31
	s_ashr_i32 s5, s4, 31
	s_delay_alu instid0(SALU_CYCLE_1) | instskip(NEXT) | instid1(SALU_CYCLE_1)
	s_lshl_b64 s[4:5], s[4:5], 2
	v_add_co_u32 v9, vcc_lo, v1, s4
	v_add_co_ci_u32_e32 v10, vcc_lo, s5, v2, vcc_lo
	s_lshl_b64 s[4:5], s[8:9], 5
	s_delay_alu instid0(VALU_DEP_2) | instid1(SALU_CYCLE_1)
	v_add_co_u32 v11, vcc_lo, v9, s4
	s_delay_alu instid0(VALU_DEP_2) | instskip(NEXT) | instid1(VALU_DEP_2)
	v_add_co_ci_u32_e32 v12, vcc_lo, s5, v10, vcc_lo
	v_add_co_u32 v13, vcc_lo, v11, s4
	s_delay_alu instid0(VALU_DEP_2)
	v_add_co_ci_u32_e32 v14, vcc_lo, s5, v12, vcc_lo
	s_clause 0x1
	global_load_b32 v16, v[1:2], off
	global_load_b32 v9, v[9:10], off
	;; [unrolled: 1-line block ×4, first 2 shown]
	v_mul_u32_u24_e32 v12, 33, v3
	s_delay_alu instid0(VALU_DEP_1)
	v_add_lshl_u32 v12, v12, v0, 2
	s_waitcnt vmcnt(3)
	ds_store_b32 v12, v16
	s_waitcnt vmcnt(2)
	ds_store_b32 v12, v9 offset:1056
	s_waitcnt vmcnt(1)
	ds_store_b32 v12, v10 offset:2112
	;; [unrolled: 2-line block ×3, first 2 shown]
	s_and_not1_b32 vcc_lo, exec_lo, s0
	s_cbranch_vccz .LBB83_10
	s_branch .LBB83_19
.LBB83_9:
.LBB83_10:
	v_dual_mov_b32 v14, 0 :: v_dual_lshlrev_b32 v11, 2, v0
	s_ashr_i32 s19, s18, 31
	v_mov_b32_e32 v13, 0
	s_lshl_b64 s[4:5], s[18:19], 2
	s_delay_alu instid0(VALU_DEP_2) | instskip(SKIP_2) | instid1(VALU_DEP_2)
	v_sub_co_u32 v9, vcc_lo, v1, v11
	v_subrev_co_ci_u32_e32 v10, vcc_lo, 0, v2, vcc_lo
	s_mov_b32 s1, exec_lo
	v_add_co_u32 v9, vcc_lo, v9, s4
	s_delay_alu instid0(VALU_DEP_2) | instskip(NEXT) | instid1(VALU_DEP_2)
	v_add_co_ci_u32_e32 v10, vcc_lo, s5, v10, vcc_lo
	v_add_co_u32 v9, vcc_lo, v9, -4
	s_delay_alu instid0(VALU_DEP_2) | instskip(SKIP_1) | instid1(VALU_DEP_2)
	v_add_co_ci_u32_e32 v10, vcc_lo, -1, v10, vcc_lo
	v_cmp_gt_i32_e32 vcc_lo, s18, v0
	v_dual_cndmask_b32 v10, v10, v2 :: v_dual_cndmask_b32 v9, v9, v1
	v_cmpx_gt_i32_e64 s18, v3
	s_cbranch_execz .LBB83_12
; %bb.11:
	global_load_b32 v13, v[9:10], off
.LBB83_12:
	s_or_b32 exec_lo, exec_lo, s1
	v_mul_u32_u24_e32 v12, 33, v3
	v_add_nc_u32_e32 v16, 8, v3
	s_mov_b32 s1, exec_lo
	s_delay_alu instid0(VALU_DEP_2)
	v_add_lshl_u32 v12, v12, v0, 2
	s_waitcnt vmcnt(0)
	ds_store_b32 v12, v13
	v_cmpx_gt_i32_e64 s18, v16
	s_cbranch_execz .LBB83_14
; %bb.13:
	s_lshl_b32 s20, s8, 3
	s_delay_alu instid0(SALU_CYCLE_1) | instskip(NEXT) | instid1(SALU_CYCLE_1)
	s_ashr_i32 s21, s20, 31
	s_lshl_b64 s[20:21], s[20:21], 2
	s_delay_alu instid0(SALU_CYCLE_1) | instskip(NEXT) | instid1(VALU_DEP_1)
	v_add_co_u32 v13, s0, v9, s20
	v_add_co_ci_u32_e64 v14, s0, s21, v10, s0
	global_load_b32 v14, v[13:14], off
.LBB83_14:
	s_or_b32 exec_lo, exec_lo, s1
	v_dual_mov_b32 v13, 0 :: v_dual_add_nc_u32 v16, 16, v3
	s_waitcnt vmcnt(0)
	ds_store_b32 v12, v14 offset:1056
	v_cmp_gt_i32_e64 s0, s18, v16
	v_mov_b32_e32 v16, 0
	s_delay_alu instid0(VALU_DEP_2)
	s_and_saveexec_b32 s1, s0
	s_cbranch_execz .LBB83_16
; %bb.15:
	s_lshl_b32 s20, s8, 4
	s_delay_alu instid0(SALU_CYCLE_1) | instskip(NEXT) | instid1(SALU_CYCLE_1)
	s_ashr_i32 s21, s20, 31
	s_lshl_b64 s[20:21], s[20:21], 2
	s_delay_alu instid0(SALU_CYCLE_1) | instskip(NEXT) | instid1(VALU_DEP_1)
	v_add_co_u32 v19, s0, v9, s20
	v_add_co_ci_u32_e64 v20, s0, s21, v10, s0
	global_load_b32 v16, v[19:20], off
.LBB83_16:
	s_or_b32 exec_lo, exec_lo, s1
	v_add_nc_u32_e32 v14, 24, v3
	s_mov_b32 s1, exec_lo
	s_waitcnt vmcnt(0)
	ds_store_b32 v12, v16 offset:2112
	v_cmpx_gt_i32_e64 s18, v14
	s_cbranch_execz .LBB83_18
; %bb.17:
	s_mul_i32 s20, s8, 24
	s_delay_alu instid0(SALU_CYCLE_1) | instskip(NEXT) | instid1(SALU_CYCLE_1)
	s_ashr_i32 s21, s20, 31
	s_lshl_b64 s[20:21], s[20:21], 2
	s_delay_alu instid0(SALU_CYCLE_1) | instskip(NEXT) | instid1(VALU_DEP_1)
	v_add_co_u32 v13, s0, v9, s20
	v_add_co_ci_u32_e64 v14, s0, s21, v10, s0
	global_load_b32 v13, v[13:14], off
.LBB83_18:
	s_or_b32 exec_lo, exec_lo, s1
	v_add_co_u32 v9, s0, v9, v11
	s_delay_alu instid0(VALU_DEP_1) | instskip(SKIP_3) | instid1(VALU_DEP_1)
	v_add_co_ci_u32_e64 v10, s0, 0, v10, s0
	s_waitcnt vmcnt(0)
	ds_store_b32 v12, v13 offset:3168
	v_sub_co_u32 v9, s0, v9, s4
	v_subrev_co_ci_u32_e64 v10, s0, s5, v10, s0
	s_delay_alu instid0(VALU_DEP_2) | instskip(NEXT) | instid1(VALU_DEP_1)
	v_add_co_u32 v9, s0, v9, 4
	v_add_co_ci_u32_e64 v10, s0, 0, v10, s0
	s_delay_alu instid0(VALU_DEP_1)
	v_dual_cndmask_b32 v1, v9, v1 :: v_dual_cndmask_b32 v2, v10, v2
.LBB83_19:
	v_lshlrev_b32_e32 v11, 2, v3
	v_mul_u32_u24_e32 v19, 33, v0
	v_mul_u32_u24_e32 v10, 0x84, v3
	s_waitcnt lgkmcnt(0)
	s_barrier
	v_cmp_lt_u32_e64 s1, v11, v0
	v_add_lshl_u32 v13, v11, v19, 2
	buffer_gl0_inv
	s_and_saveexec_b32 s0, s1
	s_cbranch_execz .LBB83_21
; %bb.20:
	v_add_lshl_u32 v9, v10, v0, 2
	ds_load_b32 v9, v9
	s_waitcnt lgkmcnt(0)
	ds_store_b32 v13, v9
.LBB83_21:
	s_or_b32 exec_lo, exec_lo, s0
	v_or_b32_e32 v9, 1, v11
	s_delay_alu instid0(VALU_DEP_1) | instskip(NEXT) | instid1(VALU_DEP_1)
	v_cmp_lt_u32_e64 s4, v9, v0
	s_and_saveexec_b32 s0, s4
	s_cbranch_execz .LBB83_23
; %bb.22:
	v_mul_u32_u24_e32 v9, 33, v9
	s_delay_alu instid0(VALU_DEP_1)
	v_add_lshl_u32 v9, v9, v0, 2
	ds_load_b32 v9, v9
	s_waitcnt lgkmcnt(0)
	ds_store_b32 v13, v9 offset:4
.LBB83_23:
	s_or_b32 exec_lo, exec_lo, s0
	v_or_b32_e32 v9, 2, v11
	s_delay_alu instid0(VALU_DEP_1) | instskip(NEXT) | instid1(VALU_DEP_1)
	v_cmp_lt_u32_e64 s5, v9, v0
	s_and_saveexec_b32 s0, s5
	s_cbranch_execz .LBB83_25
; %bb.24:
	v_mul_u32_u24_e32 v9, 33, v9
	s_delay_alu instid0(VALU_DEP_1)
	v_add_lshl_u32 v9, v9, v0, 2
	ds_load_b32 v9, v9
	s_waitcnt lgkmcnt(0)
	ds_store_b32 v13, v9 offset:8
.LBB83_25:
	s_or_b32 exec_lo, exec_lo, s0
	v_or_b32_e32 v9, 3, v11
	s_delay_alu instid0(VALU_DEP_1) | instskip(SKIP_1) | instid1(VALU_DEP_2)
	v_mad_u32_u24 v12, v9, 33, v0
	v_cmp_lt_u32_e64 s6, v9, v0
	v_lshlrev_b32_e32 v9, 2, v12
	s_delay_alu instid0(VALU_DEP_2)
	s_and_saveexec_b32 s0, s6
	s_cbranch_execz .LBB83_27
; %bb.26:
	ds_load_b32 v12, v9
	s_waitcnt lgkmcnt(0)
	ds_store_b32 v13, v12 offset:12
.LBB83_27:
	s_or_b32 exec_lo, exec_lo, s0
	v_add_lshl_u32 v10, v10, v0, 2
	v_lshlrev_b32_e32 v12, 2, v11
	v_add_nc_u32_e32 v14, 0xfffffef8, v9
	s_waitcnt lgkmcnt(0)
	s_barrier
	buffer_gl0_inv
	ds_load_b32 v16, v10
	ds_load_b128 v[20:23], v12 offset:4544
	ds_load_2addr_b32 v[24:25], v14 offset1:33
	ds_load_b32 v26, v9
	v_cmp_gt_u32_e64 s0, 32, v18
	s_waitcnt lgkmcnt(0)
	s_barrier
	buffer_gl0_inv
	v_fma_f32 v27, v16, v20, 0
	v_add_lshl_u32 v20, v3, v19, 2
	s_delay_alu instid0(VALU_DEP_2) | instskip(NEXT) | instid1(VALU_DEP_1)
	v_fmac_f32_e32 v27, v24, v21
	v_dual_fmac_f32 v27, v25, v22 :: v_dual_mov_b32 v16, 0
	s_delay_alu instid0(VALU_DEP_1)
	v_fmac_f32_e32 v27, v26, v23
	ds_store_b32 v20, v27
	s_waitcnt lgkmcnt(0)
	s_barrier
	buffer_gl0_inv
	s_and_saveexec_b32 s9, s0
	s_cbranch_execz .LBB83_29
; %bb.28:
	v_lshlrev_b32_e32 v16, 2, v19
	ds_load_2addr_b32 v[21:22], v16 offset1:1
	ds_load_2addr_b32 v[23:24], v16 offset0:2 offset1:3
	ds_load_2addr_b32 v[25:26], v16 offset0:4 offset1:5
	ds_load_2addr_b32 v[27:28], v16 offset0:6 offset1:7
	s_waitcnt lgkmcnt(3)
	v_add_f32_e32 v16, v21, v22
	s_waitcnt lgkmcnt(2)
	s_delay_alu instid0(VALU_DEP_1) | instskip(NEXT) | instid1(VALU_DEP_1)
	v_add_f32_e32 v16, v16, v23
	v_add_f32_e32 v16, v16, v24
	s_waitcnt lgkmcnt(1)
	s_delay_alu instid0(VALU_DEP_1) | instskip(NEXT) | instid1(VALU_DEP_1)
	v_add_f32_e32 v16, v16, v25
	;; [unrolled: 4-line block ×3, first 2 shown]
	v_add_f32_e32 v16, v16, v28
.LBB83_29:
	s_or_b32 exec_lo, exec_lo, s9
	s_lshl_b32 s20, s8, 5
	v_cndmask_b32_e64 v21, 0, 1, s7
	s_ashr_i32 s21, s20, 31
	s_delay_alu instid0(SALU_CYCLE_1)
	s_lshl_b64 s[20:21], s[20:21], 2
	s_barrier
	v_add_co_u32 v1, vcc_lo, v1, s20
	v_add_co_ci_u32_e32 v2, vcc_lo, s21, v2, vcc_lo
	buffer_gl0_inv
	v_add_co_u32 v22, vcc_lo, 0x80, v1
	v_add_co_ci_u32_e32 v23, vcc_lo, 0, v2, vcc_lo
	s_and_not1_b32 vcc_lo, exec_lo, s7
	s_cbranch_vccnz .LBB83_31
; %bb.30:
	s_lshl_b32 s22, s8, 3
	s_ashr_i32 s9, s8, 31
	s_ashr_i32 s23, s22, 31
	s_delay_alu instid0(SALU_CYCLE_1) | instskip(NEXT) | instid1(SALU_CYCLE_1)
	s_lshl_b64 s[22:23], s[22:23], 2
	v_add_co_u32 v24, vcc_lo, v1, s22
	v_add_co_ci_u32_e32 v25, vcc_lo, s23, v2, vcc_lo
	s_lshl_b64 s[22:23], s[8:9], 5
	s_delay_alu instid0(VALU_DEP_2) | instid1(SALU_CYCLE_1)
	v_add_co_u32 v26, vcc_lo, v24, s22
	s_delay_alu instid0(VALU_DEP_2) | instskip(NEXT) | instid1(VALU_DEP_2)
	v_add_co_ci_u32_e32 v27, vcc_lo, s23, v25, vcc_lo
	v_add_co_u32 v28, vcc_lo, v26, s22
	s_delay_alu instid0(VALU_DEP_2)
	v_add_co_ci_u32_e32 v29, vcc_lo, s23, v27, vcc_lo
	s_clause 0x3
	global_load_b32 v1, v[1:2], off offset:128
	global_load_b32 v2, v[24:25], off offset:128
	;; [unrolled: 1-line block ×4, first 2 shown]
	v_mul_u32_u24_e32 v26, 33, v3
	s_delay_alu instid0(VALU_DEP_1)
	v_add_lshl_u32 v26, v26, v0, 2
	s_waitcnt vmcnt(3)
	ds_store_b32 v26, v1
	s_waitcnt vmcnt(2)
	ds_store_b32 v26, v2 offset:1056
	s_waitcnt vmcnt(1)
	ds_store_b32 v26, v24 offset:2112
	;; [unrolled: 2-line block ×3, first 2 shown]
	s_cbranch_execz .LBB83_32
	s_branch .LBB83_41
.LBB83_31:
.LBB83_32:
	v_lshlrev_b32_e32 v24, 2, v0
	s_ashr_i32 s19, s18, 31
	v_or_b32_e32 v25, 32, v0
	s_lshl_b64 s[22:23], s[18:19], 2
	v_mov_b32_e32 v26, 0
	v_sub_co_u32 v1, vcc_lo, v22, v24
	v_subrev_co_ci_u32_e32 v2, vcc_lo, 0, v23, vcc_lo
	s_sub_i32 s9, s18, 32
	s_delay_alu instid0(VALU_DEP_2) | instskip(NEXT) | instid1(VALU_DEP_2)
	v_add_co_u32 v1, vcc_lo, v1, s22
	v_add_co_ci_u32_e32 v2, vcc_lo, s23, v2, vcc_lo
	s_mov_b32 s19, exec_lo
	s_delay_alu instid0(VALU_DEP_2) | instskip(NEXT) | instid1(VALU_DEP_2)
	v_add_co_u32 v1, vcc_lo, 0xffffff7c, v1
	v_add_co_ci_u32_e32 v2, vcc_lo, -1, v2, vcc_lo
	v_cmp_gt_i32_e32 vcc_lo, s18, v25
	v_mov_b32_e32 v27, 0
	s_delay_alu instid0(VALU_DEP_3)
	v_dual_cndmask_b32 v1, v1, v22 :: v_dual_cndmask_b32 v2, v2, v23
	v_cmpx_gt_i32_e64 s9, v3
	s_cbranch_execz .LBB83_34
; %bb.33:
	global_load_b32 v26, v[1:2], off
.LBB83_34:
	s_or_b32 exec_lo, exec_lo, s19
	v_mul_u32_u24_e32 v25, 33, v3
	v_add_nc_u32_e32 v28, 8, v3
	s_mov_b32 s19, exec_lo
	s_delay_alu instid0(VALU_DEP_2)
	v_add_lshl_u32 v25, v25, v0, 2
	s_waitcnt vmcnt(0)
	ds_store_b32 v25, v26
	v_cmpx_gt_i32_e64 s9, v28
	s_cbranch_execz .LBB83_36
; %bb.35:
	s_lshl_b32 s28, s8, 3
	s_delay_alu instid0(SALU_CYCLE_1) | instskip(NEXT) | instid1(SALU_CYCLE_1)
	s_ashr_i32 s29, s28, 31
	s_lshl_b64 s[28:29], s[28:29], 2
	s_delay_alu instid0(SALU_CYCLE_1) | instskip(NEXT) | instid1(VALU_DEP_1)
	v_add_co_u32 v26, s7, v1, s28
	v_add_co_ci_u32_e64 v27, s7, s29, v2, s7
	global_load_b32 v27, v[26:27], off
.LBB83_36:
	s_or_b32 exec_lo, exec_lo, s19
	v_add_nc_u32_e32 v28, 16, v3
	v_mov_b32_e32 v26, 0
	s_waitcnt vmcnt(0)
	ds_store_b32 v25, v27 offset:1056
	v_cmp_gt_i32_e64 s7, s9, v28
	v_mov_b32_e32 v28, 0
	s_delay_alu instid0(VALU_DEP_2)
	s_and_saveexec_b32 s19, s7
	s_cbranch_execz .LBB83_38
; %bb.37:
	s_lshl_b32 s28, s8, 4
	s_delay_alu instid0(SALU_CYCLE_1) | instskip(NEXT) | instid1(SALU_CYCLE_1)
	s_ashr_i32 s29, s28, 31
	s_lshl_b64 s[28:29], s[28:29], 2
	s_delay_alu instid0(SALU_CYCLE_1) | instskip(NEXT) | instid1(VALU_DEP_1)
	v_add_co_u32 v27, s7, v1, s28
	v_add_co_ci_u32_e64 v28, s7, s29, v2, s7
	global_load_b32 v28, v[27:28], off
.LBB83_38:
	s_or_b32 exec_lo, exec_lo, s19
	v_add_nc_u32_e32 v27, 24, v3
	s_waitcnt vmcnt(0)
	ds_store_b32 v25, v28 offset:2112
	v_cmp_gt_i32_e64 s7, s9, v27
	s_delay_alu instid0(VALU_DEP_1)
	s_and_saveexec_b32 s9, s7
	s_cbranch_execz .LBB83_40
; %bb.39:
	s_mul_i32 s28, s8, 24
	s_delay_alu instid0(SALU_CYCLE_1) | instskip(NEXT) | instid1(SALU_CYCLE_1)
	s_ashr_i32 s29, s28, 31
	s_lshl_b64 s[28:29], s[28:29], 2
	s_delay_alu instid0(SALU_CYCLE_1) | instskip(NEXT) | instid1(VALU_DEP_1)
	v_add_co_u32 v26, s7, v1, s28
	v_add_co_ci_u32_e64 v27, s7, s29, v2, s7
	global_load_b32 v26, v[26:27], off
.LBB83_40:
	s_or_b32 exec_lo, exec_lo, s9
	v_add_co_u32 v1, s7, v1, v24
	s_delay_alu instid0(VALU_DEP_1) | instskip(SKIP_3) | instid1(VALU_DEP_1)
	v_add_co_ci_u32_e64 v2, s7, 0, v2, s7
	s_waitcnt vmcnt(0)
	ds_store_b32 v25, v26 offset:3168
	v_sub_co_u32 v1, s7, v1, s22
	v_subrev_co_ci_u32_e64 v2, s7, s23, v2, s7
	s_delay_alu instid0(VALU_DEP_2) | instskip(NEXT) | instid1(VALU_DEP_1)
	v_add_co_u32 v1, s7, 0x84, v1
	v_add_co_ci_u32_e64 v2, s7, 0, v2, s7
	s_delay_alu instid0(VALU_DEP_1)
	v_dual_cndmask_b32 v22, v1, v22 :: v_dual_cndmask_b32 v23, v2, v23
.LBB83_41:
	v_add_nc_u32_e32 v12, 0x11c0, v12
	s_waitcnt lgkmcnt(0)
	s_barrier
	buffer_gl0_inv
	s_and_saveexec_b32 s7, s1
	s_cbranch_execnz .LBB83_50
; %bb.42:
	s_or_b32 exec_lo, exec_lo, s7
	s_and_saveexec_b32 s1, s4
	s_cbranch_execnz .LBB83_51
.LBB83_43:
	s_or_b32 exec_lo, exec_lo, s1
	s_and_saveexec_b32 s1, s5
	s_cbranch_execnz .LBB83_52
.LBB83_44:
	s_or_b32 exec_lo, exec_lo, s1
	s_and_saveexec_b32 s1, s6
	s_cbranch_execz .LBB83_46
.LBB83_45:
	ds_load_b32 v1, v9
	s_waitcnt lgkmcnt(0)
	ds_store_b32 v13, v1 offset:12
.LBB83_46:
	s_or_b32 exec_lo, exec_lo, s1
	s_waitcnt lgkmcnt(0)
	s_barrier
	buffer_gl0_inv
	ds_load_b32 v10, v10
	ds_load_b128 v[24:27], v12 offset:128
	ds_load_2addr_b32 v[1:2], v14 offset1:33
	ds_load_b32 v9, v9
	v_cmp_eq_u32_e64 s1, 1, v3
	s_waitcnt lgkmcnt(0)
	s_barrier
	buffer_gl0_inv
	v_fma_f32 v10, v10, v24, 0
	s_delay_alu instid0(VALU_DEP_1) | instskip(NEXT) | instid1(VALU_DEP_1)
	v_fmac_f32_e32 v10, v1, v25
	v_fmac_f32_e32 v10, v2, v26
	s_delay_alu instid0(VALU_DEP_1)
	v_fmac_f32_e32 v10, v9, v27
	ds_store_b32 v20, v10
	s_waitcnt lgkmcnt(0)
	s_barrier
	buffer_gl0_inv
	s_and_saveexec_b32 s4, s1
	s_cbranch_execz .LBB83_48
; %bb.47:
	v_lshlrev_b32_e32 v14, 2, v19
	ds_load_2addr_b32 v[1:2], v14 offset1:1
	ds_load_2addr_b32 v[9:10], v14 offset0:2 offset1:3
	ds_load_2addr_b32 v[24:25], v14 offset0:4 offset1:5
	;; [unrolled: 1-line block ×3, first 2 shown]
	s_waitcnt lgkmcnt(3)
	v_add_f32_e32 v1, v1, v2
	s_waitcnt lgkmcnt(2)
	s_delay_alu instid0(VALU_DEP_1) | instskip(NEXT) | instid1(VALU_DEP_1)
	v_add_f32_e32 v1, v1, v9
	v_add_f32_e32 v1, v1, v10
	s_waitcnt lgkmcnt(1)
	s_delay_alu instid0(VALU_DEP_1) | instskip(NEXT) | instid1(VALU_DEP_1)
	v_add_f32_e32 v1, v1, v24
	;; [unrolled: 4-line block ×3, first 2 shown]
	v_add_f32_e32 v16, v1, v27
.LBB83_48:
	s_or_b32 exec_lo, exec_lo, s4
	v_cmp_ne_u32_e32 vcc_lo, 1, v21
	v_sub_co_u32 v9, s4, v22, s20
	s_delay_alu instid0(VALU_DEP_1)
	v_subrev_co_ci_u32_e64 v10, s4, s21, v23, s4
	s_barrier
	buffer_gl0_inv
	s_cbranch_vccnz .LBB83_53
; %bb.49:
	s_lshl_b32 s4, s8, 3
	s_ashr_i32 s9, s8, 31
	s_ashr_i32 s5, s4, 31
	v_add_nc_u32_e32 v14, 8, v3
	s_lshl_b64 s[4:5], s[4:5], 2
	s_delay_alu instid0(SALU_CYCLE_1)
	v_add_co_u32 v1, vcc_lo, v9, s4
	v_add_co_ci_u32_e32 v2, vcc_lo, s5, v10, vcc_lo
	s_lshl_b64 s[4:5], s[8:9], 5
	s_delay_alu instid0(VALU_DEP_2) | instid1(SALU_CYCLE_1)
	v_add_co_u32 v21, vcc_lo, v1, s4
	s_delay_alu instid0(VALU_DEP_2) | instskip(NEXT) | instid1(VALU_DEP_2)
	v_add_co_ci_u32_e32 v22, vcc_lo, s5, v2, vcc_lo
	v_add_co_u32 v23, vcc_lo, v21, s4
	s_delay_alu instid0(VALU_DEP_2)
	v_add_co_ci_u32_e32 v24, vcc_lo, s5, v22, vcc_lo
	s_clause 0x3
	global_load_b32 v25, v[9:10], off
	global_load_b32 v26, v[1:2], off
	;; [unrolled: 1-line block ×4, first 2 shown]
	v_mad_u32_u24 v21, v3, 33, v0
	v_add_nc_u32_e32 v22, 16, v3
	v_add_nc_u32_e32 v23, 24, v3
	s_delay_alu instid0(VALU_DEP_3)
	v_lshlrev_b32_e32 v29, 2, v21
	v_add_nc_u32_e32 v24, 0x108, v21
	v_add_nc_u32_e32 v1, 0x210, v21
	;; [unrolled: 1-line block ×3, first 2 shown]
	s_waitcnt vmcnt(3)
	ds_store_b32 v29, v25
	s_waitcnt vmcnt(2)
	ds_store_b32 v29, v26 offset:1056
	s_waitcnt vmcnt(1)
	ds_store_b32 v29, v27 offset:2112
	;; [unrolled: 2-line block ×3, first 2 shown]
	s_cbranch_execz .LBB83_54
	s_branch .LBB83_63
.LBB83_50:
	ds_load_b32 v1, v10
	s_waitcnt lgkmcnt(0)
	ds_store_b32 v13, v1
	s_or_b32 exec_lo, exec_lo, s7
	s_and_saveexec_b32 s1, s4
	s_cbranch_execz .LBB83_43
.LBB83_51:
	ds_load_b32 v1, v14
	s_waitcnt lgkmcnt(0)
	ds_store_b32 v13, v1 offset:4
	s_or_b32 exec_lo, exec_lo, s1
	s_and_saveexec_b32 s1, s5
	s_cbranch_execz .LBB83_44
.LBB83_52:
	ds_load_b32 v1, v14 offset:132
	s_waitcnt lgkmcnt(0)
	ds_store_b32 v13, v1 offset:8
	s_or_b32 exec_lo, exec_lo, s1
	s_and_saveexec_b32 s1, s6
	s_cbranch_execnz .LBB83_45
	s_branch .LBB83_46
.LBB83_53:
                                        ; implicit-def: $vgpr21
                                        ; implicit-def: $vgpr14
                                        ; implicit-def: $vgpr24
                                        ; implicit-def: $vgpr22
                                        ; implicit-def: $vgpr1
                                        ; implicit-def: $vgpr23
                                        ; implicit-def: $vgpr2
.LBB83_54:
	v_dual_mov_b32 v23, 0 :: v_dual_lshlrev_b32 v24, 2, v0
	s_ashr_i32 s19, s18, 31
	v_or_b32_e32 v14, 32, v0
	s_lshl_b64 s[6:7], s[18:19], 2
	s_delay_alu instid0(VALU_DEP_2) | instskip(SKIP_2) | instid1(VALU_DEP_3)
	v_sub_co_u32 v1, vcc_lo, v9, v24
	v_subrev_co_ci_u32_e32 v2, vcc_lo, 0, v10, vcc_lo
	v_mov_b32_e32 v22, 0
	v_add_co_u32 v1, vcc_lo, v1, s6
	s_delay_alu instid0(VALU_DEP_3) | instskip(SKIP_1) | instid1(VALU_DEP_2)
	v_add_co_ci_u32_e32 v2, vcc_lo, s7, v2, vcc_lo
	s_mov_b32 s5, exec_lo
	v_add_co_u32 v1, vcc_lo, 0xffffff7c, v1
	s_delay_alu instid0(VALU_DEP_2) | instskip(SKIP_1) | instid1(VALU_DEP_2)
	v_add_co_ci_u32_e32 v2, vcc_lo, -1, v2, vcc_lo
	v_cmp_gt_i32_e32 vcc_lo, s18, v14
	v_dual_cndmask_b32 v2, v2, v10 :: v_dual_cndmask_b32 v1, v1, v9
	v_cmpx_gt_i32_e64 s18, v3
	s_cbranch_execz .LBB83_56
; %bb.55:
	global_load_b32 v22, v[1:2], off
.LBB83_56:
	s_or_b32 exec_lo, exec_lo, s5
	v_mad_u32_u24 v21, v3, 33, v0
	v_add_nc_u32_e32 v14, 8, v3
	s_mov_b32 s5, exec_lo
	s_delay_alu instid0(VALU_DEP_2)
	v_lshlrev_b32_e32 v0, 2, v21
	s_waitcnt vmcnt(0)
	ds_store_b32 v0, v22
	v_cmpx_gt_i32_e64 s18, v14
	s_cbranch_execz .LBB83_58
; %bb.57:
	s_lshl_b32 s20, s8, 3
	s_delay_alu instid0(SALU_CYCLE_1) | instskip(NEXT) | instid1(SALU_CYCLE_1)
	s_ashr_i32 s21, s20, 31
	s_lshl_b64 s[20:21], s[20:21], 2
	s_delay_alu instid0(SALU_CYCLE_1) | instskip(NEXT) | instid1(VALU_DEP_1)
	v_add_co_u32 v22, s4, v1, s20
	v_add_co_ci_u32_e64 v23, s4, s21, v2, s4
	global_load_b32 v23, v[22:23], off
.LBB83_58:
	s_or_b32 exec_lo, exec_lo, s5
	v_dual_mov_b32 v25, 0 :: v_dual_add_nc_u32 v22, 16, v3
	v_mov_b32_e32 v26, 0
	s_mov_b32 s5, exec_lo
	s_waitcnt vmcnt(0)
	ds_store_b32 v0, v23 offset:1056
	v_cmpx_gt_i32_e64 s18, v22
	s_cbranch_execz .LBB83_60
; %bb.59:
	s_lshl_b32 s20, s8, 4
	s_delay_alu instid0(SALU_CYCLE_1) | instskip(NEXT) | instid1(SALU_CYCLE_1)
	s_ashr_i32 s21, s20, 31
	s_lshl_b64 s[20:21], s[20:21], 2
	s_delay_alu instid0(SALU_CYCLE_1) | instskip(NEXT) | instid1(VALU_DEP_1)
	v_add_co_u32 v26, s4, v1, s20
	v_add_co_ci_u32_e64 v27, s4, s21, v2, s4
	global_load_b32 v26, v[26:27], off
.LBB83_60:
	s_or_b32 exec_lo, exec_lo, s5
	v_add_nc_u32_e32 v23, 24, v3
	s_mov_b32 s5, exec_lo
	s_waitcnt vmcnt(0)
	ds_store_b32 v0, v26 offset:2112
	v_cmpx_gt_i32_e64 s18, v23
	s_cbranch_execz .LBB83_62
; %bb.61:
	s_mul_i32 s20, s8, 24
	s_delay_alu instid0(SALU_CYCLE_1) | instskip(NEXT) | instid1(SALU_CYCLE_1)
	s_ashr_i32 s21, s20, 31
	s_lshl_b64 s[20:21], s[20:21], 2
	s_delay_alu instid0(SALU_CYCLE_1) | instskip(NEXT) | instid1(VALU_DEP_1)
	v_add_co_u32 v25, s4, v1, s20
	v_add_co_ci_u32_e64 v26, s4, s21, v2, s4
	global_load_b32 v25, v[25:26], off
.LBB83_62:
	s_or_b32 exec_lo, exec_lo, s5
	v_add_co_u32 v1, s4, v1, v24
	s_delay_alu instid0(VALU_DEP_1) | instskip(SKIP_1) | instid1(VALU_DEP_3)
	v_add_co_ci_u32_e64 v2, s4, 0, v2, s4
	v_add_nc_u32_e32 v24, 0x108, v21
	v_sub_co_u32 v1, s4, v1, s6
	s_delay_alu instid0(VALU_DEP_1) | instskip(SKIP_3) | instid1(VALU_DEP_1)
	v_subrev_co_ci_u32_e64 v2, s4, s7, v2, s4
	s_waitcnt vmcnt(0)
	ds_store_b32 v0, v25 offset:3168
	v_add_co_u32 v3, s4, 0x84, v1
	v_add_co_ci_u32_e64 v26, s4, 0, v2, s4
	v_add_nc_u32_e32 v1, 0x210, v21
	v_add_nc_u32_e32 v2, 0x318, v21
	s_delay_alu instid0(VALU_DEP_3)
	v_dual_cndmask_b32 v9, v3, v9 :: v_dual_cndmask_b32 v10, v26, v10
.LBB83_63:
	v_lshlrev_b32_e32 v0, 2, v21
	v_lshlrev_b32_e32 v3, 2, v24
	s_waitcnt lgkmcnt(0)
	s_barrier
	buffer_gl0_inv
	ds_load_b32 v11, v11 offset:4544
	v_lshlrev_b32_e32 v14, 2, v14
	ds_load_b32 v21, v0
	ds_load_b32 v24, v3
	v_lshlrev_b32_e32 v0, 2, v1
	v_lshlrev_b32_e32 v1, 2, v22
	;; [unrolled: 1-line block ×3, first 2 shown]
	ds_load_b32 v22, v14 offset:4544
	v_lshlrev_b32_e32 v3, 2, v23
	ds_load_b32 v23, v0
	ds_load_b32 v25, v1 offset:4544
	ds_load_b32 v26, v2
	ds_load_b32 v27, v3 offset:4544
	ds_load_b128 v[0:3], v12 offset:128
	s_waitcnt lgkmcnt(7)
	v_fma_f32 v21, v21, v11, 0
	ds_load_2addr_b32 v[11:12], v13 offset0:2 offset1:3
	ds_load_2addr_b32 v[13:14], v13 offset1:1
	s_waitcnt lgkmcnt(0)
	s_barrier
	buffer_gl0_inv
	v_fmac_f32_e32 v21, v24, v22
	s_delay_alu instid0(VALU_DEP_1) | instskip(NEXT) | instid1(VALU_DEP_1)
	v_fmac_f32_e32 v21, v23, v25
	v_fmac_f32_e32 v21, v26, v27
	ds_store_b32 v20, v21
	s_waitcnt lgkmcnt(0)
	s_barrier
	buffer_gl0_inv
	s_and_saveexec_b32 s4, s1
	s_cbranch_execz .LBB83_65
; %bb.64:
	v_lshlrev_b32_e32 v27, 2, v19
	ds_load_2addr_b32 v[21:22], v27 offset1:1
	ds_load_2addr_b32 v[23:24], v27 offset0:2 offset1:3
	ds_load_2addr_b32 v[25:26], v27 offset0:4 offset1:5
	;; [unrolled: 1-line block ×3, first 2 shown]
	s_waitcnt lgkmcnt(3)
	v_add_f32_e32 v16, v16, v21
	s_delay_alu instid0(VALU_DEP_1) | instskip(SKIP_1) | instid1(VALU_DEP_1)
	v_add_f32_e32 v16, v16, v22
	s_waitcnt lgkmcnt(2)
	v_add_f32_e32 v16, v16, v23
	s_delay_alu instid0(VALU_DEP_1) | instskip(SKIP_1) | instid1(VALU_DEP_1)
	v_add_f32_e32 v16, v16, v24
	s_waitcnt lgkmcnt(1)
	v_add_f32_e32 v16, v16, v25
	s_delay_alu instid0(VALU_DEP_1) | instskip(SKIP_1) | instid1(VALU_DEP_1)
	v_add_f32_e32 v16, v16, v26
	s_waitcnt lgkmcnt(0)
	v_add_f32_e32 v16, v16, v27
	s_delay_alu instid0(VALU_DEP_1)
	v_add_f32_e32 v16, v16, v28
.LBB83_65:
	s_or_b32 exec_lo, exec_lo, s4
	v_fma_f32 v0, v13, v0, 0
	s_barrier
	buffer_gl0_inv
	v_fmac_f32_e32 v0, v14, v1
	s_delay_alu instid0(VALU_DEP_1) | instskip(NEXT) | instid1(VALU_DEP_1)
	v_fmac_f32_e32 v0, v11, v2
	v_fmac_f32_e32 v0, v12, v3
	ds_store_b32 v20, v0
	s_waitcnt lgkmcnt(0)
	s_barrier
	buffer_gl0_inv
	s_and_saveexec_b32 s1, s0
	s_cbranch_execz .LBB83_67
; %bb.66:
	v_lshlrev_b32_e32 v13, 2, v19
	ds_load_2addr_b32 v[0:1], v13 offset1:1
	ds_load_2addr_b32 v[2:3], v13 offset0:2 offset1:3
	ds_load_2addr_b32 v[11:12], v13 offset0:4 offset1:5
	;; [unrolled: 1-line block ×3, first 2 shown]
	s_waitcnt lgkmcnt(3)
	v_add_f32_e32 v0, v16, v0
	s_delay_alu instid0(VALU_DEP_1) | instskip(SKIP_1) | instid1(VALU_DEP_1)
	v_add_f32_e32 v0, v0, v1
	s_waitcnt lgkmcnt(2)
	v_add_f32_e32 v0, v0, v2
	s_delay_alu instid0(VALU_DEP_1) | instskip(SKIP_1) | instid1(VALU_DEP_1)
	v_add_f32_e32 v0, v0, v3
	;; [unrolled: 4-line block ×3, first 2 shown]
	s_waitcnt lgkmcnt(0)
	v_add_f32_e32 v0, v0, v13
	s_delay_alu instid0(VALU_DEP_1)
	v_add_f32_e32 v16, v0, v14
.LBB83_67:
	s_or_b32 exec_lo, exec_lo, s1
	s_mul_hi_u32 s0, s25, s15
	s_mul_i32 s27, s27, s15
	s_mul_i32 s1, s25, s15
	s_add_i32 s0, s0, s27
	s_mul_hi_u32 s5, s1, s26
	s_mul_i32 s4, s0, s26
	s_mul_i32 s0, s1, s26
	s_add_i32 s1, s5, s4
	s_mul_i32 s4, s14, s25
	s_lshl_b64 s[0:1], s[0:1], 2
	v_cmp_le_i32_e32 vcc_lo, s18, v17
	s_add_u32 s6, s10, s0
	s_addc_u32 s7, s11, s1
	s_ashr_i32 s5, s4, 31
	v_lshlrev_b32_e32 v11, 2, v17
	s_lshl_b64 s[0:1], s[4:5], 2
	s_delay_alu instid0(SALU_CYCLE_1)
	s_add_u32 s15, s6, s0
	s_addc_u32 s20, s7, s1
	s_and_b32 vcc_lo, s13, vcc_lo
	s_cmp_lt_i32 s14, 1
	s_barrier
	buffer_gl0_inv
	s_cbranch_scc1 .LBB83_74
; %bb.68:
	v_mul_lo_u32 v0, v15, s8
	v_sub_co_u32 v9, s0, v9, s16
	s_delay_alu instid0(VALU_DEP_1) | instskip(SKIP_1) | instid1(VALU_DEP_2)
	v_subrev_co_ci_u32_e64 v10, s0, s17, v10, s0
	s_ashr_i32 s19, s18, 31
	v_sub_co_u32 v7, s0, v9, v7
	s_delay_alu instid0(VALU_DEP_4) | instskip(NEXT) | instid1(VALU_DEP_3)
	v_lshl_add_u32 v2, v0, 2, v17
	v_sub_co_ci_u32_e64 v8, s0, v10, v8, s0
	s_lshl_b64 s[6:7], s[18:19], 2
	v_and_b32_e32 v19, 48, v17
	s_delay_alu instid0(VALU_DEP_3) | instskip(SKIP_3) | instid1(VALU_DEP_3)
	v_ashrrev_i32_e32 v3, 31, v2
	v_lshrrev_b32_e32 v9, 2, v18
	s_mul_i32 s4, s12, s24
	v_dual_mov_b32 v1, 0 :: v_dual_and_b32 v0, 15, v17
	v_lshlrev_b64 v[2:3], 2, v[2:3]
	s_ashr_i32 s5, s4, 31
	v_lshlrev_b32_e32 v10, 2, v19
	s_lshl_b64 s[4:5], s[4:5], 2
	v_or_b32_e32 v12, 60, v11
	v_and_b32_e32 v13, 0x1fff0, v18
	v_add_co_u32 v2, s0, v7, v2
	s_delay_alu instid0(VALU_DEP_1) | instskip(SKIP_1) | instid1(VALU_DEP_3)
	v_add_co_ci_u32_e64 v3, s0, v8, v3, s0
	v_and_b32_e32 v17, 0x7ffc, v9
	v_sub_co_u32 v7, s0, v2, v11
	s_delay_alu instid0(VALU_DEP_1) | instskip(SKIP_1) | instid1(VALU_DEP_3)
	v_subrev_co_ci_u32_e64 v8, s0, 0, v3, s0
	v_mad_u32_u24 v9, 0x10c, v0, v10
	v_add_co_u32 v7, s0, v7, s6
	s_delay_alu instid0(VALU_DEP_1) | instskip(SKIP_1) | instid1(VALU_DEP_1)
	v_add_co_ci_u32_e64 v8, s0, s7, v8, s0
	v_add_co_u32 v2, s0, 0xffffff80, v2
	v_add_co_ci_u32_e64 v3, s0, -1, v3, s0
	s_delay_alu instid0(VALU_DEP_4) | instskip(NEXT) | instid1(VALU_DEP_1)
	v_add_co_u32 v7, s0, 0xffffff7c, v7
	v_add_co_ci_u32_e64 v8, s0, -1, v8, s0
	v_sub_co_u32 v5, s0, v5, s4
	s_delay_alu instid0(VALU_DEP_1) | instskip(NEXT) | instid1(VALU_DEP_3)
	v_subrev_co_ci_u32_e64 v6, s0, s5, v6, s0
	v_dual_cndmask_b32 v3, v3, v8 :: v_dual_cndmask_b32 v2, v2, v7
	v_add_nc_u32_e32 v7, 0x10c0, v11
	v_add_nc_u32_e32 v8, 0x11c0, v11
	v_cmp_gt_u32_e64 s0, 64, v18
	v_mad_u32_u24 v10, 0x10c, v0, v12
	v_mad_u32_u24 v12, 0x10c, v0, v13
	v_lshl_add_u32 v13, v15, 4, 0x10c0
	v_mad_u32_u24 v14, 0x430, v15, v11
	v_mad_u32_u24 v17, 0x10c, v0, v17
	v_or_b32_e32 v0, v19, v0
	s_ashr_i32 s9, s8, 31
	s_lshl_b32 s18, s24, 6
	s_lshl_b64 s[4:5], s[8:9], 2
	s_lshl_b64 s[6:7], s[8:9], 8
	;; [unrolled: 1-line block ×3, first 2 shown]
	s_mul_hi_i32 s19, s8, 12
	s_mul_i32 s21, s8, 12
	s_mul_hi_i32 s22, s8, 0x48
	s_mul_i32 s23, s8, 0x48
	;; [unrolled: 2-line block ×10, first 2 shown]
	s_lshl_b64 s[12:13], s[8:9], 7
	s_mul_hi_i32 s41, s8, 0x44
	s_mul_i32 s42, s8, 0x44
	s_lshl_b64 s[8:9], s[8:9], 6
	s_mov_b32 s16, 0
	s_branch .LBB83_70
.LBB83_69:                              ;   in Loop: Header=BB83_70 Depth=1
	s_or_b32 exec_lo, exec_lo, s17
	v_fmac_f32_e32 v16, v18, v22
	v_add_co_u32 v2, s1, v2, s6
	s_delay_alu instid0(VALU_DEP_1) | instskip(NEXT) | instid1(VALU_DEP_3)
	v_add_co_ci_u32_e64 v3, s1, s7, v3, s1
	v_fmac_f32_e32 v16, v20, v23
	v_add_nc_u32_e32 v0, 64, v0
	s_add_i32 s14, s14, -1
	s_add_i32 s16, s16, s18
	s_cmp_eq_u32 s14, 0
	v_fmac_f32_e32 v16, v19, v24
	s_waitcnt_vscnt null, 0x0
	s_barrier
	buffer_gl0_inv
	v_fmac_f32_e32 v16, v21, v25
	s_delay_alu instid0(VALU_DEP_1) | instskip(NEXT) | instid1(VALU_DEP_1)
	v_fmac_f32_e32 v16, v26, v30
	v_fmac_f32_e32 v16, v28, v31
	s_delay_alu instid0(VALU_DEP_1) | instskip(NEXT) | instid1(VALU_DEP_1)
	v_fmac_f32_e32 v16, v27, v32
	;; [unrolled: 3-line block ×6, first 2 shown]
	v_fmac_f32_e32 v16, v39, v47
	s_cbranch_scc1 .LBB83_74
.LBB83_70:                              ; =>This Inner Loop Header: Depth=1
	s_and_saveexec_b32 s43, s3
	s_cbranch_execz .LBB83_72
; %bb.71:                               ;   in Loop: Header=BB83_70 Depth=1
	s_ashr_i32 s17, s16, 31
	s_delay_alu instid0(SALU_CYCLE_1) | instskip(NEXT) | instid1(SALU_CYCLE_1)
	s_lshl_b64 s[44:45], s[16:17], 2
	v_add_co_u32 v18, s1, v5, s44
	s_delay_alu instid0(VALU_DEP_1)
	v_add_co_ci_u32_e64 v19, s1, s45, v6, s1
	global_load_b32 v18, v[18:19], off
	s_waitcnt vmcnt(0)
	ds_store_b32 v7, v18
.LBB83_72:                              ;   in Loop: Header=BB83_70 Depth=1
	s_or_b32 exec_lo, exec_lo, s43
	v_add_co_u32 v19, s1, v2, s4
	s_delay_alu instid0(VALU_DEP_1) | instskip(SKIP_1) | instid1(VALU_DEP_1)
	v_add_co_ci_u32_e64 v20, s1, s5, v3, s1
	v_add_co_u32 v21, s1, v2, s10
	v_add_co_ci_u32_e64 v22, s1, s11, v3, s1
	v_add_co_u32 v23, s1, v2, s21
	s_waitcnt lgkmcnt(0)
	s_barrier
	buffer_gl0_inv
	global_load_b32 v18, v[2:3], off
	v_add_co_ci_u32_e64 v24, s1, s19, v3, s1
	s_clause 0x2
	global_load_b32 v20, v[19:20], off
	global_load_b32 v19, v[21:22], off
	;; [unrolled: 1-line block ×3, first 2 shown]
	ds_load_b32 v23, v8
	ds_load_b32 v22, v13
	v_add_co_u32 v26, s1, v2, s8
	s_delay_alu instid0(VALU_DEP_1) | instskip(SKIP_1) | instid1(VALU_DEP_1)
	v_add_co_ci_u32_e64 v27, s1, s9, v3, s1
	v_add_co_u32 v28, s1, v2, s42
	v_add_co_ci_u32_e64 v29, s1, s41, v3, s1
	v_add_co_u32 v30, s1, v2, s23
	s_delay_alu instid0(VALU_DEP_1)
	v_add_co_ci_u32_e64 v31, s1, s22, v3, s1
	s_waitcnt vmcnt(3) lgkmcnt(1)
	v_mul_f32_e32 v24, v18, v23
	s_waitcnt vmcnt(2)
	v_mul_f32_e32 v25, v20, v23
	s_waitcnt vmcnt(1)
	;; [unrolled: 2-line block ×3, first 2 shown]
	v_mul_f32_e32 v33, v21, v23
	ds_store_b32 v14, v24
	ds_load_b32 v23, v13 offset:4
	ds_store_b32 v14, v25 offset:268
	ds_load_b32 v24, v13 offset:8
	ds_store_b32 v14, v32 offset:536
	v_add_co_u32 v32, s1, v2, s25
	ds_load_b32 v25, v13 offset:12
	ds_store_b32 v14, v33 offset:804
	s_waitcnt lgkmcnt(0)
	s_barrier
	buffer_gl0_inv
	ds_load_2addr_b32 v[50:51], v12 offset1:1
	ds_load_2addr_b32 v[52:53], v12 offset0:2 offset1:3
	s_waitcnt lgkmcnt(0)
	s_barrier
	buffer_gl0_inv
	global_load_b32 v26, v[26:27], off
	v_add_co_ci_u32_e64 v33, s1, s24, v3, s1
	s_clause 0x2
	global_load_b32 v28, v[28:29], off
	global_load_b32 v27, v[30:31], off
	;; [unrolled: 1-line block ×3, first 2 shown]
	ds_load_b32 v31, v8
	ds_load_b32 v30, v13 offset:64
	v_add_co_u32 v34, s1, v2, s12
	s_delay_alu instid0(VALU_DEP_1) | instskip(SKIP_1) | instid1(VALU_DEP_1)
	v_add_co_ci_u32_e64 v35, s1, s13, v3, s1
	v_add_co_u32 v36, s1, v2, s40
	v_add_co_ci_u32_e64 v37, s1, s39, v3, s1
	v_add_co_u32 v38, s1, v2, s27
	s_delay_alu instid0(VALU_DEP_1) | instskip(SKIP_1) | instid1(VALU_DEP_1)
	v_add_co_ci_u32_e64 v39, s1, s26, v3, s1
	v_add_f32_e32 v50, 0, v50
	v_add_f32_e32 v50, v50, v51
	s_delay_alu instid0(VALU_DEP_1) | instskip(NEXT) | instid1(VALU_DEP_1)
	v_add_f32_e32 v50, v50, v52
	v_add_f32_e32 v50, v50, v53
	s_waitcnt vmcnt(3) lgkmcnt(1)
	v_mul_f32_e32 v32, v26, v31
	s_waitcnt vmcnt(2)
	v_mul_f32_e32 v33, v28, v31
	s_waitcnt vmcnt(1)
	;; [unrolled: 2-line block ×3, first 2 shown]
	v_mul_f32_e32 v41, v29, v31
	ds_store_b32 v14, v32
	ds_load_b32 v31, v13 offset:68
	ds_store_b32 v14, v33 offset:268
	ds_load_b32 v32, v13 offset:72
	ds_store_b32 v14, v40 offset:536
	v_add_co_u32 v40, s1, v2, s29
	ds_load_b32 v33, v13 offset:76
	ds_store_b32 v14, v41 offset:804
	s_waitcnt lgkmcnt(0)
	s_barrier
	buffer_gl0_inv
	ds_load_2addr_b32 v[54:55], v12 offset1:1
	ds_load_2addr_b32 v[56:57], v12 offset0:2 offset1:3
	s_waitcnt lgkmcnt(0)
	s_barrier
	buffer_gl0_inv
	global_load_b32 v34, v[34:35], off
	v_add_co_ci_u32_e64 v41, s1, s28, v3, s1
	s_clause 0x2
	global_load_b32 v36, v[36:37], off
	global_load_b32 v35, v[38:39], off
	;; [unrolled: 1-line block ×3, first 2 shown]
	ds_load_b32 v39, v8
	ds_load_b32 v38, v13 offset:128
	v_add_co_u32 v43, s1, v2, s38
	s_delay_alu instid0(VALU_DEP_1) | instskip(SKIP_1) | instid1(VALU_DEP_1)
	v_add_co_ci_u32_e64 v44, s1, s37, v3, s1
	v_add_co_u32 v46, s1, v2, s36
	v_add_co_ci_u32_e64 v47, s1, s35, v3, s1
	v_add_co_u32 v48, s1, v2, s31
	s_delay_alu instid0(VALU_DEP_1) | instskip(SKIP_1) | instid1(VALU_DEP_1)
	v_add_co_ci_u32_e64 v49, s1, s30, v3, s1
	v_add_co_u32 v58, s1, v2, s34
	v_add_co_ci_u32_e64 v59, s1, s33, v3, s1
	v_add_f32_e32 v54, 0, v54
	s_delay_alu instid0(VALU_DEP_1)
	v_add_f32_e32 v51, v54, v55
	s_waitcnt vmcnt(3) lgkmcnt(1)
	v_mul_f32_e32 v40, v34, v39
	s_waitcnt vmcnt(2)
	v_mul_f32_e32 v41, v36, v39
	s_waitcnt vmcnt(1)
	;; [unrolled: 2-line block ×3, first 2 shown]
	v_mul_f32_e32 v39, v37, v39
	ds_store_b32 v14, v40
	ds_load_b32 v40, v13 offset:132
	ds_store_b32 v14, v41 offset:268
	ds_load_b32 v41, v13 offset:136
	ds_store_b32 v14, v42 offset:536
	;; [unrolled: 2-line block ×3, first 2 shown]
	s_waitcnt lgkmcnt(0)
	s_barrier
	buffer_gl0_inv
	ds_load_2addr_b32 v[60:61], v12 offset1:1
	ds_load_2addr_b32 v[62:63], v12 offset0:2 offset1:3
	s_waitcnt lgkmcnt(0)
	s_barrier
	buffer_gl0_inv
	s_clause 0x3
	global_load_b32 v45, v[43:44], off
	global_load_b32 v44, v[46:47], off
	;; [unrolled: 1-line block ×4, first 2 shown]
	ds_load_b32 v47, v8
	ds_load_b32 v46, v13 offset:192
	v_add_f32_e32 v60, 0, v60
	s_delay_alu instid0(VALU_DEP_1) | instskip(NEXT) | instid1(VALU_DEP_1)
	v_add_f32_e32 v54, v60, v61
	v_add_f32_e32 v52, v54, v62
	s_delay_alu instid0(VALU_DEP_1)
	v_add_f32_e32 v52, v52, v63
	s_waitcnt vmcnt(3) lgkmcnt(1)
	v_mul_f32_e32 v48, v45, v47
	s_waitcnt vmcnt(2)
	v_mul_f32_e32 v58, v44, v47
	s_waitcnt vmcnt(1)
	;; [unrolled: 2-line block ×3, first 2 shown]
	v_mul_f32_e32 v64, v39, v47
	ds_store_b32 v14, v48
	ds_load_b32 v49, v13 offset:196
	ds_store_b32 v14, v58 offset:268
	ds_load_b32 v48, v13 offset:200
	ds_store_b32 v14, v59 offset:536
	;; [unrolled: 2-line block ×3, first 2 shown]
	s_waitcnt lgkmcnt(0)
	s_barrier
	buffer_gl0_inv
	ds_load_2addr_b32 v[58:59], v12 offset1:1
	ds_load_2addr_b32 v[64:65], v12 offset0:2 offset1:3
	s_waitcnt lgkmcnt(0)
	s_barrier
	buffer_gl0_inv
	v_add_f32_e32 v58, 0, v58
	s_delay_alu instid0(VALU_DEP_1) | instskip(NEXT) | instid1(VALU_DEP_1)
	v_add_f32_e32 v55, v58, v59
	v_add_f32_e32 v54, v55, v64
	;; [unrolled: 1-line block ×3, first 2 shown]
	s_delay_alu instid0(VALU_DEP_2) | instskip(NEXT) | instid1(VALU_DEP_2)
	v_add_f32_e32 v53, v54, v65
	v_add_f32_e32 v51, v51, v57
	ds_store_2addr_b32 v17, v50, v51 offset1:16
	ds_store_2addr_b32 v17, v52, v53 offset0:32 offset1:48
	s_waitcnt lgkmcnt(0)
	s_barrier
	buffer_gl0_inv
	s_and_saveexec_b32 s17, s0
	s_cbranch_execz .LBB83_69
; %bb.73:                               ;   in Loop: Header=BB83_70 Depth=1
	ds_load_2addr_b32 v[50:51], v9 offset1:1
	ds_load_2addr_b32 v[52:53], v9 offset0:2 offset1:3
	ds_load_2addr_b32 v[54:55], v9 offset0:4 offset1:5
	;; [unrolled: 1-line block ×3, first 2 shown]
	s_waitcnt lgkmcnt(3)
	v_add_f32_e32 v50, v50, v51
	s_waitcnt lgkmcnt(2)
	s_delay_alu instid0(VALU_DEP_1) | instskip(NEXT) | instid1(VALU_DEP_1)
	v_add_f32_e32 v50, v50, v52
	v_add_f32_e32 v50, v50, v53
	s_waitcnt lgkmcnt(1)
	s_delay_alu instid0(VALU_DEP_1) | instskip(SKIP_3) | instid1(VALU_DEP_1)
	v_add_f32_e32 v52, v50, v54
	ds_load_2addr_b32 v[50:51], v9 offset0:8 offset1:9
	v_add_f32_e32 v52, v52, v55
	s_waitcnt lgkmcnt(1)
	v_add_f32_e32 v54, v52, v56
	ds_load_2addr_b32 v[52:53], v9 offset0:10 offset1:11
	v_add_f32_e32 v56, v54, v57
	ds_load_2addr_b32 v[54:55], v9 offset0:12 offset1:13
	ds_load_b32 v57, v9 offset:56
	s_waitcnt lgkmcnt(3)
	v_add_f32_e32 v50, v56, v50
	s_delay_alu instid0(VALU_DEP_1) | instskip(SKIP_1) | instid1(VALU_DEP_1)
	v_add_f32_e32 v50, v50, v51
	s_waitcnt lgkmcnt(2)
	v_add_f32_e32 v50, v50, v52
	ds_load_b32 v52, v10
	v_add_f32_e32 v50, v50, v53
	s_waitcnt lgkmcnt(2)
	s_delay_alu instid0(VALU_DEP_1) | instskip(NEXT) | instid1(VALU_DEP_1)
	v_add_f32_e32 v50, v50, v54
	v_add_f32_e32 v50, v50, v55
	s_waitcnt lgkmcnt(1)
	s_delay_alu instid0(VALU_DEP_1) | instskip(SKIP_2) | instid1(VALU_DEP_2)
	v_add_f32_e32 v53, v50, v57
	v_lshlrev_b64 v[50:51], 2, v[0:1]
	s_waitcnt lgkmcnt(0)
	v_add_f32_e32 v52, v53, v52
	s_delay_alu instid0(VALU_DEP_2) | instskip(NEXT) | instid1(VALU_DEP_1)
	v_add_co_u32 v50, s1, s15, v50
	v_add_co_ci_u32_e64 v51, s1, s20, v51, s1
	global_store_b32 v[50:51], v52, off
	s_branch .LBB83_69
.LBB83_74:
	v_mad_u32_u24 v0, 0x10c, v15, v11
	s_or_b32 s0, s2, vcc_lo
	s_delay_alu instid0(SALU_CYCLE_1)
	s_xor_b32 s0, s0, -1
	ds_store_b32 v0, v16
	s_waitcnt lgkmcnt(0)
	s_barrier
	buffer_gl0_inv
	s_and_saveexec_b32 s1, s0
	s_cbranch_execz .LBB83_76
; %bb.75:
	ds_load_2addr_b32 v[0:1], v11 offset1:67
	ds_load_2addr_b32 v[2:3], v11 offset0:134 offset1:201
	v_ashrrev_i32_e32 v5, 31, v4
	s_waitcnt lgkmcnt(1)
	v_add_f32_e32 v0, v0, v1
	s_waitcnt lgkmcnt(0)
	s_delay_alu instid0(VALU_DEP_1) | instskip(SKIP_1) | instid1(VALU_DEP_2)
	v_add_f32_e32 v2, v0, v2
	v_lshlrev_b64 v[0:1], 2, v[4:5]
	v_add_f32_e32 v2, v2, v3
	s_delay_alu instid0(VALU_DEP_2) | instskip(NEXT) | instid1(VALU_DEP_3)
	v_add_co_u32 v0, vcc_lo, s15, v0
	v_add_co_ci_u32_e32 v1, vcc_lo, s20, v1, vcc_lo
	global_store_b32 v[0:1], v2, off
.LBB83_76:
	s_nop 0
	s_sendmsg sendmsg(MSG_DEALLOC_VGPRS)
	s_endpgm
	.section	.rodata,"a",@progbits
	.p2align	6, 0x0
	.amdhsa_kernel _ZL26rocblas_hemvn_kernel_lowerILb0ELi64ELi4ELi33ELi32ELi16EiPKfS1_PfEviT6_lT7_lT5_lS4_lS5_lS3_lT8_i
		.amdhsa_group_segment_fixed_size 4800
		.amdhsa_private_segment_fixed_size 0
		.amdhsa_kernarg_size 376
		.amdhsa_user_sgpr_count 14
		.amdhsa_user_sgpr_dispatch_ptr 0
		.amdhsa_user_sgpr_queue_ptr 0
		.amdhsa_user_sgpr_kernarg_segment_ptr 1
		.amdhsa_user_sgpr_dispatch_id 0
		.amdhsa_user_sgpr_private_segment_size 0
		.amdhsa_wavefront_size32 1
		.amdhsa_uses_dynamic_stack 0
		.amdhsa_enable_private_segment 0
		.amdhsa_system_sgpr_workgroup_id_x 1
		.amdhsa_system_sgpr_workgroup_id_y 0
		.amdhsa_system_sgpr_workgroup_id_z 1
		.amdhsa_system_sgpr_workgroup_info 0
		.amdhsa_system_vgpr_workitem_id 1
		.amdhsa_next_free_vgpr 66
		.amdhsa_next_free_sgpr 46
		.amdhsa_reserve_vcc 1
		.amdhsa_float_round_mode_32 0
		.amdhsa_float_round_mode_16_64 0
		.amdhsa_float_denorm_mode_32 3
		.amdhsa_float_denorm_mode_16_64 3
		.amdhsa_dx10_clamp 1
		.amdhsa_ieee_mode 1
		.amdhsa_fp16_overflow 0
		.amdhsa_workgroup_processor_mode 1
		.amdhsa_memory_ordered 1
		.amdhsa_forward_progress 0
		.amdhsa_shared_vgpr_count 0
		.amdhsa_exception_fp_ieee_invalid_op 0
		.amdhsa_exception_fp_denorm_src 0
		.amdhsa_exception_fp_ieee_div_zero 0
		.amdhsa_exception_fp_ieee_overflow 0
		.amdhsa_exception_fp_ieee_underflow 0
		.amdhsa_exception_fp_ieee_inexact 0
		.amdhsa_exception_int_div_zero 0
	.end_amdhsa_kernel
	.section	.text._ZL26rocblas_hemvn_kernel_lowerILb0ELi64ELi4ELi33ELi32ELi16EiPKfS1_PfEviT6_lT7_lT5_lS4_lS5_lS3_lT8_i,"axG",@progbits,_ZL26rocblas_hemvn_kernel_lowerILb0ELi64ELi4ELi33ELi32ELi16EiPKfS1_PfEviT6_lT7_lT5_lS4_lS5_lS3_lT8_i,comdat
.Lfunc_end83:
	.size	_ZL26rocblas_hemvn_kernel_lowerILb0ELi64ELi4ELi33ELi32ELi16EiPKfS1_PfEviT6_lT7_lT5_lS4_lS5_lS3_lT8_i, .Lfunc_end83-_ZL26rocblas_hemvn_kernel_lowerILb0ELi64ELi4ELi33ELi32ELi16EiPKfS1_PfEviT6_lT7_lT5_lS4_lS5_lS3_lT8_i
                                        ; -- End function
	.section	.AMDGPU.csdata,"",@progbits
; Kernel info:
; codeLenInByte = 6640
; NumSgprs: 48
; NumVgprs: 66
; ScratchSize: 0
; MemoryBound: 0
; FloatMode: 240
; IeeeMode: 1
; LDSByteSize: 4800 bytes/workgroup (compile time only)
; SGPRBlocks: 5
; VGPRBlocks: 8
; NumSGPRsForWavesPerEU: 48
; NumVGPRsForWavesPerEU: 66
; Occupancy: 16
; WaveLimiterHint : 1
; COMPUTE_PGM_RSRC2:SCRATCH_EN: 0
; COMPUTE_PGM_RSRC2:USER_SGPR: 14
; COMPUTE_PGM_RSRC2:TRAP_HANDLER: 0
; COMPUTE_PGM_RSRC2:TGID_X_EN: 1
; COMPUTE_PGM_RSRC2:TGID_Y_EN: 0
; COMPUTE_PGM_RSRC2:TGID_Z_EN: 1
; COMPUTE_PGM_RSRC2:TIDIG_COMP_CNT: 1
	.section	.text._ZL36rocblas_hemvn_kernel_lower_block_sumILi64EiPKfPffEviT1_lS3_lT2_lT0_lPT3_i,"axG",@progbits,_ZL36rocblas_hemvn_kernel_lower_block_sumILi64EiPKfPffEviT1_lS3_lT2_lT0_lPT3_i,comdat
	.globl	_ZL36rocblas_hemvn_kernel_lower_block_sumILi64EiPKfPffEviT1_lS3_lT2_lT0_lPT3_i ; -- Begin function _ZL36rocblas_hemvn_kernel_lower_block_sumILi64EiPKfPffEviT1_lS3_lT2_lT0_lPT3_i
	.p2align	8
	.type	_ZL36rocblas_hemvn_kernel_lower_block_sumILi64EiPKfPffEviT1_lS3_lT2_lT0_lPT3_i,@function
_ZL36rocblas_hemvn_kernel_lower_block_sumILi64EiPKfPffEviT1_lS3_lT2_lT0_lPT3_i: ; @_ZL36rocblas_hemvn_kernel_lower_block_sumILi64EiPKfPffEviT1_lS3_lT2_lT0_lPT3_i
; %bb.0:
	s_load_b256 s[4:11], s[0:1], 0x8
	s_waitcnt lgkmcnt(0)
	s_mul_i32 s3, s15, s7
	s_mul_hi_u32 s7, s15, s6
	s_mul_i32 s2, s15, s6
	s_add_i32 s3, s7, s3
	s_mul_i32 s6, s15, s11
	s_lshl_b64 s[2:3], s[2:3], 2
	s_mul_hi_u32 s7, s15, s10
	s_add_u32 s2, s4, s2
	s_addc_u32 s3, s5, s3
	s_add_i32 s5, s7, s6
	s_mul_i32 s4, s15, s10
	s_delay_alu instid0(SALU_CYCLE_1) | instskip(NEXT) | instid1(SALU_CYCLE_1)
	s_lshl_b64 s[4:5], s[4:5], 2
	s_add_u32 s4, s8, s4
	s_addc_u32 s5, s9, s5
	s_load_b32 s3, s[2:3], 0x0
	s_load_b32 s8, s[4:5], 0x0
	s_mov_b32 s9, 0
	s_waitcnt lgkmcnt(0)
	v_cmp_eq_f32_e64 s2, s3, 0
	v_cmp_eq_f32_e64 s4, s8, 1.0
	s_delay_alu instid0(VALU_DEP_1) | instskip(NEXT) | instid1(SALU_CYCLE_1)
	s_and_b32 s2, s2, s4
	s_and_b32 vcc_lo, exec_lo, s2
	s_cbranch_vccnz .LBB84_19
; %bb.1:
	s_clause 0x3
	s_load_b64 s[6:7], s[0:1], 0x40
	s_load_b128 s[16:19], s[0:1], 0x28
	s_load_b32 s10, s[0:1], 0x38
	s_load_b32 s4, s[0:1], 0x0
	v_lshl_or_b32 v0, s14, 6, v0
	s_waitcnt lgkmcnt(0)
	s_mul_i32 s2, s15, s7
	s_mul_hi_u32 s5, s15, s6
	s_mul_i32 s6, s15, s6
	s_add_i32 s7, s5, s2
	v_cmp_neq_f32_e64 s2, s3, 0
	s_lshl_b64 s[6:7], s[6:7], 2
	s_delay_alu instid0(SALU_CYCLE_1) | instskip(SKIP_2) | instid1(SALU_CYCLE_1)
	s_add_u32 s5, s16, s6
	s_addc_u32 s11, s17, s7
	s_lshl_b64 s[6:7], s[18:19], 2
	s_add_u32 s6, s5, s6
	s_addc_u32 s7, s11, s7
	s_and_b32 vcc_lo, exec_lo, s2
	v_cmp_gt_i32_e64 s2, s4, v0
	s_cbranch_vccnz .LBB84_6
; %bb.2:
	s_mov_b32 s5, 0
                                        ; implicit-def: $vgpr3
                                        ; implicit-def: $vgpr1_vgpr2
	s_delay_alu instid0(VALU_DEP_1)
	s_and_saveexec_b32 s11, s2
	s_cbranch_execz .LBB84_7
; %bb.3:
	v_mul_lo_u32 v1, v0, s10
	v_cmp_eq_f32_e64 s2, s8, 0
	v_mov_b32_e32 v3, 0
	s_delay_alu instid0(VALU_DEP_2) | instskip(NEXT) | instid1(VALU_DEP_3)
	s_and_b32 vcc_lo, exec_lo, s2
	v_ashrrev_i32_e32 v2, 31, v1
	s_cbranch_vccnz .LBB84_5
; %bb.4:
	s_delay_alu instid0(VALU_DEP_1) | instskip(NEXT) | instid1(VALU_DEP_1)
	v_lshlrev_b64 v[3:4], 2, v[1:2]
	v_add_co_u32 v3, vcc_lo, s6, v3
	s_delay_alu instid0(VALU_DEP_2)
	v_add_co_ci_u32_e32 v4, vcc_lo, s7, v4, vcc_lo
	global_load_b32 v3, v[3:4], off
	s_waitcnt vmcnt(0)
	v_mul_f32_e32 v3, s8, v3
.LBB84_5:
	s_mov_b32 s9, exec_lo
	s_or_b32 exec_lo, exec_lo, s11
	s_delay_alu instid0(SALU_CYCLE_1)
	s_and_b32 vcc_lo, exec_lo, s5
	s_cbranch_vccnz .LBB84_8
	s_branch .LBB84_17
.LBB84_6:
                                        ; implicit-def: $vgpr3
                                        ; implicit-def: $vgpr1_vgpr2
	s_cbranch_execnz .LBB84_8
	s_branch .LBB84_17
.LBB84_7:
	s_or_b32 exec_lo, exec_lo, s11
	s_delay_alu instid0(SALU_CYCLE_1)
	s_and_b32 vcc_lo, exec_lo, s5
	s_cbranch_vccz .LBB84_17
.LBB84_8:
	s_mov_b32 s2, exec_lo
                                        ; implicit-def: $vgpr3
                                        ; implicit-def: $vgpr1_vgpr2
	v_cmpx_gt_i32_e64 s4, v0
	s_cbranch_execz .LBB84_16
; %bb.9:
	s_load_b32 s11, s[0:1], 0x58
	v_mov_b32_e32 v4, 0
	s_waitcnt lgkmcnt(0)
	s_cmp_ge_i32 s14, s11
	s_cbranch_scc1 .LBB84_12
; %bb.10:
	s_load_b64 s[0:1], s[0:1], 0x48
	v_mad_u64_u32 v[1:2], null, s14, s4, v[0:1]
	s_ashr_i32 s5, s4, 31
	s_mul_hi_u32 s12, s4, s15
	s_mul_i32 s13, s5, s15
	s_mul_i32 s15, s4, s15
	s_add_i32 s12, s12, s13
	s_mul_hi_u32 s13, s15, s11
	s_delay_alu instid0(VALU_DEP_1)
	v_ashrrev_i32_e32 v2, 31, v1
	s_mul_i32 s16, s12, s11
	s_mul_i32 s12, s15, s11
	s_add_i32 s13, s13, s16
	v_mov_b32_e32 v4, 0
	v_lshlrev_b64 v[1:2], 2, v[1:2]
	s_lshl_b64 s[12:13], s[12:13], 2
	s_waitcnt lgkmcnt(0)
	s_add_u32 s0, s0, s12
	s_addc_u32 s1, s1, s13
	s_delay_alu instid0(VALU_DEP_1)
	v_add_co_u32 v1, vcc_lo, s0, v1
	v_add_co_ci_u32_e32 v2, vcc_lo, s1, v2, vcc_lo
	s_lshl_b64 s[0:1], s[4:5], 2
.LBB84_11:                              ; =>This Inner Loop Header: Depth=1
	global_load_b32 v3, v[1:2], off
	v_add_co_u32 v1, vcc_lo, v1, s0
	v_add_co_ci_u32_e32 v2, vcc_lo, s1, v2, vcc_lo
	s_add_i32 s14, s14, 1
	s_delay_alu instid0(SALU_CYCLE_1)
	s_cmp_ge_i32 s14, s11
	s_waitcnt vmcnt(0)
	v_add_f32_e32 v4, v4, v3
	s_cbranch_scc0 .LBB84_11
.LBB84_12:
	v_mul_lo_u32 v1, v0, s10
	v_cmp_eq_f32_e64 s0, s8, 0
	s_delay_alu instid0(VALU_DEP_1) | instskip(SKIP_1) | instid1(VALU_DEP_2)
	s_and_b32 vcc_lo, exec_lo, s0
	s_mov_b32 s0, 0
	v_ashrrev_i32_e32 v2, 31, v1
	s_cbranch_vccz .LBB84_20
; %bb.13:
	v_mul_f32_e32 v3, s3, v4
	s_and_not1_b32 vcc_lo, exec_lo, s0
	s_cbranch_vccnz .LBB84_15
.LBB84_14:
	s_delay_alu instid0(VALU_DEP_1) | instskip(NEXT) | instid1(VALU_DEP_1)
	v_lshlrev_b64 v[5:6], 2, v[1:2]
	v_add_co_u32 v5, vcc_lo, s6, v5
	s_delay_alu instid0(VALU_DEP_2) | instskip(SKIP_3) | instid1(VALU_DEP_1)
	v_add_co_ci_u32_e32 v6, vcc_lo, s7, v6, vcc_lo
	global_load_b32 v0, v[5:6], off
	s_waitcnt vmcnt(0)
	v_mul_f32_e32 v3, s8, v0
	v_fmac_f32_e32 v3, s3, v4
.LBB84_15:
	s_or_b32 s9, s9, exec_lo
.LBB84_16:
	s_or_b32 exec_lo, exec_lo, s2
.LBB84_17:
	s_and_saveexec_b32 s0, s9
	s_cbranch_execz .LBB84_19
; %bb.18:
	v_lshlrev_b64 v[0:1], 2, v[1:2]
	s_delay_alu instid0(VALU_DEP_1) | instskip(NEXT) | instid1(VALU_DEP_2)
	v_add_co_u32 v0, vcc_lo, s6, v0
	v_add_co_ci_u32_e32 v1, vcc_lo, s7, v1, vcc_lo
	global_store_b32 v[0:1], v3, off
.LBB84_19:
	s_nop 0
	s_sendmsg sendmsg(MSG_DEALLOC_VGPRS)
	s_endpgm
.LBB84_20:
                                        ; implicit-def: $vgpr3
	s_branch .LBB84_14
	.section	.rodata,"a",@progbits
	.p2align	6, 0x0
	.amdhsa_kernel _ZL36rocblas_hemvn_kernel_lower_block_sumILi64EiPKfPffEviT1_lS3_lT2_lT0_lPT3_i
		.amdhsa_group_segment_fixed_size 0
		.amdhsa_private_segment_fixed_size 0
		.amdhsa_kernarg_size 344
		.amdhsa_user_sgpr_count 14
		.amdhsa_user_sgpr_dispatch_ptr 0
		.amdhsa_user_sgpr_queue_ptr 0
		.amdhsa_user_sgpr_kernarg_segment_ptr 1
		.amdhsa_user_sgpr_dispatch_id 0
		.amdhsa_user_sgpr_private_segment_size 0
		.amdhsa_wavefront_size32 1
		.amdhsa_uses_dynamic_stack 0
		.amdhsa_enable_private_segment 0
		.amdhsa_system_sgpr_workgroup_id_x 1
		.amdhsa_system_sgpr_workgroup_id_y 0
		.amdhsa_system_sgpr_workgroup_id_z 1
		.amdhsa_system_sgpr_workgroup_info 0
		.amdhsa_system_vgpr_workitem_id 0
		.amdhsa_next_free_vgpr 7
		.amdhsa_next_free_sgpr 20
		.amdhsa_reserve_vcc 1
		.amdhsa_float_round_mode_32 0
		.amdhsa_float_round_mode_16_64 0
		.amdhsa_float_denorm_mode_32 3
		.amdhsa_float_denorm_mode_16_64 3
		.amdhsa_dx10_clamp 1
		.amdhsa_ieee_mode 1
		.amdhsa_fp16_overflow 0
		.amdhsa_workgroup_processor_mode 1
		.amdhsa_memory_ordered 1
		.amdhsa_forward_progress 0
		.amdhsa_shared_vgpr_count 0
		.amdhsa_exception_fp_ieee_invalid_op 0
		.amdhsa_exception_fp_denorm_src 0
		.amdhsa_exception_fp_ieee_div_zero 0
		.amdhsa_exception_fp_ieee_overflow 0
		.amdhsa_exception_fp_ieee_underflow 0
		.amdhsa_exception_fp_ieee_inexact 0
		.amdhsa_exception_int_div_zero 0
	.end_amdhsa_kernel
	.section	.text._ZL36rocblas_hemvn_kernel_lower_block_sumILi64EiPKfPffEviT1_lS3_lT2_lT0_lPT3_i,"axG",@progbits,_ZL36rocblas_hemvn_kernel_lower_block_sumILi64EiPKfPffEviT1_lS3_lT2_lT0_lPT3_i,comdat
.Lfunc_end84:
	.size	_ZL36rocblas_hemvn_kernel_lower_block_sumILi64EiPKfPffEviT1_lS3_lT2_lT0_lPT3_i, .Lfunc_end84-_ZL36rocblas_hemvn_kernel_lower_block_sumILi64EiPKfPffEviT1_lS3_lT2_lT0_lPT3_i
                                        ; -- End function
	.section	.AMDGPU.csdata,"",@progbits
; Kernel info:
; codeLenInByte = 740
; NumSgprs: 22
; NumVgprs: 7
; ScratchSize: 0
; MemoryBound: 0
; FloatMode: 240
; IeeeMode: 1
; LDSByteSize: 0 bytes/workgroup (compile time only)
; SGPRBlocks: 2
; VGPRBlocks: 0
; NumSGPRsForWavesPerEU: 22
; NumVGPRsForWavesPerEU: 7
; Occupancy: 16
; WaveLimiterHint : 0
; COMPUTE_PGM_RSRC2:SCRATCH_EN: 0
; COMPUTE_PGM_RSRC2:USER_SGPR: 14
; COMPUTE_PGM_RSRC2:TRAP_HANDLER: 0
; COMPUTE_PGM_RSRC2:TGID_X_EN: 1
; COMPUTE_PGM_RSRC2:TGID_Y_EN: 0
; COMPUTE_PGM_RSRC2:TGID_Z_EN: 1
; COMPUTE_PGM_RSRC2:TIDIG_COMP_CNT: 0
	.section	.text._ZL26rocblas_hemvn_kernel_lowerILb0ELi64ELi4ELi33ELi32ELi16ElfPKfPfEviT6_lT7_lT5_lS4_lS5_lS3_lT8_i,"axG",@progbits,_ZL26rocblas_hemvn_kernel_lowerILb0ELi64ELi4ELi33ELi32ELi16ElfPKfPfEviT6_lT7_lT5_lS4_lS5_lS3_lT8_i,comdat
	.globl	_ZL26rocblas_hemvn_kernel_lowerILb0ELi64ELi4ELi33ELi32ELi16ElfPKfPfEviT6_lT7_lT5_lS4_lS5_lS3_lT8_i ; -- Begin function _ZL26rocblas_hemvn_kernel_lowerILb0ELi64ELi4ELi33ELi32ELi16ElfPKfPfEviT6_lT7_lT5_lS4_lS5_lS3_lT8_i
	.p2align	8
	.type	_ZL26rocblas_hemvn_kernel_lowerILb0ELi64ELi4ELi33ELi32ELi16ElfPKfPfEviT6_lT7_lT5_lS4_lS5_lS3_lT8_i,@function
_ZL26rocblas_hemvn_kernel_lowerILb0ELi64ELi4ELi33ELi32ELi16ElfPKfPfEviT6_lT7_lT5_lS4_lS5_lS3_lT8_i: ; @_ZL26rocblas_hemvn_kernel_lowerILb0ELi64ELi4ELi33ELi32ELi16ElfPKfPfEviT6_lT7_lT5_lS4_lS5_lS3_lT8_i
; %bb.0:
	s_load_b64 s[4:5], s[0:1], 0x7c
	s_add_u32 s2, s0, 0x70
	s_addc_u32 s3, s1, 0
	s_waitcnt lgkmcnt(0)
	s_lshr_b32 s6, s4, 16
	s_and_b32 s4, s4, 0xffff
	s_and_b32 s5, s5, 0xffff
	s_mul_i32 s4, s6, s4
	s_delay_alu instid0(SALU_CYCLE_1) | instskip(NEXT) | instid1(SALU_CYCLE_1)
	s_mul_i32 s4, s4, s5
	s_cmpk_lg_i32 s4, 0x100
	s_cbranch_scc1 .LBB85_76
; %bb.1:
	s_clause 0x1
	s_load_b64 s[34:35], s[0:1], 0x0
	s_load_b32 s5, s[0:1], 0x50
	s_waitcnt lgkmcnt(0)
	v_cmp_eq_f32_e64 s4, s35, 0
	v_cmp_eq_f32_e64 s5, s5, 1.0
	s_delay_alu instid0(VALU_DEP_1) | instskip(NEXT) | instid1(SALU_CYCLE_1)
	s_and_b32 s5, s4, s5
	s_and_b32 vcc_lo, exec_lo, s5
	s_cbranch_vccnz .LBB85_76
; %bb.2:
	s_and_b32 vcc_lo, exec_lo, s4
	s_cbranch_vccnz .LBB85_76
; %bb.3:
	s_load_b512 s[16:31], s[0:1], 0x10
	v_and_b32_e32 v18, 0x3ff, v0
	v_bfe_u32 v16, v0, 10, 10
	s_waitcnt lgkmcnt(0)
	s_mul_i32 s5, s15, s31
	s_mul_hi_u32 s6, s15, s30
	s_mul_i32 s4, s15, s30
	s_add_i32 s5, s6, s5
	s_delay_alu instid0(SALU_CYCLE_1) | instskip(NEXT) | instid1(SALU_CYCLE_1)
	s_lshl_b64 s[4:5], s[4:5], 2
	s_add_u32 s6, s24, s4
	s_addc_u32 s7, s25, s5
	s_lshl_b64 s[4:5], s[26:27], 2
	s_load_b32 s26, s[2:3], 0x0
	s_add_u32 s4, s6, s4
	s_addc_u32 s5, s7, s5
	s_lshl_b32 s12, s14, 6
	s_ashr_i32 s27, s34, 31
	v_add_nc_u32_e32 v4, s12, v18
	s_lshr_b32 s2, s27, 26
	s_delay_alu instid0(SALU_CYCLE_1) | instskip(SKIP_1) | instid1(VALU_DEP_2)
	s_add_i32 s3, s34, s2
	v_cmp_ne_u32_e64 s2, 0, v16
	v_ashrrev_i32_e32 v5, 31, v4
	v_mul_lo_u32 v3, v4, s29
	v_mad_u64_u32 v[1:2], null, v4, s28, 0
	s_and_not1_b32 s3, s3, 63
	s_delay_alu instid0(VALU_DEP_3) | instskip(SKIP_4) | instid1(SALU_CYCLE_1)
	v_mul_lo_u32 v6, v5, s28
	s_sub_i32 s7, s34, s3
	v_cmp_eq_u32_e64 s3, 0, v16
	s_waitcnt lgkmcnt(0)
	s_add_i32 s6, s26, -1
	s_cmp_eq_u32 s14, s6
	s_delay_alu instid0(VALU_DEP_2) | instskip(SKIP_1) | instid1(VALU_DEP_1)
	v_add3_u32 v2, v2, v3, v6
	s_cselect_b32 s24, s7, 0
	v_lshlrev_b64 v[0:1], 2, v[1:2]
	s_delay_alu instid0(VALU_DEP_1) | instskip(NEXT) | instid1(VALU_DEP_2)
	v_add_co_u32 v6, vcc_lo, s4, v0
	v_add_co_ci_u32_e32 v7, vcc_lo, s5, v1, vcc_lo
	s_and_saveexec_b32 s4, s3
	s_cbranch_execz .LBB85_7
; %bb.4:
	v_cmp_gt_i32_e32 vcc_lo, s24, v18
	s_cmp_eq_u32 s24, 0
	v_mov_b32_e32 v0, 0
	s_cselect_b32 s5, -1, 0
	s_delay_alu instid0(SALU_CYCLE_1) | instskip(NEXT) | instid1(SALU_CYCLE_1)
	s_or_b32 s6, s5, vcc_lo
	s_and_saveexec_b32 s5, s6
	s_cbranch_execz .LBB85_6
; %bb.5:
	global_load_b32 v0, v[6:7], off
.LBB85_6:
	s_or_b32 exec_lo, exec_lo, s5
	v_lshlrev_b32_e32 v1, 2, v18
	s_waitcnt vmcnt(0)
	ds_store_b32 v1, v0 offset:4544
.LBB85_7:
	s_or_b32 exec_lo, exec_lo, s4
	v_lshl_add_u32 v19, v16, 6, v18
	v_dual_mov_b32 v1, 0 :: v_dual_and_b32 v0, 31, v18
	s_mul_i32 s5, s15, s23
	s_mul_hi_u32 s6, s15, s22
	s_delay_alu instid0(VALU_DEP_2)
	v_lshrrev_b32_e32 v3, 5, v19
	s_mul_i32 s4, s15, s22
	s_add_i32 s5, s6, s5
	s_mul_i32 s8, s12, s21
	s_lshl_b64 s[4:5], s[4:5], 2
	v_mad_u64_u32 v[8:9], null, v3, s20, v[0:1]
	s_add_u32 s6, s16, s4
	s_addc_u32 s7, s17, s5
	s_lshl_b64 s[4:5], s[18:19], 2
	s_mul_hi_u32 s9, s12, s20
	s_add_u32 s6, s6, s4
	s_addc_u32 s7, s7, s5
	s_delay_alu instid0(VALU_DEP_1) | instskip(SKIP_1) | instid1(SALU_CYCLE_1)
	v_mov_b32_e32 v1, v9
	s_ashr_i32 s13, s12, 31
	s_lshl_b64 s[4:5], s[12:13], 2
	s_mul_i32 s10, s13, s20
	s_delay_alu instid0(VALU_DEP_1)
	v_mad_u64_u32 v[9:10], null, v3, s21, v[1:2]
	s_add_u32 s6, s6, s4
	s_addc_u32 s7, s7, s5
	s_add_i32 s5, s9, s8
	s_mul_i32 s4, s12, s20
	s_add_i32 s5, s5, s10
	s_delay_alu instid0(SALU_CYCLE_1) | instskip(NEXT) | instid1(VALU_DEP_1)
	s_lshl_b64 s[16:17], s[4:5], 2
	v_lshlrev_b64 v[8:9], 2, v[8:9]
	s_add_u32 s4, s16, s6
	s_addc_u32 s5, s17, s7
	s_cmp_lg_u32 s24, 0
	s_cselect_b32 s30, -1, 0
	s_delay_alu instid0(VALU_DEP_1)
	v_add_co_u32 v1, vcc_lo, s4, v8
	v_add_co_ci_u32_e32 v2, vcc_lo, s5, v9, vcc_lo
	s_cmp_eq_u32 s24, 0
	s_mov_b32 s4, 0
	s_cselect_b32 s9, -1, 0
	s_and_b32 vcc_lo, exec_lo, s30
	s_cbranch_vccnz .LBB85_9
; %bb.8:
	v_mad_u64_u32 v[10:11], null, 0x60, s20, v[1:2]
	s_lshl_b64 s[6:7], s[20:21], 5
	s_delay_alu instid0(VALU_DEP_1) | instskip(SKIP_2) | instid1(VALU_DEP_2)
	v_mad_u64_u32 v[12:13], null, 0x60, s21, v[11:12]
	v_add_co_u32 v13, vcc_lo, v1, s6
	v_add_co_ci_u32_e32 v14, vcc_lo, s7, v2, vcc_lo
	v_add_co_u32 v20, vcc_lo, v13, s6
	s_delay_alu instid0(VALU_DEP_2)
	v_add_co_ci_u32_e32 v21, vcc_lo, s7, v14, vcc_lo
	v_mov_b32_e32 v11, v12
	s_clause 0x1
	global_load_b32 v12, v[1:2], off
	global_load_b32 v13, v[13:14], off
	;; [unrolled: 1-line block ×4, first 2 shown]
	v_mul_u32_u24_e32 v11, 33, v3
	s_delay_alu instid0(VALU_DEP_1)
	v_add_lshl_u32 v11, v11, v0, 2
	s_waitcnt vmcnt(3)
	ds_store_b32 v11, v12
	s_waitcnt vmcnt(2)
	ds_store_b32 v11, v13 offset:1056
	s_waitcnt vmcnt(1)
	ds_store_b32 v11, v14 offset:2112
	s_waitcnt vmcnt(0)
	ds_store_b32 v11, v10 offset:3168
	s_and_not1_b32 vcc_lo, exec_lo, s4
	s_cbranch_vccz .LBB85_10
	s_branch .LBB85_19
.LBB85_9:
.LBB85_10:
	v_lshlrev_b32_e32 v12, 2, v0
	s_ashr_i32 s25, s24, 31
	v_dual_mov_b32 v14, 0 :: v_dual_mov_b32 v15, 0
	s_lshl_b64 s[6:7], s[24:25], 2
	s_delay_alu instid0(VALU_DEP_2) | instskip(SKIP_2) | instid1(VALU_DEP_2)
	v_sub_co_u32 v10, vcc_lo, v1, v12
	v_subrev_co_ci_u32_e32 v11, vcc_lo, 0, v2, vcc_lo
	s_mov_b32 s5, exec_lo
	v_add_co_u32 v10, vcc_lo, v10, s6
	s_delay_alu instid0(VALU_DEP_2) | instskip(NEXT) | instid1(VALU_DEP_2)
	v_add_co_ci_u32_e32 v11, vcc_lo, s7, v11, vcc_lo
	v_add_co_u32 v10, vcc_lo, v10, -4
	s_delay_alu instid0(VALU_DEP_2) | instskip(SKIP_1) | instid1(VALU_DEP_2)
	v_add_co_ci_u32_e32 v11, vcc_lo, -1, v11, vcc_lo
	v_cmp_gt_i32_e32 vcc_lo, s24, v0
	v_dual_cndmask_b32 v11, v11, v2 :: v_dual_cndmask_b32 v10, v10, v1
	v_cmpx_gt_i32_e64 s24, v3
	s_cbranch_execz .LBB85_12
; %bb.11:
	global_load_b32 v15, v[10:11], off
.LBB85_12:
	s_or_b32 exec_lo, exec_lo, s5
	v_mul_u32_u24_e32 v13, 33, v3
	v_add_nc_u32_e32 v17, 8, v3
	s_mov_b32 s5, exec_lo
	s_delay_alu instid0(VALU_DEP_2)
	v_add_lshl_u32 v13, v13, v0, 2
	s_waitcnt vmcnt(0)
	ds_store_b32 v13, v15
	v_cmpx_gt_i32_e64 s24, v17
	s_cbranch_execz .LBB85_14
; %bb.13:
	s_lshl_b64 s[10:11], s[20:21], 5
	s_delay_alu instid0(SALU_CYCLE_1) | instskip(NEXT) | instid1(VALU_DEP_1)
	v_add_co_u32 v14, s4, v10, s10
	v_add_co_ci_u32_e64 v15, s4, s11, v11, s4
	global_load_b32 v14, v[14:15], off
.LBB85_14:
	s_or_b32 exec_lo, exec_lo, s5
	v_add_nc_u32_e32 v17, 16, v3
	v_mov_b32_e32 v15, 0
	s_waitcnt vmcnt(0)
	ds_store_b32 v13, v14 offset:1056
	v_cmp_gt_i32_e64 s4, s24, v17
	v_mov_b32_e32 v17, 0
	s_delay_alu instid0(VALU_DEP_2)
	s_and_saveexec_b32 s5, s4
	s_cbranch_execz .LBB85_16
; %bb.15:
	s_lshl_b64 s[10:11], s[20:21], 6
	s_delay_alu instid0(SALU_CYCLE_1) | instskip(NEXT) | instid1(VALU_DEP_1)
	v_add_co_u32 v20, s4, v10, s10
	v_add_co_ci_u32_e64 v21, s4, s11, v11, s4
	global_load_b32 v17, v[20:21], off
.LBB85_16:
	s_or_b32 exec_lo, exec_lo, s5
	v_add_nc_u32_e32 v14, 24, v3
	s_mov_b32 s5, exec_lo
	s_waitcnt vmcnt(0)
	ds_store_b32 v13, v17 offset:2112
	v_cmpx_gt_i32_e64 s24, v14
	s_cbranch_execz .LBB85_18
; %bb.17:
	v_mad_u64_u32 v[14:15], null, 0x60, s20, v[10:11]
	s_delay_alu instid0(VALU_DEP_1) | instskip(NEXT) | instid1(VALU_DEP_1)
	v_mad_u64_u32 v[20:21], null, 0x60, s21, v[15:16]
	v_mov_b32_e32 v15, v20
	global_load_b32 v15, v[14:15], off
.LBB85_18:
	s_or_b32 exec_lo, exec_lo, s5
	v_add_co_u32 v10, s4, v10, v12
	s_delay_alu instid0(VALU_DEP_1) | instskip(SKIP_3) | instid1(VALU_DEP_1)
	v_add_co_ci_u32_e64 v11, s4, 0, v11, s4
	s_waitcnt vmcnt(0)
	ds_store_b32 v13, v15 offset:3168
	v_sub_co_u32 v10, s4, v10, s6
	v_subrev_co_ci_u32_e64 v11, s4, s7, v11, s4
	s_delay_alu instid0(VALU_DEP_2) | instskip(NEXT) | instid1(VALU_DEP_1)
	v_add_co_u32 v10, s4, v10, 4
	v_add_co_ci_u32_e64 v11, s4, 0, v11, s4
	s_delay_alu instid0(VALU_DEP_1)
	v_dual_cndmask_b32 v1, v10, v1 :: v_dual_cndmask_b32 v2, v11, v2
.LBB85_19:
	v_lshlrev_b32_e32 v12, 2, v3
	v_mul_u32_u24_e32 v20, 33, v0
	v_mul_u32_u24_e32 v11, 0x84, v3
	s_waitcnt lgkmcnt(0)
	s_barrier
	v_cmp_lt_u32_e64 s5, v12, v0
	v_add_lshl_u32 v14, v12, v20, 2
	buffer_gl0_inv
	s_and_saveexec_b32 s4, s5
	s_cbranch_execz .LBB85_21
; %bb.20:
	v_add_lshl_u32 v10, v11, v0, 2
	ds_load_b32 v10, v10
	s_waitcnt lgkmcnt(0)
	ds_store_b32 v14, v10
.LBB85_21:
	s_or_b32 exec_lo, exec_lo, s4
	v_or_b32_e32 v10, 1, v12
	s_delay_alu instid0(VALU_DEP_1) | instskip(NEXT) | instid1(VALU_DEP_1)
	v_cmp_lt_u32_e64 s6, v10, v0
	s_and_saveexec_b32 s4, s6
	s_cbranch_execz .LBB85_23
; %bb.22:
	v_mul_u32_u24_e32 v10, 33, v10
	s_delay_alu instid0(VALU_DEP_1)
	v_add_lshl_u32 v10, v10, v0, 2
	ds_load_b32 v10, v10
	s_waitcnt lgkmcnt(0)
	ds_store_b32 v14, v10 offset:4
.LBB85_23:
	s_or_b32 exec_lo, exec_lo, s4
	v_or_b32_e32 v10, 2, v12
	s_delay_alu instid0(VALU_DEP_1) | instskip(NEXT) | instid1(VALU_DEP_1)
	v_cmp_lt_u32_e64 s7, v10, v0
	s_and_saveexec_b32 s4, s7
	s_cbranch_execz .LBB85_25
; %bb.24:
	v_mul_u32_u24_e32 v10, 33, v10
	s_delay_alu instid0(VALU_DEP_1)
	v_add_lshl_u32 v10, v10, v0, 2
	ds_load_b32 v10, v10
	s_waitcnt lgkmcnt(0)
	ds_store_b32 v14, v10 offset:8
.LBB85_25:
	s_or_b32 exec_lo, exec_lo, s4
	v_or_b32_e32 v10, 3, v12
	s_delay_alu instid0(VALU_DEP_1) | instskip(SKIP_1) | instid1(VALU_DEP_2)
	v_mad_u32_u24 v13, v10, 33, v0
	v_cmp_lt_u32_e64 s8, v10, v0
	v_lshlrev_b32_e32 v10, 2, v13
	s_delay_alu instid0(VALU_DEP_2)
	s_and_saveexec_b32 s4, s8
	s_cbranch_execz .LBB85_27
; %bb.26:
	ds_load_b32 v13, v10
	s_waitcnt lgkmcnt(0)
	ds_store_b32 v14, v13 offset:12
.LBB85_27:
	s_or_b32 exec_lo, exec_lo, s4
	v_add_lshl_u32 v11, v11, v0, 2
	v_lshlrev_b32_e32 v13, 2, v12
	v_add_nc_u32_e32 v15, 0xfffffef8, v10
	s_waitcnt lgkmcnt(0)
	s_barrier
	buffer_gl0_inv
	ds_load_b32 v17, v11
	ds_load_b128 v[21:24], v13 offset:4544
	ds_load_2addr_b32 v[25:26], v15 offset1:33
	ds_load_b32 v27, v10
	v_cmp_gt_u32_e64 s4, 32, v19
	s_waitcnt lgkmcnt(0)
	s_barrier
	buffer_gl0_inv
	v_fma_f32 v28, v17, v21, 0
	v_add_lshl_u32 v21, v3, v20, 2
	s_delay_alu instid0(VALU_DEP_2) | instskip(NEXT) | instid1(VALU_DEP_1)
	v_fmac_f32_e32 v28, v25, v22
	v_dual_fmac_f32 v28, v26, v23 :: v_dual_mov_b32 v17, 0
	s_delay_alu instid0(VALU_DEP_1)
	v_fmac_f32_e32 v28, v27, v24
	ds_store_b32 v21, v28
	s_waitcnt lgkmcnt(0)
	s_barrier
	buffer_gl0_inv
	s_and_saveexec_b32 s10, s4
	s_cbranch_execz .LBB85_29
; %bb.28:
	v_lshlrev_b32_e32 v17, 2, v20
	ds_load_2addr_b32 v[22:23], v17 offset1:1
	ds_load_2addr_b32 v[24:25], v17 offset0:2 offset1:3
	ds_load_2addr_b32 v[26:27], v17 offset0:4 offset1:5
	;; [unrolled: 1-line block ×3, first 2 shown]
	s_waitcnt lgkmcnt(3)
	v_add_f32_e32 v17, v22, v23
	s_waitcnt lgkmcnt(2)
	s_delay_alu instid0(VALU_DEP_1) | instskip(NEXT) | instid1(VALU_DEP_1)
	v_add_f32_e32 v17, v17, v24
	v_add_f32_e32 v17, v17, v25
	s_waitcnt lgkmcnt(1)
	s_delay_alu instid0(VALU_DEP_1) | instskip(NEXT) | instid1(VALU_DEP_1)
	v_add_f32_e32 v17, v17, v26
	;; [unrolled: 4-line block ×3, first 2 shown]
	v_add_f32_e32 v17, v17, v29
.LBB85_29:
	s_or_b32 exec_lo, exec_lo, s10
	s_lshl_b64 s[10:11], s[20:21], 7
	v_cndmask_b32_e64 v22, 0, 1, s9
	v_add_co_u32 v1, vcc_lo, v1, s10
	v_add_co_ci_u32_e32 v2, vcc_lo, s11, v2, vcc_lo
	s_lshl_b64 s[18:19], s[20:21], 5
	s_delay_alu instid0(VALU_DEP_2) | instskip(NEXT) | instid1(VALU_DEP_2)
	v_add_co_u32 v23, vcc_lo, 0x80, v1
	v_add_co_ci_u32_e32 v24, vcc_lo, 0, v2, vcc_lo
	s_and_not1_b32 vcc_lo, exec_lo, s9
	s_barrier
	buffer_gl0_inv
	s_cbranch_vccnz .LBB85_31
; %bb.30:
	v_mad_u64_u32 v[25:26], null, 0x60, s20, v[1:2]
	s_delay_alu instid0(VALU_DEP_1) | instskip(SKIP_2) | instid1(VALU_DEP_2)
	v_mad_u64_u32 v[27:28], null, 0x60, s21, v[26:27]
	v_add_co_u32 v28, vcc_lo, v1, s18
	v_add_co_ci_u32_e32 v29, vcc_lo, s19, v2, vcc_lo
	v_add_co_u32 v30, vcc_lo, v28, s18
	s_delay_alu instid0(VALU_DEP_2)
	v_add_co_ci_u32_e32 v31, vcc_lo, s19, v29, vcc_lo
	v_mov_b32_e32 v26, v27
	s_clause 0x3
	global_load_b32 v1, v[1:2], off offset:128
	global_load_b32 v2, v[28:29], off offset:128
	global_load_b32 v27, v[30:31], off offset:128
	global_load_b32 v25, v[25:26], off offset:128
	v_mul_u32_u24_e32 v26, 33, v3
	s_delay_alu instid0(VALU_DEP_1)
	v_add_lshl_u32 v26, v26, v0, 2
	s_waitcnt vmcnt(3)
	ds_store_b32 v26, v1
	s_waitcnt vmcnt(2)
	ds_store_b32 v26, v2 offset:1056
	s_waitcnt vmcnt(1)
	ds_store_b32 v26, v27 offset:2112
	;; [unrolled: 2-line block ×3, first 2 shown]
	s_cbranch_execz .LBB85_32
	s_branch .LBB85_41
.LBB85_31:
.LBB85_32:
	v_dual_mov_b32 v28, 0 :: v_dual_lshlrev_b32 v25, 2, v0
	s_ashr_i32 s25, s24, 31
	v_or_b32_e32 v26, 32, v0
	s_lshl_b64 s[22:23], s[24:25], 2
	s_delay_alu instid0(VALU_DEP_2) | instskip(SKIP_2) | instid1(VALU_DEP_2)
	v_sub_co_u32 v1, vcc_lo, v23, v25
	v_subrev_co_ci_u32_e32 v2, vcc_lo, 0, v24, vcc_lo
	s_sub_i32 s25, s24, 32
	v_add_co_u32 v1, vcc_lo, v1, s22
	s_delay_alu instid0(VALU_DEP_2) | instskip(SKIP_1) | instid1(VALU_DEP_2)
	v_add_co_ci_u32_e32 v2, vcc_lo, s23, v2, vcc_lo
	s_mov_b32 s31, exec_lo
	v_add_co_u32 v1, vcc_lo, 0xffffff7c, v1
	s_delay_alu instid0(VALU_DEP_2) | instskip(SKIP_1) | instid1(VALU_DEP_2)
	v_add_co_ci_u32_e32 v2, vcc_lo, -1, v2, vcc_lo
	v_cmp_gt_i32_e32 vcc_lo, s24, v26
	v_dual_mov_b32 v27, 0 :: v_dual_cndmask_b32 v2, v2, v24
	s_delay_alu instid0(VALU_DEP_4)
	v_cndmask_b32_e32 v1, v1, v23, vcc_lo
	v_cmpx_gt_i32_e64 s25, v3
	s_cbranch_execz .LBB85_34
; %bb.33:
	global_load_b32 v28, v[1:2], off
.LBB85_34:
	s_or_b32 exec_lo, exec_lo, s31
	v_mul_u32_u24_e32 v26, 33, v3
	v_add_nc_u32_e32 v29, 8, v3
	s_mov_b32 s31, exec_lo
	s_delay_alu instid0(VALU_DEP_2)
	v_add_lshl_u32 v26, v26, v0, 2
	s_waitcnt vmcnt(0)
	ds_store_b32 v26, v28
	v_cmpx_gt_i32_e64 s25, v29
	s_cbranch_execz .LBB85_36
; %bb.35:
	v_add_co_u32 v27, s9, v1, s18
	s_delay_alu instid0(VALU_DEP_1)
	v_add_co_ci_u32_e64 v28, s9, s19, v2, s9
	global_load_b32 v27, v[27:28], off
.LBB85_36:
	s_or_b32 exec_lo, exec_lo, s31
	v_dual_mov_b32 v28, 0 :: v_dual_add_nc_u32 v29, 16, v3
	s_waitcnt vmcnt(0)
	ds_store_b32 v26, v27 offset:1056
	v_cmp_gt_i32_e64 s9, s25, v29
	v_mov_b32_e32 v29, 0
	s_delay_alu instid0(VALU_DEP_2)
	s_and_saveexec_b32 s31, s9
	s_cbranch_execz .LBB85_38
; %bb.37:
	s_lshl_b64 s[36:37], s[20:21], 6
	s_delay_alu instid0(SALU_CYCLE_1) | instskip(NEXT) | instid1(VALU_DEP_1)
	v_add_co_u32 v29, s9, v1, s36
	v_add_co_ci_u32_e64 v30, s9, s37, v2, s9
	global_load_b32 v29, v[29:30], off
.LBB85_38:
	s_or_b32 exec_lo, exec_lo, s31
	v_add_nc_u32_e32 v27, 24, v3
	s_waitcnt vmcnt(0)
	ds_store_b32 v26, v29 offset:2112
	v_cmp_gt_i32_e64 s9, s25, v27
	s_delay_alu instid0(VALU_DEP_1)
	s_and_saveexec_b32 s25, s9
	s_cbranch_execz .LBB85_40
; %bb.39:
	v_mad_u64_u32 v[27:28], null, 0x60, s20, v[1:2]
	s_delay_alu instid0(VALU_DEP_1) | instskip(NEXT) | instid1(VALU_DEP_1)
	v_mad_u64_u32 v[29:30], null, 0x60, s21, v[28:29]
	v_mov_b32_e32 v28, v29
	global_load_b32 v28, v[27:28], off
.LBB85_40:
	s_or_b32 exec_lo, exec_lo, s25
	v_add_co_u32 v1, s9, v1, v25
	s_delay_alu instid0(VALU_DEP_1) | instskip(SKIP_3) | instid1(VALU_DEP_1)
	v_add_co_ci_u32_e64 v2, s9, 0, v2, s9
	s_waitcnt vmcnt(0)
	ds_store_b32 v26, v28 offset:3168
	v_sub_co_u32 v1, s9, v1, s22
	v_subrev_co_ci_u32_e64 v2, s9, s23, v2, s9
	s_delay_alu instid0(VALU_DEP_2) | instskip(NEXT) | instid1(VALU_DEP_1)
	v_add_co_u32 v1, s9, 0x84, v1
	v_add_co_ci_u32_e64 v2, s9, 0, v2, s9
	s_delay_alu instid0(VALU_DEP_1)
	v_dual_cndmask_b32 v23, v1, v23 :: v_dual_cndmask_b32 v24, v2, v24
.LBB85_41:
	v_add_nc_u32_e32 v13, 0x11c0, v13
	s_waitcnt lgkmcnt(0)
	s_barrier
	buffer_gl0_inv
	s_and_saveexec_b32 s9, s5
	s_cbranch_execnz .LBB85_50
; %bb.42:
	s_or_b32 exec_lo, exec_lo, s9
	s_and_saveexec_b32 s5, s6
	s_cbranch_execnz .LBB85_51
.LBB85_43:
	s_or_b32 exec_lo, exec_lo, s5
	s_and_saveexec_b32 s5, s7
	s_cbranch_execnz .LBB85_52
.LBB85_44:
	s_or_b32 exec_lo, exec_lo, s5
	s_and_saveexec_b32 s5, s8
	s_cbranch_execz .LBB85_46
.LBB85_45:
	ds_load_b32 v1, v10
	s_waitcnt lgkmcnt(0)
	ds_store_b32 v14, v1 offset:12
.LBB85_46:
	s_or_b32 exec_lo, exec_lo, s5
	s_waitcnt lgkmcnt(0)
	s_barrier
	buffer_gl0_inv
	ds_load_b32 v11, v11
	ds_load_b128 v[25:28], v13 offset:128
	ds_load_2addr_b32 v[1:2], v15 offset1:33
	ds_load_b32 v10, v10
	v_cmp_eq_u32_e64 s5, 1, v3
	s_waitcnt lgkmcnt(0)
	s_barrier
	buffer_gl0_inv
	v_fma_f32 v11, v11, v25, 0
	s_delay_alu instid0(VALU_DEP_1) | instskip(NEXT) | instid1(VALU_DEP_1)
	v_fmac_f32_e32 v11, v1, v26
	v_fmac_f32_e32 v11, v2, v27
	s_delay_alu instid0(VALU_DEP_1)
	v_fmac_f32_e32 v11, v10, v28
	ds_store_b32 v21, v11
	s_waitcnt lgkmcnt(0)
	s_barrier
	buffer_gl0_inv
	s_and_saveexec_b32 s6, s5
	s_cbranch_execz .LBB85_48
; %bb.47:
	v_lshlrev_b32_e32 v15, 2, v20
	ds_load_2addr_b32 v[1:2], v15 offset1:1
	ds_load_2addr_b32 v[10:11], v15 offset0:2 offset1:3
	ds_load_2addr_b32 v[25:26], v15 offset0:4 offset1:5
	;; [unrolled: 1-line block ×3, first 2 shown]
	s_waitcnt lgkmcnt(3)
	v_add_f32_e32 v1, v1, v2
	s_waitcnt lgkmcnt(2)
	s_delay_alu instid0(VALU_DEP_1) | instskip(NEXT) | instid1(VALU_DEP_1)
	v_add_f32_e32 v1, v1, v10
	v_add_f32_e32 v1, v1, v11
	s_waitcnt lgkmcnt(1)
	s_delay_alu instid0(VALU_DEP_1) | instskip(NEXT) | instid1(VALU_DEP_1)
	v_add_f32_e32 v1, v1, v25
	;; [unrolled: 4-line block ×3, first 2 shown]
	v_add_f32_e32 v17, v1, v28
.LBB85_48:
	s_or_b32 exec_lo, exec_lo, s6
	s_lshl_b64 s[6:7], s[18:19], 2
	v_cmp_ne_u32_e32 vcc_lo, 1, v22
	v_sub_co_u32 v10, s6, v23, s6
	s_delay_alu instid0(VALU_DEP_1)
	v_subrev_co_ci_u32_e64 v11, s6, s7, v24, s6
	s_barrier
	buffer_gl0_inv
	s_cbranch_vccnz .LBB85_53
; %bb.49:
	v_mad_u64_u32 v[1:2], null, 0x60, s20, v[10:11]
	v_add_nc_u32_e32 v15, 8, v3
	s_delay_alu instid0(VALU_DEP_2) | instskip(SKIP_2) | instid1(VALU_DEP_2)
	v_mad_u64_u32 v[22:23], null, 0x60, s21, v[2:3]
	v_add_co_u32 v23, vcc_lo, v10, s18
	v_add_co_ci_u32_e32 v24, vcc_lo, s19, v11, vcc_lo
	v_add_co_u32 v25, vcc_lo, v23, s18
	s_delay_alu instid0(VALU_DEP_2)
	v_add_co_ci_u32_e32 v26, vcc_lo, s19, v24, vcc_lo
	v_mov_b32_e32 v2, v22
	s_clause 0x3
	global_load_b32 v27, v[10:11], off
	global_load_b32 v28, v[23:24], off
	;; [unrolled: 1-line block ×4, first 2 shown]
	v_mad_u32_u24 v22, v3, 33, v0
	v_add_nc_u32_e32 v23, 16, v3
	v_add_nc_u32_e32 v24, 24, v3
	s_delay_alu instid0(VALU_DEP_3)
	v_lshlrev_b32_e32 v30, 2, v22
	v_add_nc_u32_e32 v25, 0x108, v22
	v_add_nc_u32_e32 v1, 0x210, v22
	;; [unrolled: 1-line block ×3, first 2 shown]
	s_waitcnt vmcnt(3)
	ds_store_b32 v30, v27
	s_waitcnt vmcnt(2)
	ds_store_b32 v30, v28 offset:1056
	s_waitcnt vmcnt(1)
	ds_store_b32 v30, v26 offset:2112
	;; [unrolled: 2-line block ×3, first 2 shown]
	s_cbranch_execz .LBB85_54
	s_branch .LBB85_63
.LBB85_50:
	ds_load_b32 v1, v11
	s_waitcnt lgkmcnt(0)
	ds_store_b32 v14, v1
	s_or_b32 exec_lo, exec_lo, s9
	s_and_saveexec_b32 s5, s6
	s_cbranch_execz .LBB85_43
.LBB85_51:
	ds_load_b32 v1, v15
	s_waitcnt lgkmcnt(0)
	ds_store_b32 v14, v1 offset:4
	s_or_b32 exec_lo, exec_lo, s5
	s_and_saveexec_b32 s5, s7
	s_cbranch_execz .LBB85_44
.LBB85_52:
	ds_load_b32 v1, v15 offset:132
	s_waitcnt lgkmcnt(0)
	ds_store_b32 v14, v1 offset:8
	s_or_b32 exec_lo, exec_lo, s5
	s_and_saveexec_b32 s5, s8
	s_cbranch_execnz .LBB85_45
	s_branch .LBB85_46
.LBB85_53:
                                        ; implicit-def: $vgpr22
                                        ; implicit-def: $vgpr15
                                        ; implicit-def: $vgpr25
                                        ; implicit-def: $vgpr23
                                        ; implicit-def: $vgpr1
                                        ; implicit-def: $vgpr24
                                        ; implicit-def: $vgpr2
.LBB85_54:
	v_dual_mov_b32 v24, 0 :: v_dual_lshlrev_b32 v25, 2, v0
	s_ashr_i32 s25, s24, 31
	v_or_b32_e32 v15, 32, v0
	s_lshl_b64 s[8:9], s[24:25], 2
	s_delay_alu instid0(VALU_DEP_2) | instskip(SKIP_2) | instid1(VALU_DEP_3)
	v_sub_co_u32 v1, vcc_lo, v10, v25
	v_subrev_co_ci_u32_e32 v2, vcc_lo, 0, v11, vcc_lo
	v_mov_b32_e32 v23, 0
	v_add_co_u32 v1, vcc_lo, v1, s8
	s_delay_alu instid0(VALU_DEP_3) | instskip(SKIP_1) | instid1(VALU_DEP_2)
	v_add_co_ci_u32_e32 v2, vcc_lo, s9, v2, vcc_lo
	s_mov_b32 s7, exec_lo
	v_add_co_u32 v1, vcc_lo, 0xffffff7c, v1
	s_delay_alu instid0(VALU_DEP_2) | instskip(SKIP_1) | instid1(VALU_DEP_2)
	v_add_co_ci_u32_e32 v2, vcc_lo, -1, v2, vcc_lo
	v_cmp_gt_i32_e32 vcc_lo, s24, v15
	v_dual_cndmask_b32 v2, v2, v11 :: v_dual_cndmask_b32 v1, v1, v10
	v_cmpx_gt_i32_e64 s24, v3
	s_cbranch_execz .LBB85_56
; %bb.55:
	global_load_b32 v23, v[1:2], off
.LBB85_56:
	s_or_b32 exec_lo, exec_lo, s7
	v_mad_u32_u24 v22, v3, 33, v0
	v_add_nc_u32_e32 v15, 8, v3
	s_mov_b32 s7, exec_lo
	s_delay_alu instid0(VALU_DEP_2)
	v_lshlrev_b32_e32 v0, 2, v22
	s_waitcnt vmcnt(0)
	ds_store_b32 v0, v23
	v_cmpx_gt_i32_e64 s24, v15
	s_cbranch_execz .LBB85_58
; %bb.57:
	v_add_co_u32 v23, s6, v1, s18
	s_delay_alu instid0(VALU_DEP_1)
	v_add_co_ci_u32_e64 v24, s6, s19, v2, s6
	global_load_b32 v24, v[23:24], off
.LBB85_58:
	s_or_b32 exec_lo, exec_lo, s7
	v_dual_mov_b32 v26, 0 :: v_dual_add_nc_u32 v23, 16, v3
	v_mov_b32_e32 v27, 0
	s_mov_b32 s7, exec_lo
	s_waitcnt vmcnt(0)
	ds_store_b32 v0, v24 offset:1056
	v_cmpx_gt_i32_e64 s24, v23
	s_cbranch_execz .LBB85_60
; %bb.59:
	s_lshl_b64 s[18:19], s[20:21], 6
	s_delay_alu instid0(SALU_CYCLE_1) | instskip(NEXT) | instid1(VALU_DEP_1)
	v_add_co_u32 v27, s6, v1, s18
	v_add_co_ci_u32_e64 v28, s6, s19, v2, s6
	global_load_b32 v27, v[27:28], off
.LBB85_60:
	s_or_b32 exec_lo, exec_lo, s7
	v_add_nc_u32_e32 v24, 24, v3
	s_mov_b32 s7, exec_lo
	s_waitcnt vmcnt(0)
	ds_store_b32 v0, v27 offset:2112
	v_cmpx_gt_i32_e64 s24, v24
	s_cbranch_execz .LBB85_62
; %bb.61:
	v_mad_u64_u32 v[26:27], null, 0x60, s20, v[1:2]
	s_delay_alu instid0(VALU_DEP_1) | instskip(NEXT) | instid1(VALU_DEP_1)
	v_mov_b32_e32 v3, v27
	v_mad_u64_u32 v[27:28], null, 0x60, s21, v[3:4]
	global_load_b32 v26, v[26:27], off
.LBB85_62:
	s_or_b32 exec_lo, exec_lo, s7
	v_add_co_u32 v1, s6, v1, v25
	s_delay_alu instid0(VALU_DEP_1) | instskip(SKIP_1) | instid1(VALU_DEP_3)
	v_add_co_ci_u32_e64 v2, s6, 0, v2, s6
	v_add_nc_u32_e32 v25, 0x108, v22
	v_sub_co_u32 v1, s6, v1, s8
	s_delay_alu instid0(VALU_DEP_1) | instskip(SKIP_3) | instid1(VALU_DEP_1)
	v_subrev_co_ci_u32_e64 v2, s6, s9, v2, s6
	s_waitcnt vmcnt(0)
	ds_store_b32 v0, v26 offset:3168
	v_add_co_u32 v3, s6, 0x84, v1
	v_add_co_ci_u32_e64 v27, s6, 0, v2, s6
	v_add_nc_u32_e32 v1, 0x210, v22
	v_add_nc_u32_e32 v2, 0x318, v22
	s_delay_alu instid0(VALU_DEP_4) | instskip(NEXT) | instid1(VALU_DEP_4)
	v_cndmask_b32_e32 v10, v3, v10, vcc_lo
	v_cndmask_b32_e32 v11, v27, v11, vcc_lo
.LBB85_63:
	v_lshlrev_b32_e32 v0, 2, v22
	v_lshlrev_b32_e32 v3, 2, v25
	s_waitcnt lgkmcnt(0)
	s_barrier
	buffer_gl0_inv
	ds_load_b32 v12, v12 offset:4544
	v_lshlrev_b32_e32 v15, 2, v15
	ds_load_b32 v22, v0
	ds_load_b32 v25, v3
	v_lshlrev_b32_e32 v0, 2, v1
	v_lshlrev_b32_e32 v1, 2, v23
	;; [unrolled: 1-line block ×3, first 2 shown]
	ds_load_b32 v23, v15 offset:4544
	v_lshlrev_b32_e32 v3, 2, v24
	ds_load_b32 v24, v0
	ds_load_b32 v26, v1 offset:4544
	ds_load_b32 v27, v2
	ds_load_b32 v28, v3 offset:4544
	ds_load_b128 v[0:3], v13 offset:128
	s_waitcnt lgkmcnt(7)
	v_fma_f32 v22, v22, v12, 0
	ds_load_2addr_b32 v[12:13], v14 offset0:2 offset1:3
	ds_load_2addr_b32 v[14:15], v14 offset1:1
	s_waitcnt lgkmcnt(0)
	s_barrier
	buffer_gl0_inv
	v_fmac_f32_e32 v22, v25, v23
	s_delay_alu instid0(VALU_DEP_1) | instskip(NEXT) | instid1(VALU_DEP_1)
	v_fmac_f32_e32 v22, v24, v26
	v_fmac_f32_e32 v22, v27, v28
	ds_store_b32 v21, v22
	s_waitcnt lgkmcnt(0)
	s_barrier
	buffer_gl0_inv
	s_and_saveexec_b32 s6, s5
	s_cbranch_execz .LBB85_65
; %bb.64:
	v_lshlrev_b32_e32 v28, 2, v20
	ds_load_2addr_b32 v[22:23], v28 offset1:1
	ds_load_2addr_b32 v[24:25], v28 offset0:2 offset1:3
	ds_load_2addr_b32 v[26:27], v28 offset0:4 offset1:5
	;; [unrolled: 1-line block ×3, first 2 shown]
	s_waitcnt lgkmcnt(3)
	v_add_f32_e32 v17, v17, v22
	s_delay_alu instid0(VALU_DEP_1) | instskip(SKIP_1) | instid1(VALU_DEP_1)
	v_add_f32_e32 v17, v17, v23
	s_waitcnt lgkmcnt(2)
	v_add_f32_e32 v17, v17, v24
	s_delay_alu instid0(VALU_DEP_1) | instskip(SKIP_1) | instid1(VALU_DEP_1)
	v_add_f32_e32 v17, v17, v25
	;; [unrolled: 4-line block ×3, first 2 shown]
	s_waitcnt lgkmcnt(0)
	v_add_f32_e32 v17, v17, v28
	s_delay_alu instid0(VALU_DEP_1)
	v_add_f32_e32 v17, v17, v29
.LBB85_65:
	s_or_b32 exec_lo, exec_lo, s6
	v_fma_f32 v0, v14, v0, 0
	s_barrier
	buffer_gl0_inv
	v_fmac_f32_e32 v0, v15, v1
	s_delay_alu instid0(VALU_DEP_1) | instskip(NEXT) | instid1(VALU_DEP_1)
	v_fmac_f32_e32 v0, v12, v2
	v_fmac_f32_e32 v0, v13, v3
	ds_store_b32 v21, v0
	s_waitcnt lgkmcnt(0)
	s_barrier
	buffer_gl0_inv
	s_and_saveexec_b32 s5, s4
	s_cbranch_execz .LBB85_67
; %bb.66:
	v_lshlrev_b32_e32 v14, 2, v20
	ds_load_2addr_b32 v[0:1], v14 offset1:1
	ds_load_2addr_b32 v[2:3], v14 offset0:2 offset1:3
	ds_load_2addr_b32 v[12:13], v14 offset0:4 offset1:5
	;; [unrolled: 1-line block ×3, first 2 shown]
	s_waitcnt lgkmcnt(3)
	v_add_f32_e32 v0, v17, v0
	s_delay_alu instid0(VALU_DEP_1) | instskip(SKIP_1) | instid1(VALU_DEP_1)
	v_add_f32_e32 v0, v0, v1
	s_waitcnt lgkmcnt(2)
	v_add_f32_e32 v0, v0, v2
	s_delay_alu instid0(VALU_DEP_1) | instskip(SKIP_1) | instid1(VALU_DEP_1)
	v_add_f32_e32 v0, v0, v3
	;; [unrolled: 4-line block ×3, first 2 shown]
	s_waitcnt lgkmcnt(0)
	v_add_f32_e32 v0, v0, v14
	s_delay_alu instid0(VALU_DEP_1)
	v_add_f32_e32 v17, v0, v15
.LBB85_67:
	s_or_b32 exec_lo, exec_lo, s5
	s_load_b64 s[0:1], s[0:1], 0x60
	s_mul_hi_u32 s4, s34, s15
	s_mul_i32 s27, s27, s15
	s_mul_i32 s5, s34, s15
	s_add_i32 s4, s4, s27
	s_mul_hi_u32 s6, s5, s26
	s_mul_i32 s7, s4, s26
	s_mul_i32 s4, s5, s26
	s_add_i32 s5, s6, s7
	s_mul_i32 s6, s14, s34
	s_lshl_b64 s[4:5], s[4:5], 2
	v_cmp_le_i32_e32 vcc_lo, s24, v18
	v_lshlrev_b32_e32 v12, 2, v18
	s_waitcnt lgkmcnt(0)
	s_barrier
	buffer_gl0_inv
	s_add_u32 s4, s0, s4
	s_addc_u32 s5, s1, s5
	s_ashr_i32 s7, s6, 31
	s_delay_alu instid0(SALU_CYCLE_1) | instskip(NEXT) | instid1(SALU_CYCLE_1)
	s_lshl_b64 s[0:1], s[6:7], 2
	s_add_u32 s15, s4, s0
	s_addc_u32 s18, s5, s1
	s_and_b32 vcc_lo, s30, vcc_lo
	s_cmp_lt_i32 s14, 1
	s_cbranch_scc1 .LBB85_74
; %bb.68:
	v_lshlrev_b32_e32 v1, 2, v16
	v_sub_co_u32 v10, s0, v10, s16
	s_delay_alu instid0(VALU_DEP_1) | instskip(NEXT) | instid1(VALU_DEP_3)
	v_subrev_co_ci_u32_e64 v11, s0, s17, v11, s0
	v_mad_u64_u32 v[2:3], null, v1, s20, 0
	s_delay_alu instid0(VALU_DEP_3) | instskip(NEXT) | instid1(VALU_DEP_1)
	v_sub_co_u32 v8, s0, v10, v8
	v_sub_co_ci_u32_e64 v9, s0, v11, v9, s0
	s_mul_i32 s1, s12, s29
	s_mul_hi_u32 s5, s12, s28
	s_delay_alu instid0(VALU_DEP_3)
	v_mov_b32_e32 v0, v3
	s_mul_i32 s8, s13, s28
	s_add_i32 s1, s5, s1
	s_ashr_i32 s25, s24, 31
	s_mul_i32 s4, s12, s28
	v_mad_u64_u32 v[13:14], null, v1, s21, v[0:1]
	v_and_b32_e32 v0, 15, v18
	s_add_i32 s5, s1, s8
	s_mul_i32 s1, s21, 12
	s_mul_hi_u32 s12, s20, 12
	s_lshl_b64 s[6:7], s[24:25], 2
	s_add_i32 s16, s12, s1
	s_delay_alu instid0(VALU_DEP_2) | instskip(SKIP_3) | instid1(VALU_DEP_2)
	v_mov_b32_e32 v3, v13
	s_mul_i32 s1, s21, 0x48
	s_mul_hi_u32 s12, s20, 0x48
	v_dual_mov_b32 v1, 0 :: v_dual_and_b32 v20, 48, v18
	v_lshlrev_b64 v[2:3], 2, v[2:3]
	s_add_i32 s19, s12, s1
	s_mul_i32 s1, s21, 0x4c
	s_mul_hi_u32 s12, s20, 0x4c
	v_lshrrev_b32_e32 v10, 2, v19
	s_add_i32 s23, s12, s1
	v_add_co_u32 v2, s0, v8, v2
	s_delay_alu instid0(VALU_DEP_1) | instskip(SKIP_1) | instid1(VALU_DEP_2)
	v_add_co_ci_u32_e64 v3, s0, v9, v3, s0
	s_mul_i32 s1, s21, 0x88
	v_add_co_u32 v8, s0, v2, s6
	s_delay_alu instid0(VALU_DEP_1)
	v_add_co_ci_u32_e64 v9, s0, s7, v3, s0
	v_add_co_u32 v2, s0, v2, v12
	s_mul_hi_u32 s12, s20, 0x88
	v_add_co_ci_u32_e64 v3, s0, 0, v3, s0
	s_add_i32 s25, s12, s1
	s_mul_i32 s1, s21, 0x8c
	s_mul_hi_u32 s12, s20, 0x8c
	v_add_co_u32 v8, s0, 0xffffff7c, v8
	s_add_i32 s27, s12, s1
	s_mul_i32 s1, s21, 0xc8
	s_mul_hi_u32 s12, s20, 0xc8
	v_add_co_ci_u32_e64 v9, s0, -1, v9, s0
	v_add_co_u32 v2, s0, 0xffffff80, v2
	s_add_i32 s31, s12, s1
	s_mul_i32 s1, s21, 0xcc
	s_mul_hi_u32 s12, s20, 0xcc
	s_lshl_b64 s[4:5], s[4:5], 2
	v_add_co_ci_u32_e64 v3, s0, -1, v3, s0
	v_lshlrev_b32_e32 v11, 2, v20
	v_or_b32_e32 v13, 60, v12
	v_and_b32_e32 v14, 0x1fff0, v19
	v_and_b32_e32 v18, 0x7ffc, v10
	s_add_i32 s34, s12, s1
	s_mul_i32 s1, s21, 0xc4
	s_mul_hi_u32 s12, s20, 0xc4
	v_sub_co_u32 v6, s0, v6, s4
	s_add_i32 s36, s12, s1
	s_mul_i32 s1, s21, 0xc0
	s_mul_hi_u32 s12, s20, 0xc0
	v_subrev_co_ci_u32_e64 v7, s0, s5, v7, s0
	s_add_i32 s38, s12, s1
	s_mul_i32 s1, s21, 0x84
	s_mul_hi_u32 s12, s20, 0x84
	v_dual_cndmask_b32 v3, v3, v9 :: v_dual_cndmask_b32 v2, v2, v8
	v_add_nc_u32_e32 v8, 0x10c0, v12
	v_add_nc_u32_e32 v9, 0x11c0, v12
	v_cmp_gt_u32_e64 s0, 64, v19
	v_mad_u32_u24 v10, 0x10c, v0, v11
	v_mad_u32_u24 v11, 0x10c, v0, v13
	v_mad_u32_u24 v13, 0x10c, v0, v14
	v_lshl_add_u32 v14, v16, 4, 0x10c0
	v_mad_u32_u24 v15, 0x430, v16, v12
	v_mad_u32_u24 v18, 0x10c, v0, v18
	v_or_b32_e32 v19, v20, v0
	s_add_i32 s40, s12, s1
	s_mul_i32 s1, s21, 0x44
	s_mul_hi_u32 s12, s20, 0x44
	s_lshl_b64 s[4:5], s[20:21], 2
	s_lshl_b64 s[6:7], s[20:21], 8
	;; [unrolled: 1-line block ×3, first 2 shown]
	s_mul_i32 s17, s20, 12
	s_mul_i32 s22, s20, 0x48
	;; [unrolled: 1-line block ×10, first 2 shown]
	s_add_i32 s42, s12, s1
	s_mul_i32 s43, s20, 0x44
	s_lshl_b64 s[12:13], s[20:21], 6
	s_mov_b32 s20, 0
	s_branch .LBB85_70
.LBB85_69:                              ;   in Loop: Header=BB85_70 Depth=1
	s_or_b32 exec_lo, exec_lo, s21
	v_fmac_f32_e32 v17, v20, v24
	v_add_co_u32 v2, s1, v2, s6
	s_delay_alu instid0(VALU_DEP_1) | instskip(NEXT) | instid1(VALU_DEP_3)
	v_add_co_ci_u32_e64 v3, s1, s7, v3, s1
	v_fmac_f32_e32 v17, v22, v25
	s_add_i32 s14, s14, -1
	s_add_i32 s20, s20, 64
	s_cmp_eq_u32 s14, 0
	s_waitcnt_vscnt null, 0x0
	v_fmac_f32_e32 v17, v21, v26
	s_barrier
	buffer_gl0_inv
	v_fmac_f32_e32 v17, v23, v27
	s_delay_alu instid0(VALU_DEP_1) | instskip(NEXT) | instid1(VALU_DEP_1)
	v_fmac_f32_e32 v17, v28, v32
	v_fmac_f32_e32 v17, v30, v33
	s_delay_alu instid0(VALU_DEP_1) | instskip(NEXT) | instid1(VALU_DEP_1)
	v_fmac_f32_e32 v17, v29, v34
	;; [unrolled: 3-line block ×6, first 2 shown]
	v_fmac_f32_e32 v17, v44, v49
	s_cbranch_scc1 .LBB85_74
.LBB85_70:                              ; =>This Inner Loop Header: Depth=1
	s_and_saveexec_b32 s21, s3
	s_cbranch_execz .LBB85_72
; %bb.71:                               ;   in Loop: Header=BB85_70 Depth=1
	s_mul_i32 s1, s20, s29
	s_mul_hi_u32 s45, s20, s28
	s_mul_i32 s44, s20, s28
	s_add_i32 s45, s45, s1
	s_delay_alu instid0(SALU_CYCLE_1) | instskip(NEXT) | instid1(SALU_CYCLE_1)
	s_lshl_b64 s[44:45], s[44:45], 2
	v_add_co_u32 v20, s1, v6, s44
	s_delay_alu instid0(VALU_DEP_1)
	v_add_co_ci_u32_e64 v21, s1, s45, v7, s1
	global_load_b32 v0, v[20:21], off
	s_waitcnt vmcnt(0)
	ds_store_b32 v8, v0
.LBB85_72:                              ;   in Loop: Header=BB85_70 Depth=1
	s_or_b32 exec_lo, exec_lo, s21
	v_add_co_u32 v21, s1, v2, s4
	s_delay_alu instid0(VALU_DEP_1) | instskip(SKIP_1) | instid1(VALU_DEP_1)
	v_add_co_ci_u32_e64 v22, s1, s5, v3, s1
	v_add_co_u32 v23, s1, v2, s8
	v_add_co_ci_u32_e64 v24, s1, s9, v3, s1
	v_add_co_u32 v25, s1, v2, s17
	s_waitcnt lgkmcnt(0)
	s_barrier
	buffer_gl0_inv
	global_load_b32 v20, v[2:3], off
	v_add_co_ci_u32_e64 v26, s1, s16, v3, s1
	s_clause 0x2
	global_load_b32 v22, v[21:22], off
	global_load_b32 v21, v[23:24], off
	;; [unrolled: 1-line block ×3, first 2 shown]
	ds_load_b32 v0, v9
	ds_load_b32 v24, v14
	v_add_co_u32 v28, s1, v2, s12
	s_delay_alu instid0(VALU_DEP_1) | instskip(SKIP_1) | instid1(VALU_DEP_1)
	v_add_co_ci_u32_e64 v29, s1, s13, v3, s1
	v_add_co_u32 v30, s1, v2, s43
	v_add_co_ci_u32_e64 v31, s1, s42, v3, s1
	v_add_co_u32 v32, s1, v2, s22
	s_delay_alu instid0(VALU_DEP_1) | instskip(SKIP_1) | instid1(VALU_DEP_1)
	v_add_co_ci_u32_e64 v33, s1, s19, v3, s1
	v_add_co_u32 v34, s1, v2, s24
	v_add_co_ci_u32_e64 v35, s1, s23, v3, s1
	;; [unrolled: 5-line block ×6, first 2 shown]
	s_waitcnt vmcnt(3) lgkmcnt(1)
	v_mul_f32_e32 v25, v20, v0
	s_waitcnt vmcnt(2)
	v_mul_f32_e32 v26, v22, v0
	s_waitcnt vmcnt(1)
	;; [unrolled: 2-line block ×3, first 2 shown]
	v_mul_f32_e32 v0, v23, v0
	ds_store_b32 v15, v25
	ds_load_b32 v25, v14 offset:4
	ds_store_b32 v15, v26 offset:268
	ds_load_b32 v26, v14 offset:8
	ds_store_b32 v15, v27 offset:536
	;; [unrolled: 2-line block ×3, first 2 shown]
	s_waitcnt lgkmcnt(0)
	s_barrier
	buffer_gl0_inv
	ds_load_2addr_b32 v[52:53], v13 offset1:1
	ds_load_2addr_b32 v[54:55], v13 offset0:2 offset1:3
	s_waitcnt lgkmcnt(0)
	s_barrier
	buffer_gl0_inv
	s_clause 0x3
	global_load_b32 v28, v[28:29], off
	global_load_b32 v30, v[30:31], off
	;; [unrolled: 1-line block ×4, first 2 shown]
	ds_load_b32 v0, v9
	ds_load_b32 v32, v14 offset:64
	s_waitcnt vmcnt(2) lgkmcnt(1)
	v_mul_f32_e32 v34, v30, v0
	v_mul_f32_e32 v33, v28, v0
	s_waitcnt vmcnt(1)
	v_mul_f32_e32 v35, v29, v0
	s_waitcnt vmcnt(0)
	v_mul_f32_e32 v0, v31, v0
	ds_store_b32 v15, v33
	ds_load_b32 v33, v14 offset:68
	ds_store_b32 v15, v34 offset:268
	ds_load_b32 v34, v14 offset:72
	ds_store_b32 v15, v35 offset:536
	;; [unrolled: 2-line block ×3, first 2 shown]
	s_waitcnt lgkmcnt(0)
	s_barrier
	buffer_gl0_inv
	ds_load_2addr_b32 v[56:57], v13 offset1:1
	ds_load_2addr_b32 v[58:59], v13 offset0:2 offset1:3
	s_waitcnt lgkmcnt(0)
	s_barrier
	buffer_gl0_inv
	s_clause 0x3
	global_load_b32 v36, v[36:37], off
	global_load_b32 v38, v[38:39], off
	;; [unrolled: 1-line block ×4, first 2 shown]
	ds_load_b32 v0, v9
	ds_load_b32 v40, v14 offset:128
	s_waitcnt vmcnt(2) lgkmcnt(1)
	v_mul_f32_e32 v42, v38, v0
	v_mul_f32_e32 v41, v36, v0
	s_waitcnt vmcnt(1)
	v_mul_f32_e32 v43, v37, v0
	s_waitcnt vmcnt(0)
	v_mul_f32_e32 v0, v39, v0
	ds_store_b32 v15, v41
	ds_load_b32 v41, v14 offset:132
	ds_store_b32 v15, v42 offset:268
	ds_load_b32 v42, v14 offset:136
	ds_store_b32 v15, v43 offset:536
	;; [unrolled: 2-line block ×3, first 2 shown]
	s_waitcnt lgkmcnt(0)
	s_barrier
	buffer_gl0_inv
	ds_load_2addr_b32 v[62:63], v13 offset1:1
	ds_load_2addr_b32 v[64:65], v13 offset0:2 offset1:3
	s_waitcnt lgkmcnt(0)
	s_barrier
	buffer_gl0_inv
	s_clause 0x3
	global_load_b32 v47, v[44:45], off
	global_load_b32 v46, v[48:49], off
	;; [unrolled: 1-line block ×4, first 2 shown]
	ds_load_b32 v0, v9
	ds_load_b32 v48, v14 offset:192
	s_waitcnt vmcnt(3) lgkmcnt(1)
	v_mul_f32_e32 v49, v47, v0
	s_waitcnt vmcnt(2)
	v_mul_f32_e32 v50, v46, v0
	s_waitcnt vmcnt(1)
	;; [unrolled: 2-line block ×3, first 2 shown]
	v_mul_f32_e32 v0, v44, v0
	ds_store_b32 v15, v49
	ds_load_b32 v51, v14 offset:196
	ds_store_b32 v15, v50 offset:268
	ds_load_b32 v50, v14 offset:200
	ds_store_b32 v15, v60 offset:536
	;; [unrolled: 2-line block ×3, first 2 shown]
	s_waitcnt lgkmcnt(0)
	s_barrier
	buffer_gl0_inv
	ds_load_2addr_b32 v[60:61], v13 offset1:1
	ds_load_2addr_b32 v[66:67], v13 offset0:2 offset1:3
	v_add_f32_e32 v0, 0, v52
	v_add_f32_e32 v52, 0, v56
	;; [unrolled: 1-line block ×3, first 2 shown]
	s_waitcnt lgkmcnt(0)
	s_barrier
	v_add_f32_e32 v0, v0, v53
	v_add_f32_e32 v52, v52, v57
	;; [unrolled: 1-line block ×3, first 2 shown]
	buffer_gl0_inv
	v_add_f32_e32 v0, v0, v54
	v_dual_add_f32 v52, v52, v58 :: v_dual_add_f32 v53, v53, v64
	s_delay_alu instid0(VALU_DEP_2) | instskip(NEXT) | instid1(VALU_DEP_2)
	v_add_f32_e32 v0, v0, v55
	v_dual_add_f32 v52, v52, v59 :: v_dual_add_f32 v53, v53, v65
	v_add_f32_e32 v60, 0, v60
	s_delay_alu instid0(VALU_DEP_1) | instskip(NEXT) | instid1(VALU_DEP_1)
	v_add_f32_e32 v56, v60, v61
	v_add_f32_e32 v54, v56, v66
	s_delay_alu instid0(VALU_DEP_1)
	v_add_f32_e32 v54, v54, v67
	ds_store_2addr_b32 v18, v0, v52 offset1:16
	ds_store_2addr_b32 v18, v53, v54 offset0:32 offset1:48
	s_waitcnt lgkmcnt(0)
	s_barrier
	buffer_gl0_inv
	s_and_saveexec_b32 s21, s0
	s_cbranch_execz .LBB85_69
; %bb.73:                               ;   in Loop: Header=BB85_70 Depth=1
	ds_load_2addr_b32 v[52:53], v10 offset1:1
	ds_load_2addr_b32 v[54:55], v10 offset0:2 offset1:3
	ds_load_2addr_b32 v[56:57], v10 offset0:4 offset1:5
	;; [unrolled: 1-line block ×3, first 2 shown]
	s_waitcnt lgkmcnt(3)
	v_add_f32_e32 v0, v52, v53
	ds_load_2addr_b32 v[52:53], v10 offset0:8 offset1:9
	s_waitcnt lgkmcnt(3)
	v_add_f32_e32 v0, v0, v54
	s_delay_alu instid0(VALU_DEP_1) | instskip(SKIP_3) | instid1(VALU_DEP_1)
	v_add_f32_e32 v0, v0, v55
	ds_load_2addr_b32 v[54:55], v10 offset0:10 offset1:11
	s_waitcnt lgkmcnt(3)
	v_add_f32_e32 v0, v0, v56
	v_add_f32_e32 v0, v0, v57
	s_waitcnt lgkmcnt(2)
	s_delay_alu instid0(VALU_DEP_1) | instskip(SKIP_4) | instid1(VALU_DEP_1)
	v_add_f32_e32 v0, v0, v58
	ds_load_2addr_b32 v[56:57], v10 offset0:12 offset1:13
	ds_load_b32 v58, v10 offset:56
	v_add_f32_e32 v0, v0, v59
	s_waitcnt lgkmcnt(3)
	v_add_f32_e32 v0, v0, v52
	s_delay_alu instid0(VALU_DEP_1) | instskip(SKIP_1) | instid1(VALU_DEP_1)
	v_add_f32_e32 v0, v0, v53
	s_waitcnt lgkmcnt(2)
	v_add_f32_e32 v0, v0, v54
	ds_load_b32 v54, v11
	v_add_f32_e32 v0, v0, v55
	s_waitcnt lgkmcnt(2)
	s_delay_alu instid0(VALU_DEP_1) | instskip(NEXT) | instid1(VALU_DEP_1)
	v_add_f32_e32 v0, v0, v56
	v_add_f32_e32 v52, v0, v57
	s_waitcnt lgkmcnt(1)
	s_delay_alu instid0(VALU_DEP_1) | instskip(NEXT) | instid1(VALU_DEP_1)
	v_dual_add_f32 v55, v52, v58 :: v_dual_add_nc_u32 v0, s20, v19
	v_lshlrev_b64 v[52:53], 2, v[0:1]
	s_waitcnt lgkmcnt(0)
	s_delay_alu instid0(VALU_DEP_2) | instskip(NEXT) | instid1(VALU_DEP_2)
	v_add_f32_e32 v0, v55, v54
	v_add_co_u32 v52, s1, s15, v52
	s_delay_alu instid0(VALU_DEP_1)
	v_add_co_ci_u32_e64 v53, s1, s18, v53, s1
	global_store_b32 v[52:53], v0, off
	s_branch .LBB85_69
.LBB85_74:
	v_mad_u32_u24 v0, 0x10c, v16, v12
	s_or_b32 s0, s2, vcc_lo
	s_delay_alu instid0(SALU_CYCLE_1)
	s_xor_b32 s0, s0, -1
	ds_store_b32 v0, v17
	s_waitcnt lgkmcnt(0)
	s_barrier
	buffer_gl0_inv
	s_and_saveexec_b32 s1, s0
	s_cbranch_execz .LBB85_76
; %bb.75:
	ds_load_2addr_b32 v[0:1], v12 offset1:67
	ds_load_2addr_b32 v[2:3], v12 offset0:134 offset1:201
	s_waitcnt lgkmcnt(1)
	v_add_f32_e32 v0, v0, v1
	s_waitcnt lgkmcnt(0)
	s_delay_alu instid0(VALU_DEP_1) | instskip(SKIP_1) | instid1(VALU_DEP_2)
	v_add_f32_e32 v2, v0, v2
	v_lshlrev_b64 v[0:1], 2, v[4:5]
	v_add_f32_e32 v2, v2, v3
	s_delay_alu instid0(VALU_DEP_2) | instskip(NEXT) | instid1(VALU_DEP_3)
	v_add_co_u32 v0, vcc_lo, s15, v0
	v_add_co_ci_u32_e32 v1, vcc_lo, s18, v1, vcc_lo
	global_store_b32 v[0:1], v2, off
.LBB85_76:
	s_nop 0
	s_sendmsg sendmsg(MSG_DEALLOC_VGPRS)
	s_endpgm
	.section	.rodata,"a",@progbits
	.p2align	6, 0x0
	.amdhsa_kernel _ZL26rocblas_hemvn_kernel_lowerILb0ELi64ELi4ELi33ELi32ELi16ElfPKfPfEviT6_lT7_lT5_lS4_lS5_lS3_lT8_i
		.amdhsa_group_segment_fixed_size 4800
		.amdhsa_private_segment_fixed_size 0
		.amdhsa_kernarg_size 368
		.amdhsa_user_sgpr_count 14
		.amdhsa_user_sgpr_dispatch_ptr 0
		.amdhsa_user_sgpr_queue_ptr 0
		.amdhsa_user_sgpr_kernarg_segment_ptr 1
		.amdhsa_user_sgpr_dispatch_id 0
		.amdhsa_user_sgpr_private_segment_size 0
		.amdhsa_wavefront_size32 1
		.amdhsa_uses_dynamic_stack 0
		.amdhsa_enable_private_segment 0
		.amdhsa_system_sgpr_workgroup_id_x 1
		.amdhsa_system_sgpr_workgroup_id_y 0
		.amdhsa_system_sgpr_workgroup_id_z 1
		.amdhsa_system_sgpr_workgroup_info 0
		.amdhsa_system_vgpr_workitem_id 1
		.amdhsa_next_free_vgpr 68
		.amdhsa_next_free_sgpr 46
		.amdhsa_reserve_vcc 1
		.amdhsa_float_round_mode_32 0
		.amdhsa_float_round_mode_16_64 0
		.amdhsa_float_denorm_mode_32 3
		.amdhsa_float_denorm_mode_16_64 3
		.amdhsa_dx10_clamp 1
		.amdhsa_ieee_mode 1
		.amdhsa_fp16_overflow 0
		.amdhsa_workgroup_processor_mode 1
		.amdhsa_memory_ordered 1
		.amdhsa_forward_progress 0
		.amdhsa_shared_vgpr_count 0
		.amdhsa_exception_fp_ieee_invalid_op 0
		.amdhsa_exception_fp_denorm_src 0
		.amdhsa_exception_fp_ieee_div_zero 0
		.amdhsa_exception_fp_ieee_overflow 0
		.amdhsa_exception_fp_ieee_underflow 0
		.amdhsa_exception_fp_ieee_inexact 0
		.amdhsa_exception_int_div_zero 0
	.end_amdhsa_kernel
	.section	.text._ZL26rocblas_hemvn_kernel_lowerILb0ELi64ELi4ELi33ELi32ELi16ElfPKfPfEviT6_lT7_lT5_lS4_lS5_lS3_lT8_i,"axG",@progbits,_ZL26rocblas_hemvn_kernel_lowerILb0ELi64ELi4ELi33ELi32ELi16ElfPKfPfEviT6_lT7_lT5_lS4_lS5_lS3_lT8_i,comdat
.Lfunc_end85:
	.size	_ZL26rocblas_hemvn_kernel_lowerILb0ELi64ELi4ELi33ELi32ELi16ElfPKfPfEviT6_lT7_lT5_lS4_lS5_lS3_lT8_i, .Lfunc_end85-_ZL26rocblas_hemvn_kernel_lowerILb0ELi64ELi4ELi33ELi32ELi16ElfPKfPfEviT6_lT7_lT5_lS4_lS5_lS3_lT8_i
                                        ; -- End function
	.section	.AMDGPU.csdata,"",@progbits
; Kernel info:
; codeLenInByte = 6600
; NumSgprs: 48
; NumVgprs: 68
; ScratchSize: 0
; MemoryBound: 0
; FloatMode: 240
; IeeeMode: 1
; LDSByteSize: 4800 bytes/workgroup (compile time only)
; SGPRBlocks: 5
; VGPRBlocks: 8
; NumSGPRsForWavesPerEU: 48
; NumVGPRsForWavesPerEU: 68
; Occupancy: 16
; WaveLimiterHint : 1
; COMPUTE_PGM_RSRC2:SCRATCH_EN: 0
; COMPUTE_PGM_RSRC2:USER_SGPR: 14
; COMPUTE_PGM_RSRC2:TRAP_HANDLER: 0
; COMPUTE_PGM_RSRC2:TGID_X_EN: 1
; COMPUTE_PGM_RSRC2:TGID_Y_EN: 0
; COMPUTE_PGM_RSRC2:TGID_Z_EN: 1
; COMPUTE_PGM_RSRC2:TIDIG_COMP_CNT: 1
	.section	.text._ZL36rocblas_hemvn_kernel_lower_block_sumILi64ElfPffEviT1_lS1_lT2_lT0_lPT3_i,"axG",@progbits,_ZL36rocblas_hemvn_kernel_lower_block_sumILi64ElfPffEviT1_lS1_lT2_lT0_lPT3_i,comdat
	.globl	_ZL36rocblas_hemvn_kernel_lower_block_sumILi64ElfPffEviT1_lS1_lT2_lT0_lPT3_i ; -- Begin function _ZL36rocblas_hemvn_kernel_lower_block_sumILi64ElfPffEviT1_lS1_lT2_lT0_lPT3_i
	.p2align	8
	.type	_ZL36rocblas_hemvn_kernel_lower_block_sumILi64ElfPffEviT1_lS1_lT2_lT0_lPT3_i,@function
_ZL36rocblas_hemvn_kernel_lower_block_sumILi64ElfPffEviT1_lS1_lT2_lT0_lPT3_i: ; @_ZL36rocblas_hemvn_kernel_lower_block_sumILi64ElfPffEviT1_lS1_lT2_lT0_lPT3_i
; %bb.0:
	s_clause 0x1
	s_load_b64 s[8:9], s[0:1], 0x0
	s_load_b32 s3, s[0:1], 0x10
	s_mov_b32 s10, 0
	s_waitcnt lgkmcnt(0)
	v_cmp_eq_f32_e64 s2, s9, 0
	v_cmp_eq_f32_e64 s4, s3, 1.0
	s_delay_alu instid0(VALU_DEP_1) | instskip(NEXT) | instid1(SALU_CYCLE_1)
	s_and_b32 s2, s2, s4
	s_and_b32 vcc_lo, exec_lo, s2
	s_cbranch_vccnz .LBB86_19
; %bb.1:
	s_clause 0x2
	s_load_b64 s[12:13], s[0:1], 0x38
	s_load_b64 s[16:17], s[0:1], 0x20
	s_load_b128 s[4:7], s[0:1], 0x28
	v_lshl_or_b32 v0, s14, 6, v0
	s_waitcnt lgkmcnt(0)
	s_mul_i32 s2, s15, s13
	s_mul_hi_u32 s11, s15, s12
	s_mul_i32 s12, s15, s12
	s_add_i32 s13, s11, s2
	v_cmp_neq_f32_e64 s2, s9, 0
	s_lshl_b64 s[12:13], s[12:13], 2
	s_delay_alu instid0(SALU_CYCLE_1) | instskip(SKIP_2) | instid1(SALU_CYCLE_1)
	s_add_u32 s11, s16, s12
	s_addc_u32 s12, s17, s13
	s_lshl_b64 s[4:5], s[4:5], 2
	s_add_u32 s4, s11, s4
	s_addc_u32 s5, s12, s5
	s_and_b32 vcc_lo, exec_lo, s2
	v_cmp_gt_i32_e64 s2, s8, v0
	s_cbranch_vccnz .LBB86_6
; %bb.2:
	s_mov_b32 s11, 0
                                        ; implicit-def: $vgpr3
                                        ; implicit-def: $vgpr1_vgpr2
	s_delay_alu instid0(VALU_DEP_1)
	s_and_saveexec_b32 s12, s2
	s_cbranch_execz .LBB86_7
; %bb.3:
	v_ashrrev_i32_e32 v3, 31, v0
	v_mul_lo_u32 v4, v0, s7
	v_mad_u64_u32 v[1:2], null, v0, s6, 0
	v_cmp_eq_f32_e64 s2, s3, 0
	s_delay_alu instid0(VALU_DEP_4) | instskip(NEXT) | instid1(VALU_DEP_2)
	v_mul_lo_u32 v3, v3, s6
	s_and_b32 vcc_lo, exec_lo, s2
	s_delay_alu instid0(VALU_DEP_1)
	v_add3_u32 v2, v2, v4, v3
	v_mov_b32_e32 v3, 0
	s_cbranch_vccnz .LBB86_5
; %bb.4:
	s_delay_alu instid0(VALU_DEP_2) | instskip(NEXT) | instid1(VALU_DEP_1)
	v_lshlrev_b64 v[3:4], 2, v[1:2]
	v_add_co_u32 v3, vcc_lo, s4, v3
	s_delay_alu instid0(VALU_DEP_2)
	v_add_co_ci_u32_e32 v4, vcc_lo, s5, v4, vcc_lo
	global_load_b32 v3, v[3:4], off
	s_waitcnt vmcnt(0)
	v_mul_f32_e32 v3, s3, v3
.LBB86_5:
	s_mov_b32 s10, exec_lo
	s_or_b32 exec_lo, exec_lo, s12
	s_delay_alu instid0(SALU_CYCLE_1)
	s_and_b32 vcc_lo, exec_lo, s11
	s_cbranch_vccnz .LBB86_8
	s_branch .LBB86_17
.LBB86_6:
                                        ; implicit-def: $vgpr3
                                        ; implicit-def: $vgpr1_vgpr2
	s_cbranch_execnz .LBB86_8
	s_branch .LBB86_17
.LBB86_7:
	s_or_b32 exec_lo, exec_lo, s12
	s_delay_alu instid0(SALU_CYCLE_1)
	s_and_b32 vcc_lo, exec_lo, s11
	s_cbranch_vccz .LBB86_17
.LBB86_8:
	s_mov_b32 s2, exec_lo
                                        ; implicit-def: $vgpr3
                                        ; implicit-def: $vgpr1_vgpr2
	v_cmpx_gt_i32_e64 s8, v0
	s_cbranch_execz .LBB86_16
; %bb.9:
	s_load_b32 s11, s[0:1], 0x50
	v_mov_b32_e32 v4, 0
	s_waitcnt lgkmcnt(0)
	s_cmp_ge_i32 s14, s11
	s_cbranch_scc1 .LBB86_12
; %bb.10:
	s_load_b64 s[0:1], s[0:1], 0x40
	v_mad_u64_u32 v[1:2], null, s14, s8, v[0:1]
	s_ashr_i32 s13, s8, 31
	s_mul_hi_u32 s12, s8, s15
	s_mul_i32 s16, s13, s15
	s_mul_i32 s15, s8, s15
	s_add_i32 s12, s12, s16
	s_mul_hi_u32 s17, s15, s11
	s_delay_alu instid0(VALU_DEP_1)
	v_ashrrev_i32_e32 v2, 31, v1
	s_mul_i32 s12, s12, s11
	s_mul_i32 s16, s15, s11
	s_add_i32 s17, s17, s12
	v_mov_b32_e32 v4, 0
	v_lshlrev_b64 v[1:2], 2, v[1:2]
	s_lshl_b64 s[16:17], s[16:17], 2
	s_mov_b32 s12, s8
	s_waitcnt lgkmcnt(0)
	s_add_u32 s0, s0, s16
	s_addc_u32 s1, s1, s17
	v_add_co_u32 v1, vcc_lo, s0, v1
	v_add_co_ci_u32_e32 v2, vcc_lo, s1, v2, vcc_lo
	s_lshl_b64 s[0:1], s[12:13], 2
.LBB86_11:                              ; =>This Inner Loop Header: Depth=1
	global_load_b32 v3, v[1:2], off
	v_add_co_u32 v1, vcc_lo, v1, s0
	v_add_co_ci_u32_e32 v2, vcc_lo, s1, v2, vcc_lo
	s_add_i32 s14, s14, 1
	s_delay_alu instid0(SALU_CYCLE_1)
	s_cmp_ge_i32 s14, s11
	s_waitcnt vmcnt(0)
	v_add_f32_e32 v4, v4, v3
	s_cbranch_scc0 .LBB86_11
.LBB86_12:
	v_ashrrev_i32_e32 v1, 31, v0
	v_mul_lo_u32 v5, v0, s7
	v_cmp_eq_f32_e64 s0, s3, 0
	s_delay_alu instid0(VALU_DEP_3) | instskip(NEXT) | instid1(VALU_DEP_2)
	v_mul_lo_u32 v6, v1, s6
	s_and_b32 vcc_lo, exec_lo, s0
	s_mov_b32 s0, 0
	s_cbranch_vccz .LBB86_20
; %bb.13:
	v_mad_u64_u32 v[1:2], null, v0, s6, 0
	v_mul_f32_e32 v3, s9, v4
	s_delay_alu instid0(VALU_DEP_2)
	v_add3_u32 v2, v2, v5, v6
	s_and_not1_b32 vcc_lo, exec_lo, s0
	s_cbranch_vccnz .LBB86_15
.LBB86_14:
	v_mad_u64_u32 v[1:2], null, v0, s6, 0
	s_delay_alu instid0(VALU_DEP_1) | instskip(NEXT) | instid1(VALU_DEP_1)
	v_add3_u32 v2, v2, v5, v6
	v_lshlrev_b64 v[5:6], 2, v[1:2]
	s_delay_alu instid0(VALU_DEP_1) | instskip(NEXT) | instid1(VALU_DEP_2)
	v_add_co_u32 v5, vcc_lo, s4, v5
	v_add_co_ci_u32_e32 v6, vcc_lo, s5, v6, vcc_lo
	global_load_b32 v0, v[5:6], off
	s_waitcnt vmcnt(0)
	v_mul_f32_e32 v3, s3, v0
	s_delay_alu instid0(VALU_DEP_1)
	v_fmac_f32_e32 v3, s9, v4
.LBB86_15:
	s_or_b32 s10, s10, exec_lo
.LBB86_16:
	s_or_b32 exec_lo, exec_lo, s2
.LBB86_17:
	s_and_saveexec_b32 s0, s10
	s_cbranch_execz .LBB86_19
; %bb.18:
	v_lshlrev_b64 v[0:1], 2, v[1:2]
	s_delay_alu instid0(VALU_DEP_1) | instskip(NEXT) | instid1(VALU_DEP_2)
	v_add_co_u32 v0, vcc_lo, s4, v0
	v_add_co_ci_u32_e32 v1, vcc_lo, s5, v1, vcc_lo
	global_store_b32 v[0:1], v3, off
.LBB86_19:
	s_nop 0
	s_sendmsg sendmsg(MSG_DEALLOC_VGPRS)
	s_endpgm
.LBB86_20:
                                        ; implicit-def: $vgpr3
                                        ; implicit-def: $vgpr1_vgpr2
	s_branch .LBB86_14
	.section	.rodata,"a",@progbits
	.p2align	6, 0x0
	.amdhsa_kernel _ZL36rocblas_hemvn_kernel_lower_block_sumILi64ElfPffEviT1_lS1_lT2_lT0_lPT3_i
		.amdhsa_group_segment_fixed_size 0
		.amdhsa_private_segment_fixed_size 0
		.amdhsa_kernarg_size 336
		.amdhsa_user_sgpr_count 14
		.amdhsa_user_sgpr_dispatch_ptr 0
		.amdhsa_user_sgpr_queue_ptr 0
		.amdhsa_user_sgpr_kernarg_segment_ptr 1
		.amdhsa_user_sgpr_dispatch_id 0
		.amdhsa_user_sgpr_private_segment_size 0
		.amdhsa_wavefront_size32 1
		.amdhsa_uses_dynamic_stack 0
		.amdhsa_enable_private_segment 0
		.amdhsa_system_sgpr_workgroup_id_x 1
		.amdhsa_system_sgpr_workgroup_id_y 0
		.amdhsa_system_sgpr_workgroup_id_z 1
		.amdhsa_system_sgpr_workgroup_info 0
		.amdhsa_system_vgpr_workitem_id 0
		.amdhsa_next_free_vgpr 7
		.amdhsa_next_free_sgpr 18
		.amdhsa_reserve_vcc 1
		.amdhsa_float_round_mode_32 0
		.amdhsa_float_round_mode_16_64 0
		.amdhsa_float_denorm_mode_32 3
		.amdhsa_float_denorm_mode_16_64 3
		.amdhsa_dx10_clamp 1
		.amdhsa_ieee_mode 1
		.amdhsa_fp16_overflow 0
		.amdhsa_workgroup_processor_mode 1
		.amdhsa_memory_ordered 1
		.amdhsa_forward_progress 0
		.amdhsa_shared_vgpr_count 0
		.amdhsa_exception_fp_ieee_invalid_op 0
		.amdhsa_exception_fp_denorm_src 0
		.amdhsa_exception_fp_ieee_div_zero 0
		.amdhsa_exception_fp_ieee_overflow 0
		.amdhsa_exception_fp_ieee_underflow 0
		.amdhsa_exception_fp_ieee_inexact 0
		.amdhsa_exception_int_div_zero 0
	.end_amdhsa_kernel
	.section	.text._ZL36rocblas_hemvn_kernel_lower_block_sumILi64ElfPffEviT1_lS1_lT2_lT0_lPT3_i,"axG",@progbits,_ZL36rocblas_hemvn_kernel_lower_block_sumILi64ElfPffEviT1_lS1_lT2_lT0_lPT3_i,comdat
.Lfunc_end86:
	.size	_ZL36rocblas_hemvn_kernel_lower_block_sumILi64ElfPffEviT1_lS1_lT2_lT0_lPT3_i, .Lfunc_end86-_ZL36rocblas_hemvn_kernel_lower_block_sumILi64ElfPffEviT1_lS1_lT2_lT0_lPT3_i
                                        ; -- End function
	.section	.AMDGPU.csdata,"",@progbits
; Kernel info:
; codeLenInByte = 740
; NumSgprs: 20
; NumVgprs: 7
; ScratchSize: 0
; MemoryBound: 0
; FloatMode: 240
; IeeeMode: 1
; LDSByteSize: 0 bytes/workgroup (compile time only)
; SGPRBlocks: 2
; VGPRBlocks: 0
; NumSGPRsForWavesPerEU: 20
; NumVGPRsForWavesPerEU: 7
; Occupancy: 16
; WaveLimiterHint : 0
; COMPUTE_PGM_RSRC2:SCRATCH_EN: 0
; COMPUTE_PGM_RSRC2:USER_SGPR: 14
; COMPUTE_PGM_RSRC2:TRAP_HANDLER: 0
; COMPUTE_PGM_RSRC2:TGID_X_EN: 1
; COMPUTE_PGM_RSRC2:TGID_Y_EN: 0
; COMPUTE_PGM_RSRC2:TGID_Z_EN: 1
; COMPUTE_PGM_RSRC2:TIDIG_COMP_CNT: 0
	.section	.text._ZL26rocblas_hemvn_kernel_lowerILb0ELi64ELi4ELi33ELi32ELi16EifPKfPfEviT6_lT7_lT5_lS4_lS5_lS3_lT8_i,"axG",@progbits,_ZL26rocblas_hemvn_kernel_lowerILb0ELi64ELi4ELi33ELi32ELi16EifPKfPfEviT6_lT7_lT5_lS4_lS5_lS3_lT8_i,comdat
	.globl	_ZL26rocblas_hemvn_kernel_lowerILb0ELi64ELi4ELi33ELi32ELi16EifPKfPfEviT6_lT7_lT5_lS4_lS5_lS3_lT8_i ; -- Begin function _ZL26rocblas_hemvn_kernel_lowerILb0ELi64ELi4ELi33ELi32ELi16EifPKfPfEviT6_lT7_lT5_lS4_lS5_lS3_lT8_i
	.p2align	8
	.type	_ZL26rocblas_hemvn_kernel_lowerILb0ELi64ELi4ELi33ELi32ELi16EifPKfPfEviT6_lT7_lT5_lS4_lS5_lS3_lT8_i,@function
_ZL26rocblas_hemvn_kernel_lowerILb0ELi64ELi4ELi33ELi32ELi16EifPKfPfEviT6_lT7_lT5_lS4_lS5_lS3_lT8_i: ; @_ZL26rocblas_hemvn_kernel_lowerILb0ELi64ELi4ELi33ELi32ELi16EifPKfPfEviT6_lT7_lT5_lS4_lS5_lS3_lT8_i
; %bb.0:
	s_load_b64 s[4:5], s[0:1], 0x7c
	s_add_u32 s2, s0, 0x70
	s_addc_u32 s3, s1, 0
	s_waitcnt lgkmcnt(0)
	s_lshr_b32 s6, s4, 16
	s_and_b32 s4, s4, 0xffff
	s_and_b32 s5, s5, 0xffff
	s_mul_i32 s4, s6, s4
	s_delay_alu instid0(SALU_CYCLE_1) | instskip(NEXT) | instid1(SALU_CYCLE_1)
	s_mul_i32 s4, s4, s5
	s_cmpk_lg_i32 s4, 0x100
	s_cbranch_scc1 .LBB87_76
; %bb.1:
	s_clause 0x1
	s_load_b64 s[12:13], s[0:1], 0x0
	s_load_b32 s5, s[0:1], 0x50
	s_waitcnt lgkmcnt(0)
	v_cmp_eq_f32_e64 s4, s13, 0
	v_cmp_eq_f32_e64 s5, s5, 1.0
	s_delay_alu instid0(VALU_DEP_1) | instskip(NEXT) | instid1(SALU_CYCLE_1)
	s_and_b32 s5, s4, s5
	s_and_b32 vcc_lo, exec_lo, s5
	s_cbranch_vccnz .LBB87_76
; %bb.2:
	s_and_b32 vcc_lo, exec_lo, s4
	s_cbranch_vccnz .LBB87_76
; %bb.3:
	s_clause 0x3
	s_load_b64 s[8:9], s[0:1], 0x48
	s_load_b128 s[4:7], s[0:1], 0x28
	s_load_b64 s[10:11], s[0:1], 0x38
	s_load_b32 s13, s[0:1], 0x40
	v_and_b32_e32 v17, 0x3ff, v0
	s_load_b32 s26, s[2:3], 0x0
	v_bfe_u32 v15, v0, 10, 10
	s_waitcnt lgkmcnt(0)
	s_mul_i32 s9, s15, s9
	s_mul_hi_u32 s16, s15, s8
	s_mul_i32 s8, s15, s8
	s_add_i32 s9, s16, s9
	s_delay_alu instid0(SALU_CYCLE_1) | instskip(NEXT) | instid1(SALU_CYCLE_1)
	s_lshl_b64 s[8:9], s[8:9], 2
	s_add_u32 s8, s6, s8
	s_addc_u32 s9, s7, s9
	s_lshl_b64 s[6:7], s[10:11], 2
	s_delay_alu instid0(SALU_CYCLE_1)
	s_add_u32 s6, s8, s6
	s_addc_u32 s7, s9, s7
	s_lshl_b32 s16, s14, 6
	s_ashr_i32 s27, s12, 31
	v_add_nc_u32_e32 v4, s16, v17
	s_lshr_b32 s2, s27, 26
	s_add_i32 s8, s26, -1
	s_add_i32 s3, s12, s2
	v_cmp_ne_u32_e64 s2, 0, v15
	v_mul_lo_u32 v1, v4, s13
	s_and_not1_b32 s3, s3, 63
	s_delay_alu instid0(SALU_CYCLE_1) | instskip(SKIP_3) | instid1(VALU_DEP_2)
	s_sub_i32 s9, s12, s3
	v_cmp_eq_u32_e64 s3, 0, v15
	s_cmp_eq_u32 s14, s8
	s_cselect_b32 s18, s9, 0
	v_ashrrev_i32_e32 v2, 31, v1
	s_delay_alu instid0(VALU_DEP_1) | instskip(NEXT) | instid1(VALU_DEP_1)
	v_lshlrev_b64 v[0:1], 2, v[1:2]
	v_add_co_u32 v5, vcc_lo, s6, v0
	s_delay_alu instid0(VALU_DEP_2)
	v_add_co_ci_u32_e32 v6, vcc_lo, s7, v1, vcc_lo
	s_and_saveexec_b32 s6, s3
	s_cbranch_execz .LBB87_7
; %bb.4:
	v_cmp_gt_i32_e32 vcc_lo, s18, v17
	s_cmp_eq_u32 s18, 0
	v_mov_b32_e32 v0, 0
	s_cselect_b32 s7, -1, 0
	s_delay_alu instid0(SALU_CYCLE_1) | instskip(NEXT) | instid1(SALU_CYCLE_1)
	s_or_b32 s8, s7, vcc_lo
	s_and_saveexec_b32 s7, s8
	s_cbranch_execz .LBB87_6
; %bb.5:
	global_load_b32 v0, v[5:6], off
.LBB87_6:
	s_or_b32 exec_lo, exec_lo, s7
	v_lshlrev_b32_e32 v1, 2, v17
	s_waitcnt vmcnt(0)
	ds_store_b32 v1, v0 offset:4544
.LBB87_7:
	s_or_b32 exec_lo, exec_lo, s6
	s_clause 0x1
	s_load_b128 s[20:23], s[0:1], 0x10
	s_load_b32 s10, s[0:1], 0x20
	v_lshl_add_u32 v18, v15, 6, v17
	v_and_b32_e32 v0, 31, v17
	s_mul_i32 s5, s15, s5
	s_mul_hi_u32 s6, s15, s4
	s_mul_i32 s4, s15, s4
	v_lshrrev_b32_e32 v3, 5, v18
	s_add_i32 s5, s6, s5
	s_delay_alu instid0(SALU_CYCLE_1)
	s_lshl_b64 s[4:5], s[4:5], 2
	s_waitcnt lgkmcnt(0)
	s_add_u32 s6, s20, s4
	v_mad_u64_u32 v[1:2], null, v3, s10, v[0:1]
	s_addc_u32 s7, s21, s5
	s_lshl_b64 s[4:5], s[22:23], 2
	s_delay_alu instid0(SALU_CYCLE_1) | instskip(SKIP_2) | instid1(VALU_DEP_1)
	s_add_u32 s8, s6, s4
	s_addc_u32 s7, s7, s5
	s_ashr_i32 s17, s16, 31
	v_ashrrev_i32_e32 v2, 31, v1
	s_lshl_b64 s[4:5], s[16:17], 2
	s_mul_i32 s6, s16, s10
	s_add_u32 s4, s8, s4
	s_addc_u32 s5, s7, s5
	s_ashr_i32 s7, s6, 31
	v_lshlrev_b64 v[7:8], 2, v[1:2]
	s_lshl_b64 s[20:21], s[6:7], 2
	s_delay_alu instid0(SALU_CYCLE_1) | instskip(SKIP_2) | instid1(VALU_DEP_1)
	s_add_u32 s4, s20, s4
	s_addc_u32 s5, s21, s5
	s_cmp_lg_u32 s18, 0
	v_add_co_u32 v1, vcc_lo, s4, v7
	v_add_co_ci_u32_e32 v2, vcc_lo, s5, v8, vcc_lo
	s_cselect_b32 s17, -1, 0
	s_cmp_eq_u32 s18, 0
	s_mov_b32 s4, 0
	s_cselect_b32 s9, -1, 0
	s_and_b32 vcc_lo, exec_lo, s17
	s_cbranch_vccnz .LBB87_9
; %bb.8:
	s_lshl_b32 s6, s10, 3
	s_ashr_i32 s11, s10, 31
	s_ashr_i32 s7, s6, 31
	s_delay_alu instid0(SALU_CYCLE_1) | instskip(NEXT) | instid1(SALU_CYCLE_1)
	s_lshl_b64 s[6:7], s[6:7], 2
	v_add_co_u32 v9, vcc_lo, v1, s6
	v_add_co_ci_u32_e32 v10, vcc_lo, s7, v2, vcc_lo
	s_lshl_b64 s[6:7], s[10:11], 5
	s_delay_alu instid0(VALU_DEP_2) | instid1(SALU_CYCLE_1)
	v_add_co_u32 v11, vcc_lo, v9, s6
	s_delay_alu instid0(VALU_DEP_2) | instskip(NEXT) | instid1(VALU_DEP_2)
	v_add_co_ci_u32_e32 v12, vcc_lo, s7, v10, vcc_lo
	v_add_co_u32 v13, vcc_lo, v11, s6
	s_delay_alu instid0(VALU_DEP_2)
	v_add_co_ci_u32_e32 v14, vcc_lo, s7, v12, vcc_lo
	s_clause 0x1
	global_load_b32 v16, v[1:2], off
	global_load_b32 v9, v[9:10], off
	;; [unrolled: 1-line block ×4, first 2 shown]
	v_mul_u32_u24_e32 v12, 33, v3
	s_delay_alu instid0(VALU_DEP_1)
	v_add_lshl_u32 v12, v12, v0, 2
	s_waitcnt vmcnt(3)
	ds_store_b32 v12, v16
	s_waitcnt vmcnt(2)
	ds_store_b32 v12, v9 offset:1056
	s_waitcnt vmcnt(1)
	ds_store_b32 v12, v10 offset:2112
	;; [unrolled: 2-line block ×3, first 2 shown]
	s_and_not1_b32 vcc_lo, exec_lo, s4
	s_cbranch_vccz .LBB87_10
	s_branch .LBB87_19
.LBB87_9:
.LBB87_10:
	v_dual_mov_b32 v14, 0 :: v_dual_lshlrev_b32 v11, 2, v0
	s_ashr_i32 s19, s18, 31
	v_mov_b32_e32 v13, 0
	s_lshl_b64 s[6:7], s[18:19], 2
	s_delay_alu instid0(VALU_DEP_2) | instskip(SKIP_2) | instid1(VALU_DEP_2)
	v_sub_co_u32 v9, vcc_lo, v1, v11
	v_subrev_co_ci_u32_e32 v10, vcc_lo, 0, v2, vcc_lo
	s_mov_b32 s5, exec_lo
	v_add_co_u32 v9, vcc_lo, v9, s6
	s_delay_alu instid0(VALU_DEP_2) | instskip(NEXT) | instid1(VALU_DEP_2)
	v_add_co_ci_u32_e32 v10, vcc_lo, s7, v10, vcc_lo
	v_add_co_u32 v9, vcc_lo, v9, -4
	s_delay_alu instid0(VALU_DEP_2) | instskip(SKIP_1) | instid1(VALU_DEP_2)
	v_add_co_ci_u32_e32 v10, vcc_lo, -1, v10, vcc_lo
	v_cmp_gt_i32_e32 vcc_lo, s18, v0
	v_dual_cndmask_b32 v10, v10, v2 :: v_dual_cndmask_b32 v9, v9, v1
	v_cmpx_gt_i32_e64 s18, v3
	s_cbranch_execz .LBB87_12
; %bb.11:
	global_load_b32 v13, v[9:10], off
.LBB87_12:
	s_or_b32 exec_lo, exec_lo, s5
	v_mul_u32_u24_e32 v12, 33, v3
	v_add_nc_u32_e32 v16, 8, v3
	s_mov_b32 s5, exec_lo
	s_delay_alu instid0(VALU_DEP_2)
	v_add_lshl_u32 v12, v12, v0, 2
	s_waitcnt vmcnt(0)
	ds_store_b32 v12, v13
	v_cmpx_gt_i32_e64 s18, v16
	s_cbranch_execz .LBB87_14
; %bb.13:
	s_lshl_b32 s22, s10, 3
	s_delay_alu instid0(SALU_CYCLE_1) | instskip(NEXT) | instid1(SALU_CYCLE_1)
	s_ashr_i32 s23, s22, 31
	s_lshl_b64 s[22:23], s[22:23], 2
	s_delay_alu instid0(SALU_CYCLE_1) | instskip(NEXT) | instid1(VALU_DEP_1)
	v_add_co_u32 v13, s4, v9, s22
	v_add_co_ci_u32_e64 v14, s4, s23, v10, s4
	global_load_b32 v14, v[13:14], off
.LBB87_14:
	s_or_b32 exec_lo, exec_lo, s5
	v_dual_mov_b32 v13, 0 :: v_dual_add_nc_u32 v16, 16, v3
	s_waitcnt vmcnt(0)
	ds_store_b32 v12, v14 offset:1056
	v_cmp_gt_i32_e64 s4, s18, v16
	v_mov_b32_e32 v16, 0
	s_delay_alu instid0(VALU_DEP_2)
	s_and_saveexec_b32 s5, s4
	s_cbranch_execz .LBB87_16
; %bb.15:
	s_lshl_b32 s22, s10, 4
	s_delay_alu instid0(SALU_CYCLE_1) | instskip(NEXT) | instid1(SALU_CYCLE_1)
	s_ashr_i32 s23, s22, 31
	s_lshl_b64 s[22:23], s[22:23], 2
	s_delay_alu instid0(SALU_CYCLE_1) | instskip(NEXT) | instid1(VALU_DEP_1)
	v_add_co_u32 v19, s4, v9, s22
	v_add_co_ci_u32_e64 v20, s4, s23, v10, s4
	global_load_b32 v16, v[19:20], off
.LBB87_16:
	s_or_b32 exec_lo, exec_lo, s5
	v_add_nc_u32_e32 v14, 24, v3
	s_mov_b32 s5, exec_lo
	s_waitcnt vmcnt(0)
	ds_store_b32 v12, v16 offset:2112
	v_cmpx_gt_i32_e64 s18, v14
	s_cbranch_execz .LBB87_18
; %bb.17:
	s_mul_i32 s22, s10, 24
	s_delay_alu instid0(SALU_CYCLE_1) | instskip(NEXT) | instid1(SALU_CYCLE_1)
	s_ashr_i32 s23, s22, 31
	s_lshl_b64 s[22:23], s[22:23], 2
	s_delay_alu instid0(SALU_CYCLE_1) | instskip(NEXT) | instid1(VALU_DEP_1)
	v_add_co_u32 v13, s4, v9, s22
	v_add_co_ci_u32_e64 v14, s4, s23, v10, s4
	global_load_b32 v13, v[13:14], off
.LBB87_18:
	s_or_b32 exec_lo, exec_lo, s5
	v_add_co_u32 v9, s4, v9, v11
	s_delay_alu instid0(VALU_DEP_1) | instskip(SKIP_3) | instid1(VALU_DEP_1)
	v_add_co_ci_u32_e64 v10, s4, 0, v10, s4
	s_waitcnt vmcnt(0)
	ds_store_b32 v12, v13 offset:3168
	v_sub_co_u32 v9, s4, v9, s6
	v_subrev_co_ci_u32_e64 v10, s4, s7, v10, s4
	s_delay_alu instid0(VALU_DEP_2) | instskip(NEXT) | instid1(VALU_DEP_1)
	v_add_co_u32 v9, s4, v9, 4
	v_add_co_ci_u32_e64 v10, s4, 0, v10, s4
	s_delay_alu instid0(VALU_DEP_1)
	v_dual_cndmask_b32 v1, v9, v1 :: v_dual_cndmask_b32 v2, v10, v2
.LBB87_19:
	v_lshlrev_b32_e32 v11, 2, v3
	v_mul_u32_u24_e32 v19, 33, v0
	v_mul_u32_u24_e32 v10, 0x84, v3
	s_waitcnt lgkmcnt(0)
	s_barrier
	v_cmp_lt_u32_e64 s5, v11, v0
	v_add_lshl_u32 v13, v11, v19, 2
	buffer_gl0_inv
	s_and_saveexec_b32 s4, s5
	s_cbranch_execz .LBB87_21
; %bb.20:
	v_add_lshl_u32 v9, v10, v0, 2
	ds_load_b32 v9, v9
	s_waitcnt lgkmcnt(0)
	ds_store_b32 v13, v9
.LBB87_21:
	s_or_b32 exec_lo, exec_lo, s4
	v_or_b32_e32 v9, 1, v11
	s_delay_alu instid0(VALU_DEP_1) | instskip(NEXT) | instid1(VALU_DEP_1)
	v_cmp_lt_u32_e64 s6, v9, v0
	s_and_saveexec_b32 s4, s6
	s_cbranch_execz .LBB87_23
; %bb.22:
	v_mul_u32_u24_e32 v9, 33, v9
	s_delay_alu instid0(VALU_DEP_1)
	v_add_lshl_u32 v9, v9, v0, 2
	ds_load_b32 v9, v9
	s_waitcnt lgkmcnt(0)
	ds_store_b32 v13, v9 offset:4
.LBB87_23:
	s_or_b32 exec_lo, exec_lo, s4
	v_or_b32_e32 v9, 2, v11
	s_delay_alu instid0(VALU_DEP_1) | instskip(NEXT) | instid1(VALU_DEP_1)
	v_cmp_lt_u32_e64 s7, v9, v0
	s_and_saveexec_b32 s4, s7
	s_cbranch_execz .LBB87_25
; %bb.24:
	v_mul_u32_u24_e32 v9, 33, v9
	s_delay_alu instid0(VALU_DEP_1)
	v_add_lshl_u32 v9, v9, v0, 2
	ds_load_b32 v9, v9
	s_waitcnt lgkmcnt(0)
	ds_store_b32 v13, v9 offset:8
.LBB87_25:
	s_or_b32 exec_lo, exec_lo, s4
	v_or_b32_e32 v9, 3, v11
	s_delay_alu instid0(VALU_DEP_1) | instskip(SKIP_1) | instid1(VALU_DEP_2)
	v_mad_u32_u24 v12, v9, 33, v0
	v_cmp_lt_u32_e64 s8, v9, v0
	v_lshlrev_b32_e32 v9, 2, v12
	s_delay_alu instid0(VALU_DEP_2)
	s_and_saveexec_b32 s4, s8
	s_cbranch_execz .LBB87_27
; %bb.26:
	ds_load_b32 v12, v9
	s_waitcnt lgkmcnt(0)
	ds_store_b32 v13, v12 offset:12
.LBB87_27:
	s_or_b32 exec_lo, exec_lo, s4
	v_add_lshl_u32 v10, v10, v0, 2
	v_lshlrev_b32_e32 v12, 2, v11
	v_add_nc_u32_e32 v14, 0xfffffef8, v9
	s_waitcnt lgkmcnt(0)
	s_barrier
	buffer_gl0_inv
	ds_load_b32 v16, v10
	ds_load_b128 v[20:23], v12 offset:4544
	ds_load_2addr_b32 v[24:25], v14 offset1:33
	ds_load_b32 v26, v9
	v_cmp_gt_u32_e64 s4, 32, v18
	s_waitcnt lgkmcnt(0)
	s_barrier
	buffer_gl0_inv
	v_fma_f32 v27, v16, v20, 0
	v_add_lshl_u32 v20, v3, v19, 2
	s_delay_alu instid0(VALU_DEP_2) | instskip(NEXT) | instid1(VALU_DEP_1)
	v_fmac_f32_e32 v27, v24, v21
	v_dual_fmac_f32 v27, v25, v22 :: v_dual_mov_b32 v16, 0
	s_delay_alu instid0(VALU_DEP_1)
	v_fmac_f32_e32 v27, v26, v23
	ds_store_b32 v20, v27
	s_waitcnt lgkmcnt(0)
	s_barrier
	buffer_gl0_inv
	s_and_saveexec_b32 s11, s4
	s_cbranch_execz .LBB87_29
; %bb.28:
	v_lshlrev_b32_e32 v16, 2, v19
	ds_load_2addr_b32 v[21:22], v16 offset1:1
	ds_load_2addr_b32 v[23:24], v16 offset0:2 offset1:3
	ds_load_2addr_b32 v[25:26], v16 offset0:4 offset1:5
	;; [unrolled: 1-line block ×3, first 2 shown]
	s_waitcnt lgkmcnt(3)
	v_add_f32_e32 v16, v21, v22
	s_waitcnt lgkmcnt(2)
	s_delay_alu instid0(VALU_DEP_1) | instskip(NEXT) | instid1(VALU_DEP_1)
	v_add_f32_e32 v16, v16, v23
	v_add_f32_e32 v16, v16, v24
	s_waitcnt lgkmcnt(1)
	s_delay_alu instid0(VALU_DEP_1) | instskip(NEXT) | instid1(VALU_DEP_1)
	v_add_f32_e32 v16, v16, v25
	v_add_f32_e32 v16, v16, v26
	s_waitcnt lgkmcnt(0)
	s_delay_alu instid0(VALU_DEP_1) | instskip(NEXT) | instid1(VALU_DEP_1)
	v_add_f32_e32 v16, v16, v27
	v_add_f32_e32 v16, v16, v28
.LBB87_29:
	s_or_b32 exec_lo, exec_lo, s11
	s_lshl_b32 s22, s10, 5
	v_cndmask_b32_e64 v21, 0, 1, s9
	s_ashr_i32 s23, s22, 31
	s_delay_alu instid0(SALU_CYCLE_1)
	s_lshl_b64 s[22:23], s[22:23], 2
	s_barrier
	v_add_co_u32 v1, vcc_lo, v1, s22
	v_add_co_ci_u32_e32 v2, vcc_lo, s23, v2, vcc_lo
	buffer_gl0_inv
	v_add_co_u32 v22, vcc_lo, 0x80, v1
	v_add_co_ci_u32_e32 v23, vcc_lo, 0, v2, vcc_lo
	s_and_not1_b32 vcc_lo, exec_lo, s9
	s_cbranch_vccnz .LBB87_31
; %bb.30:
	s_lshl_b32 s24, s10, 3
	s_ashr_i32 s11, s10, 31
	s_ashr_i32 s25, s24, 31
	s_delay_alu instid0(SALU_CYCLE_1) | instskip(NEXT) | instid1(SALU_CYCLE_1)
	s_lshl_b64 s[24:25], s[24:25], 2
	v_add_co_u32 v24, vcc_lo, v1, s24
	v_add_co_ci_u32_e32 v25, vcc_lo, s25, v2, vcc_lo
	s_lshl_b64 s[24:25], s[10:11], 5
	s_delay_alu instid0(VALU_DEP_2) | instid1(SALU_CYCLE_1)
	v_add_co_u32 v26, vcc_lo, v24, s24
	s_delay_alu instid0(VALU_DEP_2) | instskip(NEXT) | instid1(VALU_DEP_2)
	v_add_co_ci_u32_e32 v27, vcc_lo, s25, v25, vcc_lo
	v_add_co_u32 v28, vcc_lo, v26, s24
	s_delay_alu instid0(VALU_DEP_2)
	v_add_co_ci_u32_e32 v29, vcc_lo, s25, v27, vcc_lo
	s_clause 0x3
	global_load_b32 v1, v[1:2], off offset:128
	global_load_b32 v2, v[24:25], off offset:128
	;; [unrolled: 1-line block ×4, first 2 shown]
	v_mul_u32_u24_e32 v26, 33, v3
	s_delay_alu instid0(VALU_DEP_1)
	v_add_lshl_u32 v26, v26, v0, 2
	s_waitcnt vmcnt(3)
	ds_store_b32 v26, v1
	s_waitcnt vmcnt(2)
	ds_store_b32 v26, v2 offset:1056
	s_waitcnt vmcnt(1)
	ds_store_b32 v26, v24 offset:2112
	;; [unrolled: 2-line block ×3, first 2 shown]
	s_cbranch_execz .LBB87_32
	s_branch .LBB87_41
.LBB87_31:
.LBB87_32:
	v_lshlrev_b32_e32 v24, 2, v0
	s_ashr_i32 s19, s18, 31
	v_or_b32_e32 v25, 32, v0
	s_lshl_b64 s[24:25], s[18:19], 2
	v_mov_b32_e32 v26, 0
	v_sub_co_u32 v1, vcc_lo, v22, v24
	v_subrev_co_ci_u32_e32 v2, vcc_lo, 0, v23, vcc_lo
	s_sub_i32 s11, s18, 32
	s_delay_alu instid0(VALU_DEP_2) | instskip(NEXT) | instid1(VALU_DEP_2)
	v_add_co_u32 v1, vcc_lo, v1, s24
	v_add_co_ci_u32_e32 v2, vcc_lo, s25, v2, vcc_lo
	s_mov_b32 s19, exec_lo
	s_delay_alu instid0(VALU_DEP_2) | instskip(NEXT) | instid1(VALU_DEP_2)
	v_add_co_u32 v1, vcc_lo, 0xffffff7c, v1
	v_add_co_ci_u32_e32 v2, vcc_lo, -1, v2, vcc_lo
	v_cmp_gt_i32_e32 vcc_lo, s18, v25
	v_mov_b32_e32 v27, 0
	s_delay_alu instid0(VALU_DEP_3)
	v_dual_cndmask_b32 v1, v1, v22 :: v_dual_cndmask_b32 v2, v2, v23
	v_cmpx_gt_i32_e64 s11, v3
	s_cbranch_execz .LBB87_34
; %bb.33:
	global_load_b32 v26, v[1:2], off
.LBB87_34:
	s_or_b32 exec_lo, exec_lo, s19
	v_mul_u32_u24_e32 v25, 33, v3
	v_add_nc_u32_e32 v28, 8, v3
	s_mov_b32 s19, exec_lo
	s_delay_alu instid0(VALU_DEP_2)
	v_add_lshl_u32 v25, v25, v0, 2
	s_waitcnt vmcnt(0)
	ds_store_b32 v25, v26
	v_cmpx_gt_i32_e64 s11, v28
	s_cbranch_execz .LBB87_36
; %bb.35:
	s_lshl_b32 s28, s10, 3
	s_delay_alu instid0(SALU_CYCLE_1) | instskip(NEXT) | instid1(SALU_CYCLE_1)
	s_ashr_i32 s29, s28, 31
	s_lshl_b64 s[28:29], s[28:29], 2
	s_delay_alu instid0(SALU_CYCLE_1) | instskip(NEXT) | instid1(VALU_DEP_1)
	v_add_co_u32 v26, s9, v1, s28
	v_add_co_ci_u32_e64 v27, s9, s29, v2, s9
	global_load_b32 v27, v[26:27], off
.LBB87_36:
	s_or_b32 exec_lo, exec_lo, s19
	v_add_nc_u32_e32 v28, 16, v3
	v_mov_b32_e32 v26, 0
	s_waitcnt vmcnt(0)
	ds_store_b32 v25, v27 offset:1056
	v_cmp_gt_i32_e64 s9, s11, v28
	v_mov_b32_e32 v28, 0
	s_delay_alu instid0(VALU_DEP_2)
	s_and_saveexec_b32 s19, s9
	s_cbranch_execz .LBB87_38
; %bb.37:
	s_lshl_b32 s28, s10, 4
	s_delay_alu instid0(SALU_CYCLE_1) | instskip(NEXT) | instid1(SALU_CYCLE_1)
	s_ashr_i32 s29, s28, 31
	s_lshl_b64 s[28:29], s[28:29], 2
	s_delay_alu instid0(SALU_CYCLE_1) | instskip(NEXT) | instid1(VALU_DEP_1)
	v_add_co_u32 v27, s9, v1, s28
	v_add_co_ci_u32_e64 v28, s9, s29, v2, s9
	global_load_b32 v28, v[27:28], off
.LBB87_38:
	s_or_b32 exec_lo, exec_lo, s19
	v_add_nc_u32_e32 v27, 24, v3
	s_waitcnt vmcnt(0)
	ds_store_b32 v25, v28 offset:2112
	v_cmp_gt_i32_e64 s9, s11, v27
	s_delay_alu instid0(VALU_DEP_1)
	s_and_saveexec_b32 s11, s9
	s_cbranch_execz .LBB87_40
; %bb.39:
	s_mul_i32 s28, s10, 24
	s_delay_alu instid0(SALU_CYCLE_1) | instskip(NEXT) | instid1(SALU_CYCLE_1)
	s_ashr_i32 s29, s28, 31
	s_lshl_b64 s[28:29], s[28:29], 2
	s_delay_alu instid0(SALU_CYCLE_1) | instskip(NEXT) | instid1(VALU_DEP_1)
	v_add_co_u32 v26, s9, v1, s28
	v_add_co_ci_u32_e64 v27, s9, s29, v2, s9
	global_load_b32 v26, v[26:27], off
.LBB87_40:
	s_or_b32 exec_lo, exec_lo, s11
	v_add_co_u32 v1, s9, v1, v24
	s_delay_alu instid0(VALU_DEP_1) | instskip(SKIP_3) | instid1(VALU_DEP_1)
	v_add_co_ci_u32_e64 v2, s9, 0, v2, s9
	s_waitcnt vmcnt(0)
	ds_store_b32 v25, v26 offset:3168
	v_sub_co_u32 v1, s9, v1, s24
	v_subrev_co_ci_u32_e64 v2, s9, s25, v2, s9
	s_delay_alu instid0(VALU_DEP_2) | instskip(NEXT) | instid1(VALU_DEP_1)
	v_add_co_u32 v1, s9, 0x84, v1
	v_add_co_ci_u32_e64 v2, s9, 0, v2, s9
	s_delay_alu instid0(VALU_DEP_1)
	v_dual_cndmask_b32 v22, v1, v22 :: v_dual_cndmask_b32 v23, v2, v23
.LBB87_41:
	v_add_nc_u32_e32 v12, 0x11c0, v12
	s_waitcnt lgkmcnt(0)
	s_barrier
	buffer_gl0_inv
	s_and_saveexec_b32 s9, s5
	s_cbranch_execnz .LBB87_50
; %bb.42:
	s_or_b32 exec_lo, exec_lo, s9
	s_and_saveexec_b32 s5, s6
	s_cbranch_execnz .LBB87_51
.LBB87_43:
	s_or_b32 exec_lo, exec_lo, s5
	s_and_saveexec_b32 s5, s7
	s_cbranch_execnz .LBB87_52
.LBB87_44:
	s_or_b32 exec_lo, exec_lo, s5
	s_and_saveexec_b32 s5, s8
	s_cbranch_execz .LBB87_46
.LBB87_45:
	ds_load_b32 v1, v9
	s_waitcnt lgkmcnt(0)
	ds_store_b32 v13, v1 offset:12
.LBB87_46:
	s_or_b32 exec_lo, exec_lo, s5
	s_waitcnt lgkmcnt(0)
	s_barrier
	buffer_gl0_inv
	ds_load_b32 v10, v10
	ds_load_b128 v[24:27], v12 offset:128
	ds_load_2addr_b32 v[1:2], v14 offset1:33
	ds_load_b32 v9, v9
	v_cmp_eq_u32_e64 s5, 1, v3
	s_waitcnt lgkmcnt(0)
	s_barrier
	buffer_gl0_inv
	v_fma_f32 v10, v10, v24, 0
	s_delay_alu instid0(VALU_DEP_1) | instskip(NEXT) | instid1(VALU_DEP_1)
	v_fmac_f32_e32 v10, v1, v25
	v_fmac_f32_e32 v10, v2, v26
	s_delay_alu instid0(VALU_DEP_1)
	v_fmac_f32_e32 v10, v9, v27
	ds_store_b32 v20, v10
	s_waitcnt lgkmcnt(0)
	s_barrier
	buffer_gl0_inv
	s_and_saveexec_b32 s6, s5
	s_cbranch_execz .LBB87_48
; %bb.47:
	v_lshlrev_b32_e32 v14, 2, v19
	ds_load_2addr_b32 v[1:2], v14 offset1:1
	ds_load_2addr_b32 v[9:10], v14 offset0:2 offset1:3
	ds_load_2addr_b32 v[24:25], v14 offset0:4 offset1:5
	;; [unrolled: 1-line block ×3, first 2 shown]
	s_waitcnt lgkmcnt(3)
	v_add_f32_e32 v1, v1, v2
	s_waitcnt lgkmcnt(2)
	s_delay_alu instid0(VALU_DEP_1) | instskip(NEXT) | instid1(VALU_DEP_1)
	v_add_f32_e32 v1, v1, v9
	v_add_f32_e32 v1, v1, v10
	s_waitcnt lgkmcnt(1)
	s_delay_alu instid0(VALU_DEP_1) | instskip(NEXT) | instid1(VALU_DEP_1)
	v_add_f32_e32 v1, v1, v24
	;; [unrolled: 4-line block ×3, first 2 shown]
	v_add_f32_e32 v16, v1, v27
.LBB87_48:
	s_or_b32 exec_lo, exec_lo, s6
	v_cmp_ne_u32_e32 vcc_lo, 1, v21
	v_sub_co_u32 v9, s6, v22, s22
	s_delay_alu instid0(VALU_DEP_1)
	v_subrev_co_ci_u32_e64 v10, s6, s23, v23, s6
	s_barrier
	buffer_gl0_inv
	s_cbranch_vccnz .LBB87_53
; %bb.49:
	s_lshl_b32 s6, s10, 3
	s_ashr_i32 s11, s10, 31
	s_ashr_i32 s7, s6, 31
	v_add_nc_u32_e32 v14, 8, v3
	s_lshl_b64 s[6:7], s[6:7], 2
	s_delay_alu instid0(SALU_CYCLE_1)
	v_add_co_u32 v1, vcc_lo, v9, s6
	v_add_co_ci_u32_e32 v2, vcc_lo, s7, v10, vcc_lo
	s_lshl_b64 s[6:7], s[10:11], 5
	s_delay_alu instid0(VALU_DEP_2) | instid1(SALU_CYCLE_1)
	v_add_co_u32 v21, vcc_lo, v1, s6
	s_delay_alu instid0(VALU_DEP_2) | instskip(NEXT) | instid1(VALU_DEP_2)
	v_add_co_ci_u32_e32 v22, vcc_lo, s7, v2, vcc_lo
	v_add_co_u32 v23, vcc_lo, v21, s6
	s_delay_alu instid0(VALU_DEP_2)
	v_add_co_ci_u32_e32 v24, vcc_lo, s7, v22, vcc_lo
	s_clause 0x3
	global_load_b32 v25, v[9:10], off
	global_load_b32 v26, v[1:2], off
	;; [unrolled: 1-line block ×4, first 2 shown]
	v_mad_u32_u24 v21, v3, 33, v0
	v_add_nc_u32_e32 v22, 16, v3
	v_add_nc_u32_e32 v23, 24, v3
	s_delay_alu instid0(VALU_DEP_3)
	v_lshlrev_b32_e32 v29, 2, v21
	v_add_nc_u32_e32 v24, 0x108, v21
	v_add_nc_u32_e32 v1, 0x210, v21
	;; [unrolled: 1-line block ×3, first 2 shown]
	s_waitcnt vmcnt(3)
	ds_store_b32 v29, v25
	s_waitcnt vmcnt(2)
	ds_store_b32 v29, v26 offset:1056
	s_waitcnt vmcnt(1)
	ds_store_b32 v29, v27 offset:2112
	;; [unrolled: 2-line block ×3, first 2 shown]
	s_cbranch_execz .LBB87_54
	s_branch .LBB87_63
.LBB87_50:
	ds_load_b32 v1, v10
	s_waitcnt lgkmcnt(0)
	ds_store_b32 v13, v1
	s_or_b32 exec_lo, exec_lo, s9
	s_and_saveexec_b32 s5, s6
	s_cbranch_execz .LBB87_43
.LBB87_51:
	ds_load_b32 v1, v14
	s_waitcnt lgkmcnt(0)
	ds_store_b32 v13, v1 offset:4
	s_or_b32 exec_lo, exec_lo, s5
	s_and_saveexec_b32 s5, s7
	s_cbranch_execz .LBB87_44
.LBB87_52:
	ds_load_b32 v1, v14 offset:132
	s_waitcnt lgkmcnt(0)
	ds_store_b32 v13, v1 offset:8
	s_or_b32 exec_lo, exec_lo, s5
	s_and_saveexec_b32 s5, s8
	s_cbranch_execnz .LBB87_45
	s_branch .LBB87_46
.LBB87_53:
                                        ; implicit-def: $vgpr21
                                        ; implicit-def: $vgpr14
                                        ; implicit-def: $vgpr24
                                        ; implicit-def: $vgpr22
                                        ; implicit-def: $vgpr1
                                        ; implicit-def: $vgpr23
                                        ; implicit-def: $vgpr2
.LBB87_54:
	v_dual_mov_b32 v23, 0 :: v_dual_lshlrev_b32 v24, 2, v0
	s_ashr_i32 s19, s18, 31
	v_or_b32_e32 v14, 32, v0
	s_lshl_b64 s[8:9], s[18:19], 2
	s_delay_alu instid0(VALU_DEP_2) | instskip(SKIP_2) | instid1(VALU_DEP_3)
	v_sub_co_u32 v1, vcc_lo, v9, v24
	v_subrev_co_ci_u32_e32 v2, vcc_lo, 0, v10, vcc_lo
	v_mov_b32_e32 v22, 0
	v_add_co_u32 v1, vcc_lo, v1, s8
	s_delay_alu instid0(VALU_DEP_3) | instskip(SKIP_1) | instid1(VALU_DEP_2)
	v_add_co_ci_u32_e32 v2, vcc_lo, s9, v2, vcc_lo
	s_mov_b32 s7, exec_lo
	v_add_co_u32 v1, vcc_lo, 0xffffff7c, v1
	s_delay_alu instid0(VALU_DEP_2) | instskip(SKIP_1) | instid1(VALU_DEP_2)
	v_add_co_ci_u32_e32 v2, vcc_lo, -1, v2, vcc_lo
	v_cmp_gt_i32_e32 vcc_lo, s18, v14
	v_dual_cndmask_b32 v2, v2, v10 :: v_dual_cndmask_b32 v1, v1, v9
	v_cmpx_gt_i32_e64 s18, v3
	s_cbranch_execz .LBB87_56
; %bb.55:
	global_load_b32 v22, v[1:2], off
.LBB87_56:
	s_or_b32 exec_lo, exec_lo, s7
	v_mad_u32_u24 v21, v3, 33, v0
	v_add_nc_u32_e32 v14, 8, v3
	s_mov_b32 s7, exec_lo
	s_delay_alu instid0(VALU_DEP_2)
	v_lshlrev_b32_e32 v0, 2, v21
	s_waitcnt vmcnt(0)
	ds_store_b32 v0, v22
	v_cmpx_gt_i32_e64 s18, v14
	s_cbranch_execz .LBB87_58
; %bb.57:
	s_lshl_b32 s22, s10, 3
	s_delay_alu instid0(SALU_CYCLE_1) | instskip(NEXT) | instid1(SALU_CYCLE_1)
	s_ashr_i32 s23, s22, 31
	s_lshl_b64 s[22:23], s[22:23], 2
	s_delay_alu instid0(SALU_CYCLE_1) | instskip(NEXT) | instid1(VALU_DEP_1)
	v_add_co_u32 v22, s6, v1, s22
	v_add_co_ci_u32_e64 v23, s6, s23, v2, s6
	global_load_b32 v23, v[22:23], off
.LBB87_58:
	s_or_b32 exec_lo, exec_lo, s7
	v_dual_mov_b32 v25, 0 :: v_dual_add_nc_u32 v22, 16, v3
	v_mov_b32_e32 v26, 0
	s_mov_b32 s7, exec_lo
	s_waitcnt vmcnt(0)
	ds_store_b32 v0, v23 offset:1056
	v_cmpx_gt_i32_e64 s18, v22
	s_cbranch_execz .LBB87_60
; %bb.59:
	s_lshl_b32 s22, s10, 4
	s_delay_alu instid0(SALU_CYCLE_1) | instskip(NEXT) | instid1(SALU_CYCLE_1)
	s_ashr_i32 s23, s22, 31
	s_lshl_b64 s[22:23], s[22:23], 2
	s_delay_alu instid0(SALU_CYCLE_1) | instskip(NEXT) | instid1(VALU_DEP_1)
	v_add_co_u32 v26, s6, v1, s22
	v_add_co_ci_u32_e64 v27, s6, s23, v2, s6
	global_load_b32 v26, v[26:27], off
.LBB87_60:
	s_or_b32 exec_lo, exec_lo, s7
	v_add_nc_u32_e32 v23, 24, v3
	s_mov_b32 s7, exec_lo
	s_waitcnt vmcnt(0)
	ds_store_b32 v0, v26 offset:2112
	v_cmpx_gt_i32_e64 s18, v23
	s_cbranch_execz .LBB87_62
; %bb.61:
	s_mul_i32 s22, s10, 24
	s_delay_alu instid0(SALU_CYCLE_1) | instskip(NEXT) | instid1(SALU_CYCLE_1)
	s_ashr_i32 s23, s22, 31
	s_lshl_b64 s[22:23], s[22:23], 2
	s_delay_alu instid0(SALU_CYCLE_1) | instskip(NEXT) | instid1(VALU_DEP_1)
	v_add_co_u32 v25, s6, v1, s22
	v_add_co_ci_u32_e64 v26, s6, s23, v2, s6
	global_load_b32 v25, v[25:26], off
.LBB87_62:
	s_or_b32 exec_lo, exec_lo, s7
	v_add_co_u32 v1, s6, v1, v24
	s_delay_alu instid0(VALU_DEP_1) | instskip(SKIP_1) | instid1(VALU_DEP_3)
	v_add_co_ci_u32_e64 v2, s6, 0, v2, s6
	v_add_nc_u32_e32 v24, 0x108, v21
	v_sub_co_u32 v1, s6, v1, s8
	s_delay_alu instid0(VALU_DEP_1) | instskip(SKIP_3) | instid1(VALU_DEP_1)
	v_subrev_co_ci_u32_e64 v2, s6, s9, v2, s6
	s_waitcnt vmcnt(0)
	ds_store_b32 v0, v25 offset:3168
	v_add_co_u32 v3, s6, 0x84, v1
	v_add_co_ci_u32_e64 v26, s6, 0, v2, s6
	v_add_nc_u32_e32 v1, 0x210, v21
	v_add_nc_u32_e32 v2, 0x318, v21
	s_delay_alu instid0(VALU_DEP_3)
	v_dual_cndmask_b32 v9, v3, v9 :: v_dual_cndmask_b32 v10, v26, v10
.LBB87_63:
	v_lshlrev_b32_e32 v0, 2, v21
	v_lshlrev_b32_e32 v3, 2, v24
	s_waitcnt lgkmcnt(0)
	s_barrier
	buffer_gl0_inv
	ds_load_b32 v11, v11 offset:4544
	v_lshlrev_b32_e32 v14, 2, v14
	ds_load_b32 v21, v0
	ds_load_b32 v24, v3
	v_lshlrev_b32_e32 v0, 2, v1
	v_lshlrev_b32_e32 v1, 2, v22
	;; [unrolled: 1-line block ×3, first 2 shown]
	ds_load_b32 v22, v14 offset:4544
	v_lshlrev_b32_e32 v3, 2, v23
	ds_load_b32 v23, v0
	ds_load_b32 v25, v1 offset:4544
	ds_load_b32 v26, v2
	ds_load_b32 v27, v3 offset:4544
	ds_load_b128 v[0:3], v12 offset:128
	s_waitcnt lgkmcnt(7)
	v_fma_f32 v21, v21, v11, 0
	ds_load_2addr_b32 v[11:12], v13 offset0:2 offset1:3
	ds_load_2addr_b32 v[13:14], v13 offset1:1
	s_waitcnt lgkmcnt(0)
	s_barrier
	buffer_gl0_inv
	v_fmac_f32_e32 v21, v24, v22
	s_delay_alu instid0(VALU_DEP_1) | instskip(NEXT) | instid1(VALU_DEP_1)
	v_fmac_f32_e32 v21, v23, v25
	v_fmac_f32_e32 v21, v26, v27
	ds_store_b32 v20, v21
	s_waitcnt lgkmcnt(0)
	s_barrier
	buffer_gl0_inv
	s_and_saveexec_b32 s6, s5
	s_cbranch_execz .LBB87_65
; %bb.64:
	v_lshlrev_b32_e32 v27, 2, v19
	ds_load_2addr_b32 v[21:22], v27 offset1:1
	ds_load_2addr_b32 v[23:24], v27 offset0:2 offset1:3
	ds_load_2addr_b32 v[25:26], v27 offset0:4 offset1:5
	;; [unrolled: 1-line block ×3, first 2 shown]
	s_waitcnt lgkmcnt(3)
	v_add_f32_e32 v16, v16, v21
	s_delay_alu instid0(VALU_DEP_1) | instskip(SKIP_1) | instid1(VALU_DEP_1)
	v_add_f32_e32 v16, v16, v22
	s_waitcnt lgkmcnt(2)
	v_add_f32_e32 v16, v16, v23
	s_delay_alu instid0(VALU_DEP_1) | instskip(SKIP_1) | instid1(VALU_DEP_1)
	v_add_f32_e32 v16, v16, v24
	;; [unrolled: 4-line block ×3, first 2 shown]
	s_waitcnt lgkmcnt(0)
	v_add_f32_e32 v16, v16, v27
	s_delay_alu instid0(VALU_DEP_1)
	v_add_f32_e32 v16, v16, v28
.LBB87_65:
	s_or_b32 exec_lo, exec_lo, s6
	v_fma_f32 v0, v13, v0, 0
	s_barrier
	buffer_gl0_inv
	v_fmac_f32_e32 v0, v14, v1
	s_delay_alu instid0(VALU_DEP_1) | instskip(NEXT) | instid1(VALU_DEP_1)
	v_fmac_f32_e32 v0, v11, v2
	v_fmac_f32_e32 v0, v12, v3
	ds_store_b32 v20, v0
	s_waitcnt lgkmcnt(0)
	s_barrier
	buffer_gl0_inv
	s_and_saveexec_b32 s5, s4
	s_cbranch_execz .LBB87_67
; %bb.66:
	v_lshlrev_b32_e32 v13, 2, v19
	ds_load_2addr_b32 v[0:1], v13 offset1:1
	ds_load_2addr_b32 v[2:3], v13 offset0:2 offset1:3
	ds_load_2addr_b32 v[11:12], v13 offset0:4 offset1:5
	;; [unrolled: 1-line block ×3, first 2 shown]
	s_waitcnt lgkmcnt(3)
	v_add_f32_e32 v0, v16, v0
	s_delay_alu instid0(VALU_DEP_1) | instskip(SKIP_1) | instid1(VALU_DEP_1)
	v_add_f32_e32 v0, v0, v1
	s_waitcnt lgkmcnt(2)
	v_add_f32_e32 v0, v0, v2
	s_delay_alu instid0(VALU_DEP_1) | instskip(SKIP_1) | instid1(VALU_DEP_1)
	v_add_f32_e32 v0, v0, v3
	;; [unrolled: 4-line block ×3, first 2 shown]
	s_waitcnt lgkmcnt(0)
	v_add_f32_e32 v0, v0, v13
	s_delay_alu instid0(VALU_DEP_1)
	v_add_f32_e32 v16, v0, v14
.LBB87_67:
	s_or_b32 exec_lo, exec_lo, s5
	s_load_b64 s[0:1], s[0:1], 0x60
	s_mul_hi_u32 s4, s12, s15
	s_mul_i32 s27, s27, s15
	s_mul_i32 s5, s12, s15
	s_add_i32 s4, s4, s27
	s_mul_hi_u32 s6, s5, s26
	s_mul_i32 s7, s4, s26
	s_mul_i32 s4, s5, s26
	s_add_i32 s5, s6, s7
	s_mul_i32 s6, s14, s12
	s_lshl_b64 s[4:5], s[4:5], 2
	v_cmp_le_i32_e32 vcc_lo, s18, v17
	v_lshlrev_b32_e32 v11, 2, v17
	s_waitcnt lgkmcnt(0)
	s_barrier
	buffer_gl0_inv
	s_add_u32 s4, s0, s4
	s_addc_u32 s5, s1, s5
	s_ashr_i32 s7, s6, 31
	s_delay_alu instid0(SALU_CYCLE_1) | instskip(NEXT) | instid1(SALU_CYCLE_1)
	s_lshl_b64 s[0:1], s[6:7], 2
	s_add_u32 s15, s4, s0
	s_addc_u32 s22, s5, s1
	s_and_b32 vcc_lo, s17, vcc_lo
	s_cmp_lt_i32 s14, 1
	s_cbranch_scc1 .LBB87_74
; %bb.68:
	v_mul_lo_u32 v0, v15, s10
	v_sub_co_u32 v9, s0, v9, s20
	s_delay_alu instid0(VALU_DEP_1) | instskip(SKIP_1) | instid1(VALU_DEP_2)
	v_subrev_co_ci_u32_e64 v10, s0, s21, v10, s0
	s_ashr_i32 s19, s18, 31
	v_sub_co_u32 v7, s0, v9, v7
	s_delay_alu instid0(VALU_DEP_4) | instskip(NEXT) | instid1(VALU_DEP_3)
	v_lshl_add_u32 v2, v0, 2, v17
	v_sub_co_ci_u32_e64 v8, s0, v10, v8, s0
	s_lshl_b64 s[6:7], s[18:19], 2
	v_and_b32_e32 v19, 48, v17
	s_delay_alu instid0(VALU_DEP_3) | instskip(SKIP_3) | instid1(VALU_DEP_3)
	v_ashrrev_i32_e32 v3, 31, v2
	v_lshrrev_b32_e32 v9, 2, v18
	s_mul_i32 s4, s16, s13
	v_dual_mov_b32 v1, 0 :: v_dual_and_b32 v0, 15, v17
	v_lshlrev_b64 v[2:3], 2, v[2:3]
	s_ashr_i32 s5, s4, 31
	v_lshlrev_b32_e32 v10, 2, v19
	s_lshl_b64 s[4:5], s[4:5], 2
	v_or_b32_e32 v12, 60, v11
	v_and_b32_e32 v13, 0x1fff0, v18
	v_add_co_u32 v2, s0, v7, v2
	s_delay_alu instid0(VALU_DEP_1) | instskip(SKIP_1) | instid1(VALU_DEP_3)
	v_add_co_ci_u32_e64 v3, s0, v8, v3, s0
	v_and_b32_e32 v17, 0x7ffc, v9
	v_sub_co_u32 v7, s0, v2, v11
	s_delay_alu instid0(VALU_DEP_1) | instskip(SKIP_1) | instid1(VALU_DEP_3)
	v_subrev_co_ci_u32_e64 v8, s0, 0, v3, s0
	v_mad_u32_u24 v9, 0x10c, v0, v10
	v_add_co_u32 v7, s0, v7, s6
	s_delay_alu instid0(VALU_DEP_1) | instskip(SKIP_1) | instid1(VALU_DEP_1)
	v_add_co_ci_u32_e64 v8, s0, s7, v8, s0
	v_add_co_u32 v2, s0, 0xffffff80, v2
	v_add_co_ci_u32_e64 v3, s0, -1, v3, s0
	s_delay_alu instid0(VALU_DEP_4) | instskip(NEXT) | instid1(VALU_DEP_1)
	v_add_co_u32 v7, s0, 0xffffff7c, v7
	v_add_co_ci_u32_e64 v8, s0, -1, v8, s0
	v_sub_co_u32 v5, s0, v5, s4
	s_delay_alu instid0(VALU_DEP_1) | instskip(NEXT) | instid1(VALU_DEP_3)
	v_subrev_co_ci_u32_e64 v6, s0, s5, v6, s0
	v_dual_cndmask_b32 v3, v3, v8 :: v_dual_cndmask_b32 v2, v2, v7
	v_add_nc_u32_e32 v7, 0x10c0, v11
	v_add_nc_u32_e32 v8, 0x11c0, v11
	v_cmp_gt_u32_e64 s0, 64, v18
	v_mad_u32_u24 v10, 0x10c, v0, v12
	v_mad_u32_u24 v12, 0x10c, v0, v13
	v_lshl_add_u32 v13, v15, 4, 0x10c0
	v_mad_u32_u24 v14, 0x430, v15, v11
	v_mad_u32_u24 v17, 0x10c, v0, v17
	v_or_b32_e32 v0, v19, v0
	s_ashr_i32 s11, s10, 31
	s_lshl_b32 s18, s13, 6
	s_lshl_b64 s[4:5], s[10:11], 2
	s_lshl_b64 s[6:7], s[10:11], 8
	;; [unrolled: 1-line block ×3, first 2 shown]
	s_mul_hi_i32 s19, s10, 12
	s_mul_i32 s20, s10, 12
	s_mul_hi_i32 s21, s10, 0x48
	s_mul_i32 s23, s10, 0x48
	;; [unrolled: 2-line block ×10, first 2 shown]
	s_lshl_b64 s[12:13], s[10:11], 7
	s_mul_hi_i32 s41, s10, 0x44
	s_mul_i32 s42, s10, 0x44
	s_lshl_b64 s[10:11], s[10:11], 6
	s_mov_b32 s16, 0
	s_branch .LBB87_70
.LBB87_69:                              ;   in Loop: Header=BB87_70 Depth=1
	s_or_b32 exec_lo, exec_lo, s17
	v_fmac_f32_e32 v16, v18, v22
	v_add_co_u32 v2, s1, v2, s6
	s_delay_alu instid0(VALU_DEP_1) | instskip(NEXT) | instid1(VALU_DEP_3)
	v_add_co_ci_u32_e64 v3, s1, s7, v3, s1
	v_fmac_f32_e32 v16, v20, v23
	v_add_nc_u32_e32 v0, 64, v0
	s_add_i32 s14, s14, -1
	s_add_i32 s16, s16, s18
	s_cmp_eq_u32 s14, 0
	v_fmac_f32_e32 v16, v19, v24
	s_waitcnt_vscnt null, 0x0
	s_barrier
	buffer_gl0_inv
	v_fmac_f32_e32 v16, v21, v25
	s_delay_alu instid0(VALU_DEP_1) | instskip(NEXT) | instid1(VALU_DEP_1)
	v_fmac_f32_e32 v16, v26, v30
	v_fmac_f32_e32 v16, v28, v31
	s_delay_alu instid0(VALU_DEP_1) | instskip(NEXT) | instid1(VALU_DEP_1)
	v_fmac_f32_e32 v16, v27, v32
	;; [unrolled: 3-line block ×6, first 2 shown]
	v_fmac_f32_e32 v16, v39, v47
	s_cbranch_scc1 .LBB87_74
.LBB87_70:                              ; =>This Inner Loop Header: Depth=1
	s_and_saveexec_b32 s43, s3
	s_cbranch_execz .LBB87_72
; %bb.71:                               ;   in Loop: Header=BB87_70 Depth=1
	s_ashr_i32 s17, s16, 31
	s_delay_alu instid0(SALU_CYCLE_1) | instskip(NEXT) | instid1(SALU_CYCLE_1)
	s_lshl_b64 s[44:45], s[16:17], 2
	v_add_co_u32 v18, s1, v5, s44
	s_delay_alu instid0(VALU_DEP_1)
	v_add_co_ci_u32_e64 v19, s1, s45, v6, s1
	global_load_b32 v18, v[18:19], off
	s_waitcnt vmcnt(0)
	ds_store_b32 v7, v18
.LBB87_72:                              ;   in Loop: Header=BB87_70 Depth=1
	s_or_b32 exec_lo, exec_lo, s43
	v_add_co_u32 v19, s1, v2, s4
	s_delay_alu instid0(VALU_DEP_1) | instskip(SKIP_1) | instid1(VALU_DEP_1)
	v_add_co_ci_u32_e64 v20, s1, s5, v3, s1
	v_add_co_u32 v21, s1, v2, s8
	v_add_co_ci_u32_e64 v22, s1, s9, v3, s1
	v_add_co_u32 v23, s1, v2, s20
	s_waitcnt lgkmcnt(0)
	s_barrier
	buffer_gl0_inv
	global_load_b32 v18, v[2:3], off
	v_add_co_ci_u32_e64 v24, s1, s19, v3, s1
	s_clause 0x2
	global_load_b32 v20, v[19:20], off
	global_load_b32 v19, v[21:22], off
	;; [unrolled: 1-line block ×3, first 2 shown]
	ds_load_b32 v23, v8
	ds_load_b32 v22, v13
	v_add_co_u32 v26, s1, v2, s10
	s_delay_alu instid0(VALU_DEP_1) | instskip(SKIP_1) | instid1(VALU_DEP_1)
	v_add_co_ci_u32_e64 v27, s1, s11, v3, s1
	v_add_co_u32 v28, s1, v2, s42
	v_add_co_ci_u32_e64 v29, s1, s41, v3, s1
	v_add_co_u32 v30, s1, v2, s23
	s_delay_alu instid0(VALU_DEP_1)
	v_add_co_ci_u32_e64 v31, s1, s21, v3, s1
	s_waitcnt vmcnt(3) lgkmcnt(1)
	v_mul_f32_e32 v24, v18, v23
	s_waitcnt vmcnt(2)
	v_mul_f32_e32 v25, v20, v23
	s_waitcnt vmcnt(1)
	;; [unrolled: 2-line block ×3, first 2 shown]
	v_mul_f32_e32 v33, v21, v23
	ds_store_b32 v14, v24
	ds_load_b32 v23, v13 offset:4
	ds_store_b32 v14, v25 offset:268
	ds_load_b32 v24, v13 offset:8
	ds_store_b32 v14, v32 offset:536
	v_add_co_u32 v32, s1, v2, s25
	ds_load_b32 v25, v13 offset:12
	ds_store_b32 v14, v33 offset:804
	s_waitcnt lgkmcnt(0)
	s_barrier
	buffer_gl0_inv
	ds_load_2addr_b32 v[50:51], v12 offset1:1
	ds_load_2addr_b32 v[52:53], v12 offset0:2 offset1:3
	s_waitcnt lgkmcnt(0)
	s_barrier
	buffer_gl0_inv
	global_load_b32 v26, v[26:27], off
	v_add_co_ci_u32_e64 v33, s1, s24, v3, s1
	s_clause 0x2
	global_load_b32 v28, v[28:29], off
	global_load_b32 v27, v[30:31], off
	;; [unrolled: 1-line block ×3, first 2 shown]
	ds_load_b32 v31, v8
	ds_load_b32 v30, v13 offset:64
	v_add_co_u32 v34, s1, v2, s12
	s_delay_alu instid0(VALU_DEP_1) | instskip(SKIP_1) | instid1(VALU_DEP_1)
	v_add_co_ci_u32_e64 v35, s1, s13, v3, s1
	v_add_co_u32 v36, s1, v2, s40
	v_add_co_ci_u32_e64 v37, s1, s39, v3, s1
	v_add_co_u32 v38, s1, v2, s27
	s_delay_alu instid0(VALU_DEP_1) | instskip(SKIP_1) | instid1(VALU_DEP_1)
	v_add_co_ci_u32_e64 v39, s1, s26, v3, s1
	v_add_f32_e32 v50, 0, v50
	v_add_f32_e32 v50, v50, v51
	s_delay_alu instid0(VALU_DEP_1) | instskip(NEXT) | instid1(VALU_DEP_1)
	v_add_f32_e32 v50, v50, v52
	v_add_f32_e32 v50, v50, v53
	s_waitcnt vmcnt(3) lgkmcnt(1)
	v_mul_f32_e32 v32, v26, v31
	s_waitcnt vmcnt(2)
	v_mul_f32_e32 v33, v28, v31
	s_waitcnt vmcnt(1)
	v_mul_f32_e32 v40, v27, v31
	s_waitcnt vmcnt(0)
	v_mul_f32_e32 v41, v29, v31
	ds_store_b32 v14, v32
	ds_load_b32 v31, v13 offset:68
	ds_store_b32 v14, v33 offset:268
	ds_load_b32 v32, v13 offset:72
	ds_store_b32 v14, v40 offset:536
	v_add_co_u32 v40, s1, v2, s29
	ds_load_b32 v33, v13 offset:76
	ds_store_b32 v14, v41 offset:804
	s_waitcnt lgkmcnt(0)
	s_barrier
	buffer_gl0_inv
	ds_load_2addr_b32 v[54:55], v12 offset1:1
	ds_load_2addr_b32 v[56:57], v12 offset0:2 offset1:3
	s_waitcnt lgkmcnt(0)
	s_barrier
	buffer_gl0_inv
	global_load_b32 v34, v[34:35], off
	v_add_co_ci_u32_e64 v41, s1, s28, v3, s1
	s_clause 0x2
	global_load_b32 v36, v[36:37], off
	global_load_b32 v35, v[38:39], off
	;; [unrolled: 1-line block ×3, first 2 shown]
	ds_load_b32 v39, v8
	ds_load_b32 v38, v13 offset:128
	v_add_co_u32 v43, s1, v2, s38
	s_delay_alu instid0(VALU_DEP_1) | instskip(SKIP_1) | instid1(VALU_DEP_1)
	v_add_co_ci_u32_e64 v44, s1, s37, v3, s1
	v_add_co_u32 v46, s1, v2, s36
	v_add_co_ci_u32_e64 v47, s1, s35, v3, s1
	v_add_co_u32 v48, s1, v2, s31
	s_delay_alu instid0(VALU_DEP_1) | instskip(SKIP_1) | instid1(VALU_DEP_1)
	v_add_co_ci_u32_e64 v49, s1, s30, v3, s1
	v_add_co_u32 v58, s1, v2, s34
	v_add_co_ci_u32_e64 v59, s1, s33, v3, s1
	v_add_f32_e32 v54, 0, v54
	s_delay_alu instid0(VALU_DEP_1)
	v_add_f32_e32 v51, v54, v55
	s_waitcnt vmcnt(3) lgkmcnt(1)
	v_mul_f32_e32 v40, v34, v39
	s_waitcnt vmcnt(2)
	v_mul_f32_e32 v41, v36, v39
	s_waitcnt vmcnt(1)
	;; [unrolled: 2-line block ×3, first 2 shown]
	v_mul_f32_e32 v39, v37, v39
	ds_store_b32 v14, v40
	ds_load_b32 v40, v13 offset:132
	ds_store_b32 v14, v41 offset:268
	ds_load_b32 v41, v13 offset:136
	ds_store_b32 v14, v42 offset:536
	;; [unrolled: 2-line block ×3, first 2 shown]
	s_waitcnt lgkmcnt(0)
	s_barrier
	buffer_gl0_inv
	ds_load_2addr_b32 v[60:61], v12 offset1:1
	ds_load_2addr_b32 v[62:63], v12 offset0:2 offset1:3
	s_waitcnt lgkmcnt(0)
	s_barrier
	buffer_gl0_inv
	s_clause 0x3
	global_load_b32 v45, v[43:44], off
	global_load_b32 v44, v[46:47], off
	;; [unrolled: 1-line block ×4, first 2 shown]
	ds_load_b32 v47, v8
	ds_load_b32 v46, v13 offset:192
	v_add_f32_e32 v60, 0, v60
	s_delay_alu instid0(VALU_DEP_1) | instskip(NEXT) | instid1(VALU_DEP_1)
	v_add_f32_e32 v54, v60, v61
	v_add_f32_e32 v52, v54, v62
	s_delay_alu instid0(VALU_DEP_1)
	v_add_f32_e32 v52, v52, v63
	s_waitcnt vmcnt(3) lgkmcnt(1)
	v_mul_f32_e32 v48, v45, v47
	s_waitcnt vmcnt(2)
	v_mul_f32_e32 v58, v44, v47
	s_waitcnt vmcnt(1)
	v_mul_f32_e32 v59, v43, v47
	s_waitcnt vmcnt(0)
	v_mul_f32_e32 v64, v39, v47
	ds_store_b32 v14, v48
	ds_load_b32 v49, v13 offset:196
	ds_store_b32 v14, v58 offset:268
	ds_load_b32 v48, v13 offset:200
	ds_store_b32 v14, v59 offset:536
	;; [unrolled: 2-line block ×3, first 2 shown]
	s_waitcnt lgkmcnt(0)
	s_barrier
	buffer_gl0_inv
	ds_load_2addr_b32 v[58:59], v12 offset1:1
	ds_load_2addr_b32 v[64:65], v12 offset0:2 offset1:3
	s_waitcnt lgkmcnt(0)
	s_barrier
	buffer_gl0_inv
	v_add_f32_e32 v58, 0, v58
	s_delay_alu instid0(VALU_DEP_1) | instskip(NEXT) | instid1(VALU_DEP_1)
	v_add_f32_e32 v55, v58, v59
	v_add_f32_e32 v54, v55, v64
	;; [unrolled: 1-line block ×3, first 2 shown]
	s_delay_alu instid0(VALU_DEP_2) | instskip(NEXT) | instid1(VALU_DEP_2)
	v_add_f32_e32 v53, v54, v65
	v_add_f32_e32 v51, v51, v57
	ds_store_2addr_b32 v17, v50, v51 offset1:16
	ds_store_2addr_b32 v17, v52, v53 offset0:32 offset1:48
	s_waitcnt lgkmcnt(0)
	s_barrier
	buffer_gl0_inv
	s_and_saveexec_b32 s17, s0
	s_cbranch_execz .LBB87_69
; %bb.73:                               ;   in Loop: Header=BB87_70 Depth=1
	ds_load_2addr_b32 v[50:51], v9 offset1:1
	ds_load_2addr_b32 v[52:53], v9 offset0:2 offset1:3
	ds_load_2addr_b32 v[54:55], v9 offset0:4 offset1:5
	;; [unrolled: 1-line block ×3, first 2 shown]
	s_waitcnt lgkmcnt(3)
	v_add_f32_e32 v50, v50, v51
	s_waitcnt lgkmcnt(2)
	s_delay_alu instid0(VALU_DEP_1) | instskip(NEXT) | instid1(VALU_DEP_1)
	v_add_f32_e32 v50, v50, v52
	v_add_f32_e32 v50, v50, v53
	s_waitcnt lgkmcnt(1)
	s_delay_alu instid0(VALU_DEP_1) | instskip(SKIP_3) | instid1(VALU_DEP_1)
	v_add_f32_e32 v52, v50, v54
	ds_load_2addr_b32 v[50:51], v9 offset0:8 offset1:9
	v_add_f32_e32 v52, v52, v55
	s_waitcnt lgkmcnt(1)
	v_add_f32_e32 v54, v52, v56
	ds_load_2addr_b32 v[52:53], v9 offset0:10 offset1:11
	v_add_f32_e32 v56, v54, v57
	ds_load_2addr_b32 v[54:55], v9 offset0:12 offset1:13
	ds_load_b32 v57, v9 offset:56
	s_waitcnt lgkmcnt(3)
	v_add_f32_e32 v50, v56, v50
	s_delay_alu instid0(VALU_DEP_1) | instskip(SKIP_1) | instid1(VALU_DEP_1)
	v_add_f32_e32 v50, v50, v51
	s_waitcnt lgkmcnt(2)
	v_add_f32_e32 v50, v50, v52
	ds_load_b32 v52, v10
	v_add_f32_e32 v50, v50, v53
	s_waitcnt lgkmcnt(2)
	s_delay_alu instid0(VALU_DEP_1) | instskip(NEXT) | instid1(VALU_DEP_1)
	v_add_f32_e32 v50, v50, v54
	v_add_f32_e32 v50, v50, v55
	s_waitcnt lgkmcnt(1)
	s_delay_alu instid0(VALU_DEP_1) | instskip(SKIP_2) | instid1(VALU_DEP_2)
	v_add_f32_e32 v53, v50, v57
	v_lshlrev_b64 v[50:51], 2, v[0:1]
	s_waitcnt lgkmcnt(0)
	v_add_f32_e32 v52, v53, v52
	s_delay_alu instid0(VALU_DEP_2) | instskip(NEXT) | instid1(VALU_DEP_1)
	v_add_co_u32 v50, s1, s15, v50
	v_add_co_ci_u32_e64 v51, s1, s22, v51, s1
	global_store_b32 v[50:51], v52, off
	s_branch .LBB87_69
.LBB87_74:
	v_mad_u32_u24 v0, 0x10c, v15, v11
	s_or_b32 s0, s2, vcc_lo
	s_delay_alu instid0(SALU_CYCLE_1)
	s_xor_b32 s0, s0, -1
	ds_store_b32 v0, v16
	s_waitcnt lgkmcnt(0)
	s_barrier
	buffer_gl0_inv
	s_and_saveexec_b32 s1, s0
	s_cbranch_execz .LBB87_76
; %bb.75:
	ds_load_2addr_b32 v[0:1], v11 offset1:67
	ds_load_2addr_b32 v[2:3], v11 offset0:134 offset1:201
	v_ashrrev_i32_e32 v5, 31, v4
	s_waitcnt lgkmcnt(1)
	v_add_f32_e32 v0, v0, v1
	s_waitcnt lgkmcnt(0)
	s_delay_alu instid0(VALU_DEP_1) | instskip(SKIP_1) | instid1(VALU_DEP_2)
	v_add_f32_e32 v2, v0, v2
	v_lshlrev_b64 v[0:1], 2, v[4:5]
	v_add_f32_e32 v2, v2, v3
	s_delay_alu instid0(VALU_DEP_2) | instskip(NEXT) | instid1(VALU_DEP_3)
	v_add_co_u32 v0, vcc_lo, s15, v0
	v_add_co_ci_u32_e32 v1, vcc_lo, s22, v1, vcc_lo
	global_store_b32 v[0:1], v2, off
.LBB87_76:
	s_nop 0
	s_sendmsg sendmsg(MSG_DEALLOC_VGPRS)
	s_endpgm
	.section	.rodata,"a",@progbits
	.p2align	6, 0x0
	.amdhsa_kernel _ZL26rocblas_hemvn_kernel_lowerILb0ELi64ELi4ELi33ELi32ELi16EifPKfPfEviT6_lT7_lT5_lS4_lS5_lS3_lT8_i
		.amdhsa_group_segment_fixed_size 4800
		.amdhsa_private_segment_fixed_size 0
		.amdhsa_kernarg_size 368
		.amdhsa_user_sgpr_count 14
		.amdhsa_user_sgpr_dispatch_ptr 0
		.amdhsa_user_sgpr_queue_ptr 0
		.amdhsa_user_sgpr_kernarg_segment_ptr 1
		.amdhsa_user_sgpr_dispatch_id 0
		.amdhsa_user_sgpr_private_segment_size 0
		.amdhsa_wavefront_size32 1
		.amdhsa_uses_dynamic_stack 0
		.amdhsa_enable_private_segment 0
		.amdhsa_system_sgpr_workgroup_id_x 1
		.amdhsa_system_sgpr_workgroup_id_y 0
		.amdhsa_system_sgpr_workgroup_id_z 1
		.amdhsa_system_sgpr_workgroup_info 0
		.amdhsa_system_vgpr_workitem_id 1
		.amdhsa_next_free_vgpr 66
		.amdhsa_next_free_sgpr 46
		.amdhsa_reserve_vcc 1
		.amdhsa_float_round_mode_32 0
		.amdhsa_float_round_mode_16_64 0
		.amdhsa_float_denorm_mode_32 3
		.amdhsa_float_denorm_mode_16_64 3
		.amdhsa_dx10_clamp 1
		.amdhsa_ieee_mode 1
		.amdhsa_fp16_overflow 0
		.amdhsa_workgroup_processor_mode 1
		.amdhsa_memory_ordered 1
		.amdhsa_forward_progress 0
		.amdhsa_shared_vgpr_count 0
		.amdhsa_exception_fp_ieee_invalid_op 0
		.amdhsa_exception_fp_denorm_src 0
		.amdhsa_exception_fp_ieee_div_zero 0
		.amdhsa_exception_fp_ieee_overflow 0
		.amdhsa_exception_fp_ieee_underflow 0
		.amdhsa_exception_fp_ieee_inexact 0
		.amdhsa_exception_int_div_zero 0
	.end_amdhsa_kernel
	.section	.text._ZL26rocblas_hemvn_kernel_lowerILb0ELi64ELi4ELi33ELi32ELi16EifPKfPfEviT6_lT7_lT5_lS4_lS5_lS3_lT8_i,"axG",@progbits,_ZL26rocblas_hemvn_kernel_lowerILb0ELi64ELi4ELi33ELi32ELi16EifPKfPfEviT6_lT7_lT5_lS4_lS5_lS3_lT8_i,comdat
.Lfunc_end87:
	.size	_ZL26rocblas_hemvn_kernel_lowerILb0ELi64ELi4ELi33ELi32ELi16EifPKfPfEviT6_lT7_lT5_lS4_lS5_lS3_lT8_i, .Lfunc_end87-_ZL26rocblas_hemvn_kernel_lowerILb0ELi64ELi4ELi33ELi32ELi16EifPKfPfEviT6_lT7_lT5_lS4_lS5_lS3_lT8_i
                                        ; -- End function
	.section	.AMDGPU.csdata,"",@progbits
; Kernel info:
; codeLenInByte = 6584
; NumSgprs: 48
; NumVgprs: 66
; ScratchSize: 0
; MemoryBound: 0
; FloatMode: 240
; IeeeMode: 1
; LDSByteSize: 4800 bytes/workgroup (compile time only)
; SGPRBlocks: 5
; VGPRBlocks: 8
; NumSGPRsForWavesPerEU: 48
; NumVGPRsForWavesPerEU: 66
; Occupancy: 16
; WaveLimiterHint : 1
; COMPUTE_PGM_RSRC2:SCRATCH_EN: 0
; COMPUTE_PGM_RSRC2:USER_SGPR: 14
; COMPUTE_PGM_RSRC2:TRAP_HANDLER: 0
; COMPUTE_PGM_RSRC2:TGID_X_EN: 1
; COMPUTE_PGM_RSRC2:TGID_Y_EN: 0
; COMPUTE_PGM_RSRC2:TGID_Z_EN: 1
; COMPUTE_PGM_RSRC2:TIDIG_COMP_CNT: 1
	.section	.text._ZL36rocblas_hemvn_kernel_lower_block_sumILi64EifPffEviT1_lS1_lT2_lT0_lPT3_i,"axG",@progbits,_ZL36rocblas_hemvn_kernel_lower_block_sumILi64EifPffEviT1_lS1_lT2_lT0_lPT3_i,comdat
	.globl	_ZL36rocblas_hemvn_kernel_lower_block_sumILi64EifPffEviT1_lS1_lT2_lT0_lPT3_i ; -- Begin function _ZL36rocblas_hemvn_kernel_lower_block_sumILi64EifPffEviT1_lS1_lT2_lT0_lPT3_i
	.p2align	8
	.type	_ZL36rocblas_hemvn_kernel_lower_block_sumILi64EifPffEviT1_lS1_lT2_lT0_lPT3_i,@function
_ZL36rocblas_hemvn_kernel_lower_block_sumILi64EifPffEviT1_lS1_lT2_lT0_lPT3_i: ; @_ZL36rocblas_hemvn_kernel_lower_block_sumILi64EifPffEviT1_lS1_lT2_lT0_lPT3_i
; %bb.0:
	s_clause 0x1
	s_load_b64 s[4:5], s[0:1], 0x0
	s_load_b32 s7, s[0:1], 0x10
	s_mov_b32 s8, 0
	s_waitcnt lgkmcnt(0)
	v_cmp_eq_f32_e64 s2, s5, 0
	v_cmp_eq_f32_e64 s3, s7, 1.0
	s_delay_alu instid0(VALU_DEP_1) | instskip(NEXT) | instid1(SALU_CYCLE_1)
	s_and_b32 s2, s2, s3
	s_and_b32 vcc_lo, exec_lo, s2
	s_cbranch_vccnz .LBB88_19
; %bb.1:
	s_clause 0x2
	s_load_b64 s[2:3], s[0:1], 0x38
	s_load_b128 s[16:19], s[0:1], 0x20
	s_load_b32 s9, s[0:1], 0x30
	v_lshl_or_b32 v0, s14, 6, v0
	v_cmp_neq_f32_e64 s12, s5, 0
	s_waitcnt lgkmcnt(0)
	s_mul_i32 s3, s15, s3
	s_mul_hi_u32 s6, s15, s2
	s_mul_i32 s2, s15, s2
	s_add_i32 s3, s6, s3
	s_delay_alu instid0(SALU_CYCLE_1) | instskip(NEXT) | instid1(SALU_CYCLE_1)
	s_lshl_b64 s[2:3], s[2:3], 2
	s_add_u32 s2, s16, s2
	s_addc_u32 s6, s17, s3
	s_lshl_b64 s[10:11], s[18:19], 2
	s_delay_alu instid0(SALU_CYCLE_1)
	s_add_u32 s3, s2, s10
	v_cmp_gt_i32_e64 s2, s4, v0
	s_addc_u32 s6, s6, s11
	s_and_b32 vcc_lo, exec_lo, s12
	s_cbranch_vccnz .LBB88_6
; %bb.2:
	s_mov_b32 s10, 0
                                        ; implicit-def: $vgpr3
                                        ; implicit-def: $vgpr1_vgpr2
	s_and_saveexec_b32 s11, s2
	s_cbranch_execz .LBB88_7
; %bb.3:
	v_mul_lo_u32 v1, v0, s9
	v_cmp_eq_f32_e64 s2, s7, 0
	v_mov_b32_e32 v3, 0
	s_delay_alu instid0(VALU_DEP_2) | instskip(NEXT) | instid1(VALU_DEP_3)
	s_and_b32 vcc_lo, exec_lo, s2
	v_ashrrev_i32_e32 v2, 31, v1
	s_cbranch_vccnz .LBB88_5
; %bb.4:
	s_delay_alu instid0(VALU_DEP_1) | instskip(NEXT) | instid1(VALU_DEP_1)
	v_lshlrev_b64 v[3:4], 2, v[1:2]
	v_add_co_u32 v3, vcc_lo, s3, v3
	s_delay_alu instid0(VALU_DEP_2)
	v_add_co_ci_u32_e32 v4, vcc_lo, s6, v4, vcc_lo
	global_load_b32 v3, v[3:4], off
	s_waitcnt vmcnt(0)
	v_mul_f32_e32 v3, s7, v3
.LBB88_5:
	s_mov_b32 s8, exec_lo
	s_or_b32 exec_lo, exec_lo, s11
	s_delay_alu instid0(SALU_CYCLE_1)
	s_and_b32 vcc_lo, exec_lo, s10
	s_cbranch_vccnz .LBB88_8
	s_branch .LBB88_17
.LBB88_6:
                                        ; implicit-def: $vgpr3
                                        ; implicit-def: $vgpr1_vgpr2
	s_cbranch_execnz .LBB88_8
	s_branch .LBB88_17
.LBB88_7:
	s_or_b32 exec_lo, exec_lo, s11
	s_delay_alu instid0(SALU_CYCLE_1)
	s_and_b32 vcc_lo, exec_lo, s10
	s_cbranch_vccz .LBB88_17
.LBB88_8:
	s_mov_b32 s2, exec_lo
                                        ; implicit-def: $vgpr3
                                        ; implicit-def: $vgpr1_vgpr2
	v_cmpx_gt_i32_e64 s4, v0
	s_cbranch_execz .LBB88_16
; %bb.9:
	s_load_b32 s10, s[0:1], 0x50
	v_mov_b32_e32 v4, 0
	s_waitcnt lgkmcnt(0)
	s_cmp_ge_i32 s14, s10
	s_cbranch_scc1 .LBB88_12
; %bb.10:
	s_load_b64 s[0:1], s[0:1], 0x40
	v_mad_u64_u32 v[1:2], null, s14, s4, v[0:1]
	s_ashr_i32 s13, s4, 31
	s_mul_hi_u32 s11, s4, s15
	s_mul_i32 s12, s13, s15
	s_mul_i32 s15, s4, s15
	s_add_i32 s11, s11, s12
	s_mul_hi_u32 s12, s15, s10
	s_delay_alu instid0(VALU_DEP_1)
	v_ashrrev_i32_e32 v2, 31, v1
	s_mul_i32 s11, s11, s10
	s_mul_i32 s16, s15, s10
	s_add_i32 s17, s12, s11
	v_mov_b32_e32 v4, 0
	v_lshlrev_b64 v[1:2], 2, v[1:2]
	s_lshl_b64 s[16:17], s[16:17], 2
	s_mov_b32 s12, s4
	s_waitcnt lgkmcnt(0)
	s_add_u32 s0, s0, s16
	s_addc_u32 s1, s1, s17
	v_add_co_u32 v1, vcc_lo, s0, v1
	v_add_co_ci_u32_e32 v2, vcc_lo, s1, v2, vcc_lo
	s_lshl_b64 s[0:1], s[12:13], 2
.LBB88_11:                              ; =>This Inner Loop Header: Depth=1
	global_load_b32 v3, v[1:2], off
	v_add_co_u32 v1, vcc_lo, v1, s0
	v_add_co_ci_u32_e32 v2, vcc_lo, s1, v2, vcc_lo
	s_add_i32 s14, s14, 1
	s_delay_alu instid0(SALU_CYCLE_1)
	s_cmp_ge_i32 s14, s10
	s_waitcnt vmcnt(0)
	v_add_f32_e32 v4, v4, v3
	s_cbranch_scc0 .LBB88_11
.LBB88_12:
	v_mul_lo_u32 v1, v0, s9
	v_cmp_eq_f32_e64 s0, s7, 0
	s_delay_alu instid0(VALU_DEP_1) | instskip(SKIP_1) | instid1(VALU_DEP_2)
	s_and_b32 vcc_lo, exec_lo, s0
	s_mov_b32 s0, 0
	v_ashrrev_i32_e32 v2, 31, v1
	s_cbranch_vccz .LBB88_20
; %bb.13:
	v_mul_f32_e32 v3, s5, v4
	s_and_not1_b32 vcc_lo, exec_lo, s0
	s_cbranch_vccnz .LBB88_15
.LBB88_14:
	s_delay_alu instid0(VALU_DEP_1) | instskip(NEXT) | instid1(VALU_DEP_1)
	v_lshlrev_b64 v[5:6], 2, v[1:2]
	v_add_co_u32 v5, vcc_lo, s3, v5
	s_delay_alu instid0(VALU_DEP_2) | instskip(SKIP_3) | instid1(VALU_DEP_1)
	v_add_co_ci_u32_e32 v6, vcc_lo, s6, v6, vcc_lo
	global_load_b32 v0, v[5:6], off
	s_waitcnt vmcnt(0)
	v_mul_f32_e32 v3, s7, v0
	v_fmac_f32_e32 v3, s5, v4
.LBB88_15:
	s_or_b32 s8, s8, exec_lo
.LBB88_16:
	s_or_b32 exec_lo, exec_lo, s2
.LBB88_17:
	s_and_saveexec_b32 s0, s8
	s_cbranch_execz .LBB88_19
; %bb.18:
	v_lshlrev_b64 v[0:1], 2, v[1:2]
	s_delay_alu instid0(VALU_DEP_1) | instskip(NEXT) | instid1(VALU_DEP_2)
	v_add_co_u32 v0, vcc_lo, s3, v0
	v_add_co_ci_u32_e32 v1, vcc_lo, s6, v1, vcc_lo
	global_store_b32 v[0:1], v3, off
.LBB88_19:
	s_nop 0
	s_sendmsg sendmsg(MSG_DEALLOC_VGPRS)
	s_endpgm
.LBB88_20:
                                        ; implicit-def: $vgpr3
	s_branch .LBB88_14
	.section	.rodata,"a",@progbits
	.p2align	6, 0x0
	.amdhsa_kernel _ZL36rocblas_hemvn_kernel_lower_block_sumILi64EifPffEviT1_lS1_lT2_lT0_lPT3_i
		.amdhsa_group_segment_fixed_size 0
		.amdhsa_private_segment_fixed_size 0
		.amdhsa_kernarg_size 336
		.amdhsa_user_sgpr_count 14
		.amdhsa_user_sgpr_dispatch_ptr 0
		.amdhsa_user_sgpr_queue_ptr 0
		.amdhsa_user_sgpr_kernarg_segment_ptr 1
		.amdhsa_user_sgpr_dispatch_id 0
		.amdhsa_user_sgpr_private_segment_size 0
		.amdhsa_wavefront_size32 1
		.amdhsa_uses_dynamic_stack 0
		.amdhsa_enable_private_segment 0
		.amdhsa_system_sgpr_workgroup_id_x 1
		.amdhsa_system_sgpr_workgroup_id_y 0
		.amdhsa_system_sgpr_workgroup_id_z 1
		.amdhsa_system_sgpr_workgroup_info 0
		.amdhsa_system_vgpr_workitem_id 0
		.amdhsa_next_free_vgpr 7
		.amdhsa_next_free_sgpr 20
		.amdhsa_reserve_vcc 1
		.amdhsa_float_round_mode_32 0
		.amdhsa_float_round_mode_16_64 0
		.amdhsa_float_denorm_mode_32 3
		.amdhsa_float_denorm_mode_16_64 3
		.amdhsa_dx10_clamp 1
		.amdhsa_ieee_mode 1
		.amdhsa_fp16_overflow 0
		.amdhsa_workgroup_processor_mode 1
		.amdhsa_memory_ordered 1
		.amdhsa_forward_progress 0
		.amdhsa_shared_vgpr_count 0
		.amdhsa_exception_fp_ieee_invalid_op 0
		.amdhsa_exception_fp_denorm_src 0
		.amdhsa_exception_fp_ieee_div_zero 0
		.amdhsa_exception_fp_ieee_overflow 0
		.amdhsa_exception_fp_ieee_underflow 0
		.amdhsa_exception_fp_ieee_inexact 0
		.amdhsa_exception_int_div_zero 0
	.end_amdhsa_kernel
	.section	.text._ZL36rocblas_hemvn_kernel_lower_block_sumILi64EifPffEviT1_lS1_lT2_lT0_lPT3_i,"axG",@progbits,_ZL36rocblas_hemvn_kernel_lower_block_sumILi64EifPffEviT1_lS1_lT2_lT0_lPT3_i,comdat
.Lfunc_end88:
	.size	_ZL36rocblas_hemvn_kernel_lower_block_sumILi64EifPffEviT1_lS1_lT2_lT0_lPT3_i, .Lfunc_end88-_ZL36rocblas_hemvn_kernel_lower_block_sumILi64EifPffEviT1_lS1_lT2_lT0_lPT3_i
                                        ; -- End function
	.section	.AMDGPU.csdata,"",@progbits
; Kernel info:
; codeLenInByte = 664
; NumSgprs: 22
; NumVgprs: 7
; ScratchSize: 0
; MemoryBound: 0
; FloatMode: 240
; IeeeMode: 1
; LDSByteSize: 0 bytes/workgroup (compile time only)
; SGPRBlocks: 2
; VGPRBlocks: 0
; NumSGPRsForWavesPerEU: 22
; NumVGPRsForWavesPerEU: 7
; Occupancy: 16
; WaveLimiterHint : 0
; COMPUTE_PGM_RSRC2:SCRATCH_EN: 0
; COMPUTE_PGM_RSRC2:USER_SGPR: 14
; COMPUTE_PGM_RSRC2:TRAP_HANDLER: 0
; COMPUTE_PGM_RSRC2:TGID_X_EN: 1
; COMPUTE_PGM_RSRC2:TGID_Y_EN: 0
; COMPUTE_PGM_RSRC2:TGID_Z_EN: 1
; COMPUTE_PGM_RSRC2:TIDIG_COMP_CNT: 0
	.section	.text._ZL50rocblas_symv_kernel_upper_double_buffered_diagonalILi32ELi4E24rocblas_internal_val_ptrIdEPKdPdEvbiT1_lT2_lllS6_lllS5_lT3_llli,"axG",@progbits,_ZL50rocblas_symv_kernel_upper_double_buffered_diagonalILi32ELi4E24rocblas_internal_val_ptrIdEPKdPdEvbiT1_lT2_lllS6_lllS5_lT3_llli,comdat
	.globl	_ZL50rocblas_symv_kernel_upper_double_buffered_diagonalILi32ELi4E24rocblas_internal_val_ptrIdEPKdPdEvbiT1_lT2_lllS6_lllS5_lT3_llli ; -- Begin function _ZL50rocblas_symv_kernel_upper_double_buffered_diagonalILi32ELi4E24rocblas_internal_val_ptrIdEPKdPdEvbiT1_lT2_lllS6_lllS5_lT3_llli
	.p2align	8
	.type	_ZL50rocblas_symv_kernel_upper_double_buffered_diagonalILi32ELi4E24rocblas_internal_val_ptrIdEPKdPdEvbiT1_lT2_lllS6_lllS5_lT3_llli,@function
_ZL50rocblas_symv_kernel_upper_double_buffered_diagonalILi32ELi4E24rocblas_internal_val_ptrIdEPKdPdEvbiT1_lT2_lllS6_lllS5_lT3_llli: ; @_ZL50rocblas_symv_kernel_upper_double_buffered_diagonalILi32ELi4E24rocblas_internal_val_ptrIdEPKdPdEvbiT1_lT2_lllS6_lllS5_lT3_llli
; %bb.0:
	s_clause 0x2
	s_load_b32 s2, s[0:1], 0x0
	s_load_b512 s[16:31], s[0:1], 0x8
	s_load_b256 s[4:11], s[0:1], 0x48
	s_waitcnt lgkmcnt(0)
	s_bitcmp1_b32 s2, 0
	v_dual_mov_b32 v1, s16 :: v_dual_mov_b32 v2, s17
	s_cselect_b32 s2, -1, 0
	s_delay_alu instid0(SALU_CYCLE_1)
	s_and_b32 vcc_lo, exec_lo, s2
	s_xor_b32 s2, s2, -1
	s_cbranch_vccnz .LBB89_2
; %bb.1:
	s_mul_i32 s3, s15, s19
	s_mul_hi_u32 s12, s15, s18
	s_delay_alu instid0(SALU_CYCLE_1) | instskip(SKIP_1) | instid1(SALU_CYCLE_1)
	s_add_i32 s13, s12, s3
	s_mul_i32 s12, s15, s18
	s_lshl_b64 s[12:13], s[12:13], 3
	s_delay_alu instid0(SALU_CYCLE_1) | instskip(SKIP_1) | instid1(SALU_CYCLE_1)
	s_add_u32 s12, s16, s12
	s_addc_u32 s13, s17, s13
	v_dual_mov_b32 v1, s12 :: v_dual_mov_b32 v2, s13
	flat_load_b64 v[1:2], v[1:2]
.LBB89_2:
	v_dual_mov_b32 v3, s8 :: v_dual_mov_b32 v4, s9
	s_and_not1_b32 vcc_lo, exec_lo, s2
	s_cbranch_vccnz .LBB89_4
; %bb.3:
	s_mul_i32 s2, s15, s11
	s_mul_hi_u32 s3, s15, s10
	s_delay_alu instid0(SALU_CYCLE_1) | instskip(SKIP_1) | instid1(SALU_CYCLE_1)
	s_add_i32 s3, s3, s2
	s_mul_i32 s2, s15, s10
	s_lshl_b64 s[2:3], s[2:3], 3
	s_delay_alu instid0(SALU_CYCLE_1) | instskip(SKIP_1) | instid1(SALU_CYCLE_1)
	s_add_u32 s2, s8, s2
	s_addc_u32 s3, s9, s3
	v_dual_mov_b32 v4, s3 :: v_dual_mov_b32 v3, s2
	flat_load_b64 v[3:4], v[3:4]
.LBB89_4:
	s_waitcnt vmcnt(0) lgkmcnt(0)
	v_cmp_neq_f64_e32 vcc_lo, 0, v[1:2]
	v_cmp_neq_f64_e64 s2, 1.0, v[3:4]
	s_delay_alu instid0(VALU_DEP_1) | instskip(NEXT) | instid1(SALU_CYCLE_1)
	s_or_b32 s2, vcc_lo, s2
	s_and_saveexec_b32 s3, s2
	s_cbranch_execz .LBB89_36
; %bb.5:
	s_clause 0x2
	s_load_b64 s[8:9], s[0:1], 0x80
	s_load_b64 s[10:11], s[0:1], 0x68
	s_load_b128 s[0:3], s[0:1], 0x70
	v_cmp_eq_f64_e32 vcc_lo, 0, v[1:2]
	v_and_b32_e32 v15, 0x3ff, v0
	v_bfe_u32 v0, v0, 10, 10
	s_waitcnt lgkmcnt(0)
	s_mul_i32 s9, s15, s9
	s_mul_hi_u32 s12, s15, s8
	s_mul_i32 s8, s15, s8
	s_add_i32 s9, s12, s9
	s_delay_alu instid0(SALU_CYCLE_1) | instskip(NEXT) | instid1(SALU_CYCLE_1)
	s_lshl_b64 s[8:9], s[8:9], 3
	s_add_u32 s8, s10, s8
	s_addc_u32 s9, s11, s9
	s_lshl_b64 s[0:1], s[0:1], 3
	s_delay_alu instid0(SALU_CYCLE_1) | instskip(SKIP_2) | instid1(SALU_CYCLE_1)
	s_add_u32 s12, s8, s0
	s_addc_u32 s13, s9, s1
	s_lshl_b32 s8, s14, 5
	s_mul_i32 s0, s8, s3
	s_mul_hi_u32 s1, s8, s2
	s_ashr_i32 s9, s8, 31
	s_add_i32 s0, s1, s0
	s_mul_i32 s1, s9, s2
	s_delay_alu instid0(SALU_CYCLE_1) | instskip(SKIP_1) | instid1(SALU_CYCLE_1)
	s_add_i32 s1, s0, s1
	s_mul_i32 s0, s8, s2
	s_lshl_b64 s[10:11], s[0:1], 3
	s_delay_alu instid0(SALU_CYCLE_1) | instskip(SKIP_2) | instid1(SALU_CYCLE_1)
	s_add_u32 s1, s12, s10
	s_addc_u32 s10, s13, s11
	s_and_saveexec_b32 s0, vcc_lo
	s_xor_b32 s0, exec_lo, s0
	s_cbranch_execz .LBB89_9
; %bb.6:
	s_mov_b32 s11, exec_lo
	v_cmpx_eq_u32_e32 0, v0
	s_cbranch_execz .LBB89_8
; %bb.7:
	v_mad_u64_u32 v[0:1], null, v15, s2, 0
	s_delay_alu instid0(VALU_DEP_1) | instskip(NEXT) | instid1(VALU_DEP_1)
	v_mad_u64_u32 v[5:6], null, v15, s3, v[1:2]
	v_mov_b32_e32 v1, v5
	s_delay_alu instid0(VALU_DEP_1) | instskip(NEXT) | instid1(VALU_DEP_1)
	v_lshlrev_b64 v[0:1], 3, v[0:1]
	v_add_co_u32 v0, vcc_lo, s1, v0
	s_delay_alu instid0(VALU_DEP_2)
	v_add_co_ci_u32_e32 v1, vcc_lo, s10, v1, vcc_lo
	global_load_b64 v[5:6], v[0:1], off
	s_waitcnt vmcnt(0)
	v_mul_f64 v[2:3], v[3:4], v[5:6]
	global_store_b64 v[0:1], v[2:3], off
.LBB89_8:
	s_or_b32 exec_lo, exec_lo, s11
                                        ; implicit-def: $vgpr0
                                        ; implicit-def: $vgpr1_vgpr2
                                        ; implicit-def: $vgpr3_vgpr4
                                        ; implicit-def: $vgpr15
.LBB89_9:
	s_and_not1_saveexec_b32 s0, s0
	s_cbranch_execz .LBB89_36
; %bb.10:
	v_mov_b32_e32 v5, 0
	v_mov_b32_e32 v6, 0
	v_cmp_eq_u32_e32 vcc_lo, 0, v0
	s_and_saveexec_b32 s11, vcc_lo
	s_cbranch_execz .LBB89_14
; %bb.11:
	v_mov_b32_e32 v5, 0
	v_mov_b32_e32 v6, 0
	s_mov_b32 s12, exec_lo
	v_cmpx_neq_f64_e32 0, v[3:4]
	s_cbranch_execz .LBB89_13
; %bb.12:
	v_mad_u64_u32 v[5:6], null, v15, s2, 0
	s_delay_alu instid0(VALU_DEP_1) | instskip(NEXT) | instid1(VALU_DEP_1)
	v_mad_u64_u32 v[7:8], null, v15, s3, v[6:7]
	v_mov_b32_e32 v6, v7
	s_delay_alu instid0(VALU_DEP_1) | instskip(NEXT) | instid1(VALU_DEP_1)
	v_lshlrev_b64 v[5:6], 3, v[5:6]
	v_add_co_u32 v5, s0, s1, v5
	s_delay_alu instid0(VALU_DEP_1)
	v_add_co_ci_u32_e64 v6, s0, s10, v6, s0
	global_load_b64 v[5:6], v[5:6], off
	s_waitcnt vmcnt(0)
	v_mul_f64 v[5:6], v[3:4], v[5:6]
.LBB89_13:
	s_or_b32 exec_lo, exec_lo, s12
	v_mad_u64_u32 v[7:8], null, v15, s4, 0
	s_mul_i32 s0, s15, s7
	s_mul_hi_u32 s7, s15, s6
	s_mul_i32 s6, s15, s6
	s_add_i32 s7, s7, s0
	s_mul_i32 s12, s8, s5
	s_lshl_b64 s[6:7], s[6:7], 3
	s_delay_alu instid0(VALU_DEP_1)
	v_mad_u64_u32 v[9:10], null, v15, s5, v[8:9]
	s_add_u32 s5, s28, s6
	s_addc_u32 s13, s29, s7
	s_lshl_b64 s[6:7], s[30:31], 3
	s_mul_hi_u32 s0, s8, s4
	s_add_u32 s6, s5, s6
	s_mul_i32 s14, s9, s4
	s_delay_alu instid0(VALU_DEP_1)
	v_dual_mov_b32 v8, v9 :: v_dual_lshlrev_b32 v9, 3, v15
	s_addc_u32 s7, s13, s7
	s_add_i32 s0, s0, s12
	s_mul_i32 s4, s8, s4
	s_add_i32 s5, s0, s14
	v_lshlrev_b64 v[7:8], 3, v[7:8]
	s_lshl_b64 s[4:5], s[4:5], 3
	s_delay_alu instid0(SALU_CYCLE_1) | instskip(SKIP_1) | instid1(VALU_DEP_1)
	s_add_u32 s0, s6, s4
	s_addc_u32 s4, s7, s5
	v_add_co_u32 v7, s0, s0, v7
	s_delay_alu instid0(VALU_DEP_1)
	v_add_co_ci_u32_e64 v8, s0, s4, v8, s0
	global_load_b64 v[7:8], v[7:8], off
	s_waitcnt vmcnt(0)
	ds_store_b64 v9, v[7:8] offset:10240
.LBB89_14:
	s_or_b32 exec_lo, exec_lo, s11
	v_mad_u64_u32 v[7:8], null, v0, s24, 0
	s_mul_i32 s0, s15, s27
	s_mul_hi_u32 s5, s15, s26
	s_mul_i32 s4, s15, s26
	s_add_i32 s5, s5, s0
	v_lshlrev_b32_e32 v16, 3, v15
	s_lshl_b64 s[4:5], s[4:5], 3
	s_delay_alu instid0(VALU_DEP_2)
	v_mad_u64_u32 v[9:10], null, v0, s25, v[8:9]
	s_add_u32 s0, s20, s4
	s_addc_u32 s6, s21, s5
	s_lshl_b64 s[4:5], s[22:23], 3
	s_mul_i32 s11, s25, 12
	s_add_u32 s0, s0, s4
	s_addc_u32 s6, s6, s5
	s_add_u32 s4, s24, 1
	v_mov_b32_e32 v8, v9
	s_addc_u32 s5, s25, 0
	s_mul_i32 s7, s4, s9
	s_mul_hi_u32 s9, s4, s8
	s_mul_i32 s5, s5, s8
	s_add_i32 s7, s9, s7
	s_mul_i32 s4, s4, s8
	s_add_i32 s5, s7, s5
	v_lshlrev_b64 v[7:8], 3, v[7:8]
	s_lshl_b64 s[4:5], s[4:5], 3
	s_mul_hi_u32 s12, s24, 12
	s_add_u32 s0, s0, s4
	s_addc_u32 s4, s6, s5
                                        ; implicit-def: $sgpr6_sgpr7
                                        ; implicit-def: $sgpr8_sgpr9
	s_delay_alu instid0(VALU_DEP_1) | instskip(NEXT) | instid1(VALU_DEP_1)
	v_add_co_u32 v7, s0, s0, v7
	v_add_co_ci_u32_e64 v8, s0, s4, v8, s0
	s_mul_i32 s4, s24, 12
	s_delay_alu instid0(VALU_DEP_2) | instskip(NEXT) | instid1(VALU_DEP_1)
	v_add_co_u32 v7, s0, v7, v16
	v_add_co_ci_u32_e64 v8, s0, 0, v8, s0
	v_cmp_lt_u32_e64 s0, 15, v15
	s_delay_alu instid0(VALU_DEP_1) | instskip(NEXT) | instid1(SALU_CYCLE_1)
	s_and_saveexec_b32 s5, s0
	s_xor_b32 s0, exec_lo, s5
; %bb.15:
	s_lshl_b64 s[6:7], s[24:25], 2
	s_lshl_b64 s[8:9], s[24:25], 3
	s_add_i32 s5, s12, s11
; %bb.16:
	s_or_saveexec_b32 s13, s0
	v_dual_mov_b32 v10, s5 :: v_dual_lshlrev_b32 v17, 5, v0
	v_dual_mov_b32 v9, s4 :: v_dual_mov_b32 v12, s9
	v_dual_mov_b32 v11, s8 :: v_dual_mov_b32 v14, s7
	v_mov_b32_e32 v13, s6
	s_xor_b32 exec_lo, exec_lo, s13
	s_cbranch_execz .LBB89_18
; %bb.17:
	s_lshl_b64 s[6:7], s[24:25], 5
	s_add_i32 s5, s12, s11
	v_add_co_u32 v9, s0, v7, s6
	s_delay_alu instid0(VALU_DEP_1) | instskip(SKIP_1) | instid1(VALU_DEP_2)
	v_add_co_ci_u32_e64 v10, s0, s7, v8, s0
	s_lshl_b64 s[8:9], s[24:25], 3
	v_add_co_u32 v11, s0, v9, s6
	s_delay_alu instid0(VALU_DEP_1) | instskip(NEXT) | instid1(VALU_DEP_2)
	v_add_co_ci_u32_e64 v12, s0, s7, v10, s0
	v_add_co_u32 v13, s0, v11, s6
	s_delay_alu instid0(VALU_DEP_1)
	v_add_co_ci_u32_e64 v14, s0, s7, v12, s0
	s_clause 0x1
	global_load_b64 v[18:19], v[7:8], off
	global_load_b64 v[20:21], v[9:10], off
	;; [unrolled: 1-line block ×4, first 2 shown]
	v_or_b32_e32 v9, v17, v15
	s_lshl_b64 s[6:7], s[24:25], 2
	v_mov_b32_e32 v12, s9
	v_dual_mov_b32 v14, s7 :: v_dual_mov_b32 v13, s6
	s_delay_alu instid0(VALU_DEP_3)
	v_lshlrev_b32_e32 v26, 3, v9
	v_dual_mov_b32 v10, s5 :: v_dual_mov_b32 v11, s8
	v_mov_b32_e32 v9, s4
	s_waitcnt vmcnt(2)
	ds_store_2addr_stride64_b64 v26, v[18:19], v[20:21] offset1:2
	s_waitcnt vmcnt(0)
	ds_store_2addr_stride64_b64 v26, v[22:23], v[24:25] offset0:4 offset1:6
.LBB89_18:
	s_or_b32 exec_lo, exec_lo, s13
	s_lshl_b64 s[4:5], s[24:25], 7
	v_lshlrev_b64 v[13:14], 3, v[13:14]
	v_add_co_u32 v7, s0, v7, s4
	s_delay_alu instid0(VALU_DEP_1) | instskip(SKIP_1) | instid1(VALU_DEP_3)
	v_add_co_ci_u32_e64 v8, s0, s5, v8, s0
	v_lshlrev_b64 v[11:12], 3, v[11:12]
	v_add_co_u32 v13, s0, v7, v13
	v_lshlrev_b64 v[9:10], 3, v[9:10]
	s_delay_alu instid0(VALU_DEP_4) | instskip(NEXT) | instid1(VALU_DEP_4)
	v_add_co_ci_u32_e64 v14, s0, v8, v14, s0
	v_add_co_u32 v11, s0, v7, v11
	s_delay_alu instid0(VALU_DEP_1) | instskip(NEXT) | instid1(VALU_DEP_4)
	v_add_co_ci_u32_e64 v12, s0, v8, v12, s0
	v_add_co_u32 v9, s0, v7, v9
	s_delay_alu instid0(VALU_DEP_1)
	v_add_co_ci_u32_e64 v10, s0, v8, v10, s0
	global_load_b64 v[18:19], v[7:8], off
	s_clause 0x2
	global_load_b64 v[20:21], v[13:14], off
	global_load_b64 v[22:23], v[11:12], off
	;; [unrolled: 1-line block ×3, first 2 shown]
	v_sub_nc_u32_e32 v7, v15, v0
	v_add_lshl_u32 v8, v17, v15, 3
	v_lshlrev_b32_e32 v12, 5, v15
	s_mov_b32 s4, exec_lo
	s_waitcnt vmcnt(2)
	ds_store_2addr_stride64_b64 v8, v[18:19], v[20:21] offset0:8 offset1:10
	s_waitcnt vmcnt(0)
	ds_store_2addr_stride64_b64 v8, v[22:23], v[9:10] offset0:12 offset1:14
	v_sub_nc_u32_e32 v11, 0, v7
	s_waitcnt lgkmcnt(0)
	s_waitcnt_vscnt null, 0x0
	s_barrier
	buffer_gl0_inv
	v_max_i32_e32 v13, v7, v11
	v_add_nc_u32_e32 v7, 0x1000, v8
	v_add_lshl_u32 v11, v0, v12, 3
	s_delay_alu instid0(VALU_DEP_3)
	v_cmpx_lt_u32_e32 16, v13
	s_cbranch_execz .LBB89_20
; %bb.19:
	ds_load_b64 v[9:10], v11 offset:128
	s_waitcnt lgkmcnt(0)
	ds_store_b64 v7, v[9:10]
.LBB89_20:
	s_or_b32 exec_lo, exec_lo, s4
	v_add_nc_u32_e32 v9, 0x1400, v8
	s_mov_b32 s4, exec_lo
	v_cmpx_lt_u32_e32 20, v13
	s_cbranch_execz .LBB89_22
; %bb.21:
	ds_load_b64 v[18:19], v11 offset:160
	s_waitcnt lgkmcnt(0)
	ds_store_b64 v9, v[18:19]
.LBB89_22:
	s_or_b32 exec_lo, exec_lo, s4
	v_add_nc_u32_e32 v10, 0x1800, v8
	s_mov_b32 s4, exec_lo
	;; [unrolled: 10-line block ×4, first 2 shown]
	s_delay_alu instid0(VALU_DEP_1)
	v_lshlrev_b32_e32 v14, 3, v14
	v_cmpx_ge_u32_e64 v15, v0
	s_cbranch_execz .LBB89_28
; %bb.27:
	ds_load_b64 v[18:19], v11
	s_waitcnt lgkmcnt(0)
	ds_store_b64 v14, v[18:19]
.LBB89_28:
	s_or_b32 exec_lo, exec_lo, s4
	s_delay_alu instid0(SALU_CYCLE_1)
	s_mov_b32 s4, exec_lo
	v_cmpx_lt_u32_e32 4, v13
	s_cbranch_execz .LBB89_30
; %bb.29:
	ds_load_b64 v[18:19], v11 offset:32
	s_waitcnt lgkmcnt(0)
	ds_store_b64 v8, v[18:19] offset:1024
.LBB89_30:
	s_or_b32 exec_lo, exec_lo, s4
	s_delay_alu instid0(SALU_CYCLE_1)
	s_mov_b32 s4, exec_lo
	v_cmpx_lt_u32_e32 8, v13
	s_cbranch_execz .LBB89_32
; %bb.31:
	ds_load_b64 v[18:19], v11 offset:64
	s_waitcnt lgkmcnt(0)
	ds_store_b64 v8, v[18:19] offset:2048
.LBB89_32:
	s_or_b32 exec_lo, exec_lo, s4
	v_add3_u32 v17, v17, v15, 0x180
	v_cmp_lt_u32_e64 s0, 12, v13
	s_delay_alu instid0(VALU_DEP_2) | instskip(NEXT) | instid1(VALU_DEP_2)
	v_lshlrev_b32_e32 v13, 3, v17
	s_and_saveexec_b32 s4, s0
	s_cbranch_execz .LBB89_34
; %bb.33:
	ds_load_b64 v[17:18], v11 offset:96
	s_waitcnt lgkmcnt(0)
	ds_store_b64 v13, v[17:18]
.LBB89_34:
	s_or_b32 exec_lo, exec_lo, s4
	v_lshlrev_b32_e32 v0, 3, v0
	s_waitcnt lgkmcnt(0)
	s_barrier
	buffer_gl0_inv
	v_add_nc_u32_e32 v0, 0x2800, v0
	ds_load_2addr_b64 v[17:20], v0 offset1:4
	ds_load_b64 v[21:22], v14
	ds_load_b64 v[25:26], v13
	s_waitcnt lgkmcnt(1)
	v_fma_f64 v[17:18], v[21:22], v[17:18], 0
	ds_load_2addr_stride64_b64 v[21:24], v8 offset0:2 offset1:4
	s_waitcnt lgkmcnt(0)
	v_fma_f64 v[21:22], v[21:22], v[19:20], v[17:18]
	ds_load_2addr_b64 v[17:20], v0 offset0:8 offset1:12
	s_waitcnt lgkmcnt(0)
	v_fma_f64 v[17:18], v[23:24], v[17:18], v[21:22]
	s_delay_alu instid0(VALU_DEP_1)
	v_fma_f64 v[21:22], v[25:26], v[19:20], v[17:18]
	ds_load_2addr_b64 v[17:20], v0 offset0:16 offset1:20
	ds_load_b64 v[7:8], v7
	ds_load_b64 v[23:24], v9
	;; [unrolled: 1-line block ×4, first 2 shown]
	s_waitcnt lgkmcnt(3)
	v_fma_f64 v[7:8], v[7:8], v[17:18], v[21:22]
	s_waitcnt lgkmcnt(2)
	s_delay_alu instid0(VALU_DEP_1) | instskip(SKIP_3) | instid1(VALU_DEP_1)
	v_fma_f64 v[17:18], v[23:24], v[19:20], v[7:8]
	ds_load_2addr_b64 v[7:10], v0 offset0:24 offset1:28
	s_waitcnt lgkmcnt(0)
	v_fma_f64 v[7:8], v[25:26], v[7:8], v[17:18]
	v_fma_f64 v[7:8], v[11:12], v[9:10], v[7:8]
	ds_store_b64 v14, v[7:8] offset:8192
	s_waitcnt lgkmcnt(0)
	s_barrier
	buffer_gl0_inv
	s_and_saveexec_b32 s0, vcc_lo
	s_cbranch_execz .LBB89_36
; %bb.35:
	v_add_nc_u32_e32 v0, 0x2000, v16
	v_cmp_neq_f64_e32 vcc_lo, 0, v[3:4]
	ds_load_2addr_b64 v[7:10], v0 offset1:32
	s_waitcnt lgkmcnt(0)
	v_add_f64 v[7:8], v[7:8], 0
	s_delay_alu instid0(VALU_DEP_1) | instskip(SKIP_3) | instid1(VALU_DEP_1)
	v_add_f64 v[11:12], v[7:8], v[9:10]
	ds_load_2addr_b64 v[7:10], v0 offset0:64 offset1:96
	s_waitcnt lgkmcnt(0)
	v_add_f64 v[7:8], v[11:12], v[7:8]
	v_add_f64 v[7:8], v[7:8], v[9:10]
	s_delay_alu instid0(VALU_DEP_1) | instskip(SKIP_2) | instid1(VALU_DEP_1)
	v_mul_f64 v[9:10], v[1:2], v[7:8]
	v_fma_f64 v[0:1], v[1:2], v[7:8], v[5:6]
	v_mad_u64_u32 v[2:3], null, v15, s2, 0
	v_mad_u64_u32 v[4:5], null, v15, s3, v[3:4]
	s_delay_alu instid0(VALU_DEP_1) | instskip(NEXT) | instid1(VALU_DEP_1)
	v_mov_b32_e32 v3, v4
	v_lshlrev_b64 v[2:3], 3, v[2:3]
	v_dual_cndmask_b32 v1, v10, v1 :: v_dual_cndmask_b32 v0, v9, v0
	s_delay_alu instid0(VALU_DEP_2) | instskip(NEXT) | instid1(VALU_DEP_3)
	v_add_co_u32 v2, vcc_lo, s1, v2
	v_add_co_ci_u32_e32 v3, vcc_lo, s10, v3, vcc_lo
	global_store_b64 v[2:3], v[0:1], off
.LBB89_36:
	s_nop 0
	s_sendmsg sendmsg(MSG_DEALLOC_VGPRS)
	s_endpgm
	.section	.rodata,"a",@progbits
	.p2align	6, 0x0
	.amdhsa_kernel _ZL50rocblas_symv_kernel_upper_double_buffered_diagonalILi32ELi4E24rocblas_internal_val_ptrIdEPKdPdEvbiT1_lT2_lllS6_lllS5_lT3_llli
		.amdhsa_group_segment_fixed_size 10496
		.amdhsa_private_segment_fixed_size 0
		.amdhsa_kernarg_size 140
		.amdhsa_user_sgpr_count 14
		.amdhsa_user_sgpr_dispatch_ptr 0
		.amdhsa_user_sgpr_queue_ptr 0
		.amdhsa_user_sgpr_kernarg_segment_ptr 1
		.amdhsa_user_sgpr_dispatch_id 0
		.amdhsa_user_sgpr_private_segment_size 0
		.amdhsa_wavefront_size32 1
		.amdhsa_uses_dynamic_stack 0
		.amdhsa_enable_private_segment 0
		.amdhsa_system_sgpr_workgroup_id_x 1
		.amdhsa_system_sgpr_workgroup_id_y 0
		.amdhsa_system_sgpr_workgroup_id_z 1
		.amdhsa_system_sgpr_workgroup_info 0
		.amdhsa_system_vgpr_workitem_id 1
		.amdhsa_next_free_vgpr 27
		.amdhsa_next_free_sgpr 32
		.amdhsa_reserve_vcc 1
		.amdhsa_float_round_mode_32 0
		.amdhsa_float_round_mode_16_64 0
		.amdhsa_float_denorm_mode_32 3
		.amdhsa_float_denorm_mode_16_64 3
		.amdhsa_dx10_clamp 1
		.amdhsa_ieee_mode 1
		.amdhsa_fp16_overflow 0
		.amdhsa_workgroup_processor_mode 1
		.amdhsa_memory_ordered 1
		.amdhsa_forward_progress 0
		.amdhsa_shared_vgpr_count 0
		.amdhsa_exception_fp_ieee_invalid_op 0
		.amdhsa_exception_fp_denorm_src 0
		.amdhsa_exception_fp_ieee_div_zero 0
		.amdhsa_exception_fp_ieee_overflow 0
		.amdhsa_exception_fp_ieee_underflow 0
		.amdhsa_exception_fp_ieee_inexact 0
		.amdhsa_exception_int_div_zero 0
	.end_amdhsa_kernel
	.section	.text._ZL50rocblas_symv_kernel_upper_double_buffered_diagonalILi32ELi4E24rocblas_internal_val_ptrIdEPKdPdEvbiT1_lT2_lllS6_lllS5_lT3_llli,"axG",@progbits,_ZL50rocblas_symv_kernel_upper_double_buffered_diagonalILi32ELi4E24rocblas_internal_val_ptrIdEPKdPdEvbiT1_lT2_lllS6_lllS5_lT3_llli,comdat
.Lfunc_end89:
	.size	_ZL50rocblas_symv_kernel_upper_double_buffered_diagonalILi32ELi4E24rocblas_internal_val_ptrIdEPKdPdEvbiT1_lT2_lllS6_lllS5_lT3_llli, .Lfunc_end89-_ZL50rocblas_symv_kernel_upper_double_buffered_diagonalILi32ELi4E24rocblas_internal_val_ptrIdEPKdPdEvbiT1_lT2_lllS6_lllS5_lT3_llli
                                        ; -- End function
	.section	.AMDGPU.csdata,"",@progbits
; Kernel info:
; codeLenInByte = 2192
; NumSgprs: 34
; NumVgprs: 27
; ScratchSize: 0
; MemoryBound: 0
; FloatMode: 240
; IeeeMode: 1
; LDSByteSize: 10496 bytes/workgroup (compile time only)
; SGPRBlocks: 4
; VGPRBlocks: 3
; NumSGPRsForWavesPerEU: 34
; NumVGPRsForWavesPerEU: 27
; Occupancy: 12
; WaveLimiterHint : 0
; COMPUTE_PGM_RSRC2:SCRATCH_EN: 0
; COMPUTE_PGM_RSRC2:USER_SGPR: 14
; COMPUTE_PGM_RSRC2:TRAP_HANDLER: 0
; COMPUTE_PGM_RSRC2:TGID_X_EN: 1
; COMPUTE_PGM_RSRC2:TGID_Y_EN: 0
; COMPUTE_PGM_RSRC2:TGID_Z_EN: 1
; COMPUTE_PGM_RSRC2:TIDIG_COMP_CNT: 1
	.section	.text._ZL54rocblas_symv_kernel_upper_double_buffered_non_diagonalILi32ELi4ELi4E24rocblas_internal_val_ptrIdEPKdPdEvbiT2_lT3_lllS6_lllT4_llli,"axG",@progbits,_ZL54rocblas_symv_kernel_upper_double_buffered_non_diagonalILi32ELi4ELi4E24rocblas_internal_val_ptrIdEPKdPdEvbiT2_lT3_lllS6_lllT4_llli,comdat
	.globl	_ZL54rocblas_symv_kernel_upper_double_buffered_non_diagonalILi32ELi4ELi4E24rocblas_internal_val_ptrIdEPKdPdEvbiT2_lT3_lllS6_lllT4_llli ; -- Begin function _ZL54rocblas_symv_kernel_upper_double_buffered_non_diagonalILi32ELi4ELi4E24rocblas_internal_val_ptrIdEPKdPdEvbiT2_lT3_lllS6_lllT4_llli
	.p2align	8
	.type	_ZL54rocblas_symv_kernel_upper_double_buffered_non_diagonalILi32ELi4ELi4E24rocblas_internal_val_ptrIdEPKdPdEvbiT2_lT3_lllS6_lllT4_llli,@function
_ZL54rocblas_symv_kernel_upper_double_buffered_non_diagonalILi32ELi4ELi4E24rocblas_internal_val_ptrIdEPKdPdEvbiT2_lT3_lllS6_lllT4_llli: ; @_ZL54rocblas_symv_kernel_upper_double_buffered_non_diagonalILi32ELi4ELi4E24rocblas_internal_val_ptrIdEPKdPdEvbiT2_lT3_lllS6_lllT4_llli
; %bb.0:
	s_clause 0x1
	s_load_b32 s2, s[0:1], 0x0
	s_load_b512 s[16:31], s[0:1], 0x8
	s_waitcnt lgkmcnt(0)
	s_bitcmp1_b32 s2, 0
	v_dual_mov_b32 v8, s16 :: v_dual_mov_b32 v9, s17
	s_cselect_b32 s2, -1, 0
	s_delay_alu instid0(SALU_CYCLE_1)
	s_and_b32 vcc_lo, exec_lo, s2
	s_cbranch_vccnz .LBB90_2
; %bb.1:
	s_mul_i32 s2, s15, s19
	s_mul_hi_u32 s3, s15, s18
	s_delay_alu instid0(SALU_CYCLE_1) | instskip(SKIP_1) | instid1(SALU_CYCLE_1)
	s_add_i32 s3, s3, s2
	s_mul_i32 s2, s15, s18
	s_lshl_b64 s[2:3], s[2:3], 3
	s_delay_alu instid0(SALU_CYCLE_1) | instskip(SKIP_1) | instid1(SALU_CYCLE_1)
	s_add_u32 s2, s16, s2
	s_addc_u32 s3, s17, s3
	v_dual_mov_b32 v1, s2 :: v_dual_mov_b32 v2, s3
	flat_load_b64 v[8:9], v[1:2]
.LBB90_2:
	s_mov_b32 s2, exec_lo
	s_waitcnt vmcnt(0) lgkmcnt(0)
	v_cmpx_neq_f64_e32 0, v[8:9]
	s_cbranch_execz .LBB90_22
; %bb.3:
	s_load_b32 s3, s[0:1], 0x84
	s_cmp_eq_u32 s13, 0
	s_waitcnt lgkmcnt(0)
	v_cvt_f32_u32_e32 v1, s3
	s_delay_alu instid0(VALU_DEP_1) | instskip(SKIP_2) | instid1(VALU_DEP_1)
	v_rcp_iflag_f32_e32 v1, v1
	s_waitcnt_depctr 0xfff
	v_mul_f32_e32 v1, 0x4f7ffffe, v1
	v_cvt_u32_f32_e32 v1, v1
	s_delay_alu instid0(VALU_DEP_1)
	v_readfirstlane_b32 s2, v1
	s_cbranch_scc1 .LBB90_22
; %bb.4:
	s_load_b128 s[4:7], s[0:1], 0x48
	s_sub_i32 s8, 0, s3
	v_and_b32_e32 v67, 0x3ff, v0
	s_mul_i32 s8, s8, s2
	v_bfe_u32 v0, v0, 10, 10
	s_mul_hi_u32 s8, s2, s8
	s_delay_alu instid0(SALU_CYCLE_1) | instskip(NEXT) | instid1(VALU_DEP_1)
	s_add_i32 s2, s2, s8
	v_cmp_eq_u32_e32 vcc_lo, 0, v0
	s_waitcnt lgkmcnt(0)
	s_mul_i32 s7, s15, s7
	s_mul_hi_u32 s9, s15, s6
	s_mul_i32 s6, s15, s6
	s_add_i32 s7, s9, s7
	s_delay_alu instid0(SALU_CYCLE_1) | instskip(NEXT) | instid1(SALU_CYCLE_1)
	s_lshl_b64 s[6:7], s[6:7], 3
	s_add_u32 s8, s28, s6
	s_addc_u32 s9, s29, s7
	s_lshl_b64 s[6:7], s[30:31], 3
	s_delay_alu instid0(SALU_CYCLE_1)
	s_add_u32 s6, s8, s6
	s_addc_u32 s7, s9, s7
	s_lshl_b32 s10, s13, 5
	s_mul_hi_u32 s8, s13, s2
	s_ashr_i32 s11, s10, 31
	s_and_saveexec_b32 s9, vcc_lo
	s_cbranch_execz .LBB90_6
; %bb.5:
	v_mad_u64_u32 v[1:2], null, v67, s4, 0
	s_mul_i32 s2, s10, s5
	s_mul_hi_u32 s12, s10, s4
	s_mul_i32 s17, s11, s4
	s_add_i32 s2, s12, s2
	s_mul_i32 s16, s10, s4
	s_add_i32 s17, s2, s17
	s_delay_alu instid0(VALU_DEP_1) | instskip(SKIP_1) | instid1(SALU_CYCLE_1)
	v_mad_u64_u32 v[3:4], null, v67, s5, v[2:3]
	s_lshl_b64 s[16:17], s[16:17], 3
	s_add_u32 s2, s6, s16
	s_addc_u32 s12, s7, s17
	s_delay_alu instid0(VALU_DEP_1) | instskip(NEXT) | instid1(VALU_DEP_1)
	v_dual_mov_b32 v2, v3 :: v_dual_lshlrev_b32 v3, 3, v67
	v_lshlrev_b64 v[1:2], 3, v[1:2]
	s_delay_alu instid0(VALU_DEP_1) | instskip(NEXT) | instid1(VALU_DEP_1)
	v_add_co_u32 v1, s2, s2, v1
	v_add_co_ci_u32_e64 v2, s2, s12, v2, s2
	global_load_b64 v[1:2], v[1:2], off
	s_waitcnt vmcnt(0)
	ds_store_b64 v3, v[1:2] offset:6144
.LBB90_6:
	s_or_b32 exec_lo, exec_lo, s9
	s_mul_i32 s2, s8, s3
	s_add_i32 s9, s8, 1
	s_sub_i32 s2, s13, s2
	s_delay_alu instid0(SALU_CYCLE_1)
	s_sub_i32 s12, s2, s3
	s_cmp_ge_u32 s2, s3
	s_cselect_b32 s8, s9, s8
	s_cselect_b32 s2, s12, s2
	s_add_i32 s9, s8, 1
	s_cmp_ge_u32 s2, s3
	s_cselect_b32 s8, s9, s8
	s_add_i32 s2, s3, -1
	s_mov_b32 s16, s8
	s_cmp_lg_u32 s14, s2
	s_cbranch_scc1 .LBB90_8
; %bb.7:
	s_mul_i32 s2, s8, s3
	s_delay_alu instid0(SALU_CYCLE_1) | instskip(NEXT) | instid1(SALU_CYCLE_1)
	s_sub_i32 s2, s13, s2
	s_add_i32 s16, s2, s8
.LBB90_8:
	s_delay_alu instid0(SALU_CYCLE_1)
	s_cmp_eq_u32 s16, 0
	s_cbranch_scc1 .LBB90_22
; %bb.9:
	s_clause 0x2
	s_load_b64 s[12:13], s[0:1], 0x70
	s_load_b64 s[18:19], s[0:1], 0x58
	s_load_b128 s[0:3], s[0:1], 0x60
	v_dual_mov_b32 v17, 0 :: v_dual_and_b32 v10, 15, v67
	v_lshl_add_u32 v0, v0, 5, v67
	v_mov_b32_e32 v18, 0
	s_delay_alu instid0(VALU_DEP_3)
	v_mov_b32_e32 v15, v17
	s_waitcnt lgkmcnt(0)
	s_barrier
	v_lshrrev_b32_e32 v68, 4, v0
	v_mov_b32_e32 v16, v18
	v_dual_mov_b32 v22, v18 :: v_dual_mov_b32 v21, v17
	v_dual_mov_b32 v24, v18 :: v_dual_mov_b32 v23, v17
	buffer_gl0_inv
	s_mul_i32 s9, s15, s13
	s_mul_hi_u32 s13, s15, s12
	s_mul_i32 s12, s15, s12
	s_add_i32 s13, s13, s9
	s_delay_alu instid0(SALU_CYCLE_1) | instskip(NEXT) | instid1(SALU_CYCLE_1)
	s_lshl_b64 s[12:13], s[12:13], 3
	s_add_u32 s9, s18, s12
	s_addc_u32 s17, s19, s13
	s_lshl_b64 s[12:13], s[0:1], 3
	s_delay_alu instid0(SALU_CYCLE_1)
	s_add_u32 s1, s9, s12
	s_addc_u32 s12, s17, s13
	s_cmp_lt_i32 s16, 1
	s_cbranch_scc1 .LBB90_19
; %bb.10:
	s_mul_i32 s14, s14, s8
	v_dual_mov_b32 v11, 0 :: v_dual_lshlrev_b32 v4, 2, v68
	s_lshl_b32 s18, s14, 5
	s_mul_hi_u32 s13, s15, s26
	s_mul_i32 s0, s18, s3
	s_mul_hi_u32 s8, s18, s2
	s_ashr_i32 s19, s18, 31
	s_add_i32 s0, s8, s0
	s_mul_i32 s8, s19, s2
	v_mad_u64_u32 v[0:1], null, v4, s24, v[10:11]
	s_add_i32 s9, s0, s8
	s_mul_i32 s8, s18, s2
	s_mul_i32 s0, s15, s27
	s_lshl_b64 s[8:9], s[8:9], 3
	s_mul_i32 s26, s15, s26
	s_add_u32 s8, s1, s8
	s_addc_u32 s9, s12, s9
	s_add_i32 s27, s13, s0
	v_mad_u64_u32 v[2:3], null, v4, s25, v[1:2]
	s_lshl_b64 s[14:15], s[26:27], 3
	s_mul_hi_u32 s17, s10, s24
	s_add_u32 s0, s20, s14
	s_addc_u32 s13, s21, s15
	s_lshl_b64 s[14:15], s[22:23], 3
	v_mad_u64_u32 v[3:4], null, v10, s4, 0
	s_add_u32 s0, s0, s14
	s_mul_i32 s14, s10, s25
	s_addc_u32 s13, s13, s15
	s_add_i32 s14, s17, s14
	s_mul_i32 s15, s11, s24
	s_delay_alu instid0(VALU_DEP_1)
	v_dual_mov_b32 v1, v2 :: v_dual_mov_b32 v2, v4
	s_add_i32 s15, s14, s15
	s_mul_i32 s14, s10, s24
	s_mul_hi_u32 s20, s18, s4
	s_lshl_b64 s[14:15], s[14:15], 3
	v_lshlrev_b64 v[11:12], 3, v[0:1]
	s_add_u32 s0, s0, s14
	s_addc_u32 s17, s13, s15
	s_lshl_b64 s[14:15], s[18:19], 3
	v_mad_u64_u32 v[4:5], null, v10, s5, v[2:3]
	s_add_u32 s13, s0, s14
	s_mul_i32 s0, s18, s5
	s_addc_u32 s14, s17, s15
	s_add_i32 s0, s20, s0
	s_mul_i32 s15, s19, s4
	s_mul_i32 s18, s18, s4
	s_add_i32 s19, s0, s15
	v_add_co_u32 v0, s0, s13, v11
	s_lshl_b64 s[18:19], s[18:19], 3
	v_add_co_ci_u32_e64 v1, s0, s14, v12, s0
	s_add_u32 s15, s6, s18
	s_addc_u32 s17, s7, s19
	s_lshl_b64 s[6:7], s[24:25], 3
	v_lshlrev_b64 v[13:14], 3, v[3:4]
	v_add_co_u32 v5, s0, v0, s6
	s_delay_alu instid0(VALU_DEP_1) | instskip(SKIP_1) | instid1(VALU_DEP_3)
	v_add_co_ci_u32_e64 v6, s0, s7, v1, s0
	v_lshlrev_b32_e32 v7, 5, v68
	v_add_co_u32 v2, s0, v5, s6
	s_delay_alu instid0(VALU_DEP_1) | instskip(SKIP_1) | instid1(VALU_DEP_1)
	v_add_co_ci_u32_e64 v3, s0, s7, v6, s0
	v_add_co_u32 v15, s0, s15, v13
	v_add_co_ci_u32_e64 v16, s0, s17, v14, s0
	s_delay_alu instid0(VALU_DEP_4) | instskip(NEXT) | instid1(VALU_DEP_1)
	v_add_co_u32 v17, s0, v2, s6
	v_add_co_ci_u32_e64 v18, s0, s7, v3, s0
	global_load_b64 v[19:20], v[15:16], off
	s_clause 0x1
	global_load_b64 v[25:26], v[0:1], off
	global_load_b64 v[27:28], v[5:6], off
	;; [unrolled: 1-line block ×4, first 2 shown]
	v_or_b32_e32 v6, 16, v10
	v_mad_u64_u32 v[2:3], null, v67, s2, 0
	v_mov_b32_e32 v15, 0
	v_mov_b32_e32 v16, 0
	s_delay_alu instid0(VALU_DEP_4) | instskip(SKIP_1) | instid1(VALU_DEP_3)
	v_mad_u64_u32 v[0:1], null, v6, s4, 0
	v_dual_mov_b32 v34, s9 :: v_dual_mov_b32 v33, s8
	v_dual_mov_b32 v24, v16 :: v_dual_mov_b32 v23, v15
	;; [unrolled: 1-line block ×3, first 2 shown]
	v_mov_b32_e32 v18, v16
	v_mad_u64_u32 v[4:5], null, v6, s5, v[1:2]
	v_dual_mov_b32 v17, v15 :: v_dual_add_nc_u32 v70, 0x1800, v7
	v_lshl_add_u32 v71, v67, 3, 0x1000
	s_lshl_b64 s[4:5], s[4:5], 8
	s_add_i32 s18, s16, -1
	s_lshl_b64 s[8:9], s[2:3], 8
	s_delay_alu instid0(VALU_DEP_3) | instskip(SKIP_3) | instid1(VALU_DEP_2)
	v_mad_u64_u32 v[5:6], null, v67, s3, v[3:4]
	v_or_b32_e32 v3, v7, v10
	v_mov_b32_e32 v1, v4
	s_mov_b32 s19, 0
	v_lshl_add_u32 v69, v3, 3, 0x1000
	s_delay_alu instid0(VALU_DEP_4) | instskip(NEXT) | instid1(VALU_DEP_3)
	v_mov_b32_e32 v3, v5
	v_lshlrev_b64 v[35:36], 3, v[0:1]
	s_delay_alu instid0(VALU_DEP_2)
	v_lshlrev_b64 v[37:38], 3, v[2:3]
	s_waitcnt vmcnt(4)
	v_dual_mov_b32 v46, v20 :: v_dual_mov_b32 v45, v19
	s_waitcnt vmcnt(2)
	v_mov_b32_e32 v42, v28
	v_dual_mov_b32 v40, v26 :: v_dual_mov_b32 v39, v25
	s_waitcnt vmcnt(1)
	v_dual_mov_b32 v44, v30 :: v_dual_mov_b32 v41, v27
	s_waitcnt vmcnt(0)
	v_dual_mov_b32 v48, v32 :: v_dual_mov_b32 v43, v29
	v_mov_b32_e32 v47, v31
.LBB90_11:                              ; =>This Loop Header: Depth=1
                                        ;     Child Loop BB90_15 Depth 2
	v_add_co_u32 v59, s0, s13, v11
	s_delay_alu instid0(VALU_DEP_1) | instskip(NEXT) | instid1(VALU_DEP_2)
	v_add_co_ci_u32_e64 v60, s0, s14, v12, s0
	v_add_co_u32 v61, s0, v59, s6
	s_delay_alu instid0(VALU_DEP_1) | instskip(NEXT) | instid1(VALU_DEP_2)
	v_add_co_ci_u32_e64 v62, s0, s7, v60, s0
	v_add_co_u32 v63, s0, v61, s6
	s_delay_alu instid0(VALU_DEP_1) | instskip(SKIP_1) | instid1(VALU_DEP_1)
	v_add_co_ci_u32_e64 v64, s0, s7, v62, s0
	v_add_co_u32 v0, s0, s15, v35
	v_add_co_ci_u32_e64 v1, s0, s17, v36, s0
	s_delay_alu instid0(VALU_DEP_4) | instskip(NEXT) | instid1(VALU_DEP_1)
	v_add_co_u32 v65, s0, v63, s6
	v_add_co_ci_u32_e64 v66, s0, s7, v64, s0
	global_load_b64 v[49:50], v[0:1], off
	s_clause 0x3
	global_load_b64 v[51:52], v[59:60], off offset:128
	global_load_b64 v[53:54], v[61:62], off offset:128
	;; [unrolled: 1-line block ×4, first 2 shown]
	ds_load_b128 v[4:7], v70
	ds_load_b128 v[0:3], v70 offset:16
	s_add_u32 s15, s15, s4
	s_addc_u32 s17, s17, s5
	s_cmp_eq_u32 s19, s18
	s_cbranch_scc1 .LBB90_13
; %bb.12:                               ;   in Loop: Header=BB90_11 Depth=1
	v_add_co_u32 v45, s0, s15, v13
	s_delay_alu instid0(VALU_DEP_1)
	v_add_co_ci_u32_e64 v46, s0, s17, v14, s0
	s_clause 0x3
	global_load_b64 v[39:40], v[59:60], off offset:256
	global_load_b64 v[41:42], v[61:62], off offset:256
	;; [unrolled: 1-line block ×4, first 2 shown]
	global_load_b64 v[45:46], v[45:46], off
.LBB90_13:                              ;   in Loop: Header=BB90_11 Depth=1
	s_waitcnt lgkmcnt(1)
	v_fma_f64 v[59:60], v[25:26], v[4:5], 0
	s_waitcnt vmcnt(3)
	v_fma_f64 v[4:5], v[51:52], v[4:5], 0
	s_waitcnt vmcnt(0) lgkmcnt(0)
	s_barrier
	buffer_gl0_inv
	v_fma_f64 v[59:60], v[27:28], v[6:7], v[59:60]
	v_fma_f64 v[4:5], v[53:54], v[6:7], v[4:5]
	s_delay_alu instid0(VALU_DEP_2) | instskip(NEXT) | instid1(VALU_DEP_2)
	v_fma_f64 v[6:7], v[29:30], v[0:1], v[59:60]
	v_fma_f64 v[0:1], v[55:56], v[0:1], v[4:5]
	s_delay_alu instid0(VALU_DEP_2) | instskip(NEXT) | instid1(VALU_DEP_2)
	v_fma_f64 v[4:5], v[31:32], v[2:3], v[6:7]
	v_fma_f64 v[0:1], v[57:58], v[2:3], v[0:1]
	ds_store_2addr_b64 v69, v[4:5], v[0:1] offset1:16
	s_waitcnt lgkmcnt(0)
	s_barrier
	buffer_gl0_inv
	s_and_saveexec_b32 s20, vcc_lo
	s_cbranch_execz .LBB90_17
; %bb.14:                               ;   in Loop: Header=BB90_11 Depth=1
	ds_load_2addr_b64 v[4:7], v71 offset1:32
	ds_load_2addr_b64 v[59:62], v71 offset0:64 offset1:96
	s_mov_b32 s21, 0
	s_waitcnt lgkmcnt(1)
	v_add_f64 v[0:1], v[4:5], 0
	v_add_co_u32 v4, s0, v33, v37
	s_delay_alu instid0(VALU_DEP_1) | instskip(SKIP_3) | instid1(VALU_DEP_1)
	v_add_co_ci_u32_e64 v5, s0, v34, v38, s0
	global_load_b64 v[2:3], v[4:5], off
	v_add_f64 v[0:1], v[0:1], v[6:7]
	s_waitcnt lgkmcnt(0)
	v_add_f64 v[0:1], v[0:1], v[59:60]
	s_delay_alu instid0(VALU_DEP_1) | instskip(SKIP_3) | instid1(VALU_DEP_1)
	v_add_f64 v[0:1], v[0:1], v[61:62]
	ds_load_2addr_b64 v[59:62], v71 offset0:128 offset1:160
	s_waitcnt lgkmcnt(0)
	v_add_f64 v[0:1], v[0:1], v[59:60]
	v_add_f64 v[0:1], v[0:1], v[61:62]
	ds_load_2addr_b64 v[59:62], v71 offset0:192 offset1:224
	s_waitcnt lgkmcnt(0)
	v_add_f64 v[0:1], v[0:1], v[59:60]
	s_delay_alu instid0(VALU_DEP_1) | instskip(NEXT) | instid1(VALU_DEP_1)
	v_add_f64 v[0:1], v[0:1], v[61:62]
	v_mul_f64 v[6:7], v[8:9], v[0:1]
.LBB90_15:                              ;   Parent Loop BB90_11 Depth=1
                                        ; =>  This Inner Loop Header: Depth=2
	s_waitcnt vmcnt(0)
	s_delay_alu instid0(VALU_DEP_1) | instskip(SKIP_4) | instid1(VALU_DEP_2)
	v_add_f64 v[0:1], v[2:3], v[6:7]
	global_atomic_cmpswap_b64 v[0:1], v[4:5], v[0:3], off glc
	s_waitcnt vmcnt(0)
	v_cmp_eq_u64_e64 s0, v[0:1], v[2:3]
	v_dual_mov_b32 v3, v1 :: v_dual_mov_b32 v2, v0
	s_or_b32 s21, s0, s21
	s_delay_alu instid0(SALU_CYCLE_1)
	s_and_not1_b32 exec_lo, exec_lo, s21
	s_cbranch_execnz .LBB90_15
; %bb.16:                               ;   in Loop: Header=BB90_11 Depth=1
	s_or_b32 exec_lo, exec_lo, s21
	v_add_co_u32 v33, s0, v33, s8
	s_delay_alu instid0(VALU_DEP_1)
	v_add_co_ci_u32_e64 v34, s0, s9, v34, s0
.LBB90_17:                              ;   in Loop: Header=BB90_11 Depth=1
	s_or_b32 exec_lo, exec_lo, s20
	v_fma_f64 v[0:1], v[19:20], v[25:26], v[15:16]
	v_fma_f64 v[2:3], v[19:20], v[27:28], v[23:24]
	;; [unrolled: 1-line block ×4, first 2 shown]
	s_add_u32 s13, s13, 0x100
	s_addc_u32 s14, s14, 0
	s_add_i32 s19, s19, 1
	s_delay_alu instid0(SALU_CYCLE_1) | instskip(NEXT) | instid1(VALU_DEP_4)
	s_cmp_eq_u32 s19, s16
	v_fma_f64 v[15:16], v[49:50], v[51:52], v[0:1]
	s_delay_alu instid0(VALU_DEP_4) | instskip(NEXT) | instid1(VALU_DEP_4)
	v_fma_f64 v[23:24], v[49:50], v[53:54], v[2:3]
	v_fma_f64 v[21:22], v[49:50], v[55:56], v[4:5]
	s_delay_alu instid0(VALU_DEP_4)
	v_fma_f64 v[17:18], v[49:50], v[57:58], v[6:7]
	s_cbranch_scc1 .LBB90_19
; %bb.18:                               ;   in Loop: Header=BB90_11 Depth=1
	v_dual_mov_b32 v19, v45 :: v_dual_mov_b32 v20, v46
	v_dual_mov_b32 v25, v39 :: v_dual_mov_b32 v26, v40
	;; [unrolled: 1-line block ×5, first 2 shown]
	s_branch .LBB90_11
.LBB90_19:
	v_lshlrev_b32_e32 v0, 3, v10
	s_delay_alu instid0(VALU_DEP_1)
	v_lshl_or_b32 v0, v68, 9, v0
	ds_store_2addr_b64 v0, v[15:16], v[23:24] offset1:16
	ds_store_2addr_b64 v0, v[21:22], v[17:18] offset0:32 offset1:48
	s_waitcnt lgkmcnt(0)
	s_barrier
	buffer_gl0_inv
	s_and_b32 exec_lo, exec_lo, vcc_lo
	s_cbranch_execz .LBB90_22
; %bb.20:
	v_lshlrev_b32_e32 v16, 4, v67
	v_add_nc_u32_e32 v2, 1, v67
	v_add_nc_u32_e32 v3, 2, v67
	;; [unrolled: 1-line block ×3, first 2 shown]
	s_mul_i32 s0, s10, s3
	v_or_b32_e32 v12, v10, v16
	v_and_or_b32 v2, v2, 15, v16
	v_and_or_b32 v3, v3, 15, v16
	v_and_or_b32 v4, v4, 15, v16
	s_mul_i32 s11, s11, s2
	v_lshlrev_b32_e32 v0, 3, v12
	v_lshlrev_b32_e32 v2, 3, v2
	;; [unrolled: 1-line block ×4, first 2 shown]
	ds_load_b64 v[0:1], v0
	ds_load_b64 v[2:3], v2
	;; [unrolled: 1-line block ×4, first 2 shown]
	s_waitcnt lgkmcnt(3)
	v_add_f64 v[0:1], v[0:1], 0
	s_waitcnt lgkmcnt(2)
	s_delay_alu instid0(VALU_DEP_1) | instskip(SKIP_1) | instid1(VALU_DEP_1)
	v_add_f64 v[0:1], v[0:1], v[2:3]
	v_add_nc_u32_e32 v2, 4, v67
	v_and_or_b32 v2, v2, 15, v16
	s_delay_alu instid0(VALU_DEP_1)
	v_lshlrev_b32_e32 v2, 3, v2
	ds_load_b64 v[2:3], v2
	s_waitcnt lgkmcnt(2)
	v_add_f64 v[0:1], v[0:1], v[4:5]
	v_add_nc_u32_e32 v4, 5, v67
	v_add_nc_u32_e32 v5, 6, v67
	s_delay_alu instid0(VALU_DEP_2) | instskip(NEXT) | instid1(VALU_DEP_2)
	v_and_or_b32 v4, v4, 15, v16
	v_and_or_b32 v5, v5, 15, v16
	s_delay_alu instid0(VALU_DEP_2) | instskip(SKIP_4) | instid1(VALU_DEP_2)
	v_lshlrev_b32_e32 v4, 3, v4
	s_waitcnt lgkmcnt(1)
	v_add_f64 v[0:1], v[0:1], v[6:7]
	v_add_nc_u32_e32 v6, 7, v67
	v_lshlrev_b32_e32 v7, 3, v5
	v_and_or_b32 v6, v6, 15, v16
	s_delay_alu instid0(VALU_DEP_1)
	v_lshlrev_b32_e32 v10, 3, v6
	ds_load_b64 v[4:5], v4
	ds_load_b64 v[6:7], v7
	;; [unrolled: 1-line block ×3, first 2 shown]
	s_waitcnt lgkmcnt(3)
	v_add_f64 v[0:1], v[0:1], v[2:3]
	v_xor_b32_e32 v2, 8, v12
	s_delay_alu instid0(VALU_DEP_1)
	v_lshlrev_b32_e32 v2, 3, v2
	ds_load_b64 v[2:3], v2
	s_waitcnt lgkmcnt(3)
	v_add_f64 v[0:1], v[0:1], v[4:5]
	v_mad_u64_u32 v[4:5], null, v67, s2, 0
	s_waitcnt lgkmcnt(2)
	s_delay_alu instid0(VALU_DEP_2) | instskip(SKIP_2) | instid1(VALU_DEP_2)
	v_add_f64 v[0:1], v[0:1], v[6:7]
	v_add_nc_u32_e32 v6, 9, v67
	v_add_nc_u32_e32 v7, 10, v67
	v_and_or_b32 v6, v6, 15, v16
	s_delay_alu instid0(VALU_DEP_2) | instskip(NEXT) | instid1(VALU_DEP_1)
	v_and_or_b32 v7, v7, 15, v16
	v_lshlrev_b32_e32 v12, 3, v7
	s_waitcnt lgkmcnt(1)
	v_add_f64 v[0:1], v[0:1], v[10:11]
	v_lshlrev_b32_e32 v11, 3, v6
	v_mad_u64_u32 v[6:7], null, v67, s3, v[5:6]
	s_mul_hi_u32 s3, s10, s2
	v_add_nc_u32_e32 v10, 11, v67
	s_add_i32 s0, s3, s0
	s_mul_i32 s2, s10, s2
	s_add_i32 s3, s0, s11
	s_delay_alu instid0(VALU_DEP_2)
	v_mov_b32_e32 v5, v6
	s_lshl_b64 s[2:3], s[2:3], 3
	v_and_or_b32 v10, v10, 15, v16
	s_add_u32 s0, s1, s2
	s_addc_u32 s1, s12, s3
	v_add_nc_u32_e32 v6, 12, v67
	s_delay_alu instid0(VALU_DEP_2) | instskip(SKIP_4) | instid1(VALU_DEP_1)
	v_lshlrev_b32_e32 v14, 3, v10
	ds_load_b64 v[10:11], v11
	ds_load_b64 v[12:13], v12
	;; [unrolled: 1-line block ×3, first 2 shown]
	v_and_or_b32 v6, v6, 15, v16
	v_lshlrev_b32_e32 v6, 3, v6
	ds_load_b64 v[6:7], v6
	s_waitcnt lgkmcnt(4)
	v_add_f64 v[0:1], v[0:1], v[2:3]
	v_lshlrev_b64 v[2:3], 3, v[4:5]
	s_delay_alu instid0(VALU_DEP_1) | instskip(NEXT) | instid1(VALU_DEP_2)
	v_add_co_u32 v4, vcc_lo, s0, v2
	v_add_co_ci_u32_e32 v5, vcc_lo, s1, v3, vcc_lo
	s_mov_b32 s0, 0
	global_load_b64 v[2:3], v[4:5], off
	s_waitcnt lgkmcnt(3)
	v_add_f64 v[0:1], v[0:1], v[10:11]
	v_add_nc_u32_e32 v10, 13, v67
	v_add_nc_u32_e32 v11, 14, v67
	s_delay_alu instid0(VALU_DEP_2) | instskip(NEXT) | instid1(VALU_DEP_2)
	v_and_or_b32 v10, v10, 15, v16
	v_and_or_b32 v11, v11, 15, v16
	s_delay_alu instid0(VALU_DEP_2) | instskip(SKIP_4) | instid1(VALU_DEP_2)
	v_lshlrev_b32_e32 v10, 3, v10
	s_waitcnt lgkmcnt(2)
	v_add_f64 v[0:1], v[0:1], v[12:13]
	v_add_nc_u32_e32 v12, -1, v67
	v_lshlrev_b32_e32 v13, 3, v11
	v_and_or_b32 v12, v12, 15, v16
	s_waitcnt lgkmcnt(1)
	s_delay_alu instid0(VALU_DEP_4) | instskip(NEXT) | instid1(VALU_DEP_2)
	v_add_f64 v[0:1], v[0:1], v[14:15]
	v_lshlrev_b32_e32 v14, 3, v12
	ds_load_b64 v[10:11], v10
	ds_load_b64 v[12:13], v13
	;; [unrolled: 1-line block ×3, first 2 shown]
	s_waitcnt lgkmcnt(3)
	v_add_f64 v[0:1], v[0:1], v[6:7]
	s_waitcnt lgkmcnt(2)
	s_delay_alu instid0(VALU_DEP_1) | instskip(SKIP_1) | instid1(VALU_DEP_1)
	v_add_f64 v[0:1], v[0:1], v[10:11]
	s_waitcnt lgkmcnt(1)
	v_add_f64 v[0:1], v[0:1], v[12:13]
	s_waitcnt lgkmcnt(0)
	s_delay_alu instid0(VALU_DEP_1) | instskip(NEXT) | instid1(VALU_DEP_1)
	v_add_f64 v[0:1], v[0:1], v[14:15]
	v_mul_f64 v[6:7], v[8:9], v[0:1]
.LBB90_21:                              ; =>This Inner Loop Header: Depth=1
	s_waitcnt vmcnt(0)
	s_delay_alu instid0(VALU_DEP_1)
	v_add_f64 v[0:1], v[2:3], v[6:7]
	global_atomic_cmpswap_b64 v[0:1], v[4:5], v[0:3], off glc
	s_waitcnt vmcnt(0)
	v_cmp_eq_u64_e32 vcc_lo, v[0:1], v[2:3]
	v_dual_mov_b32 v3, v1 :: v_dual_mov_b32 v2, v0
	s_or_b32 s0, vcc_lo, s0
	s_delay_alu instid0(SALU_CYCLE_1)
	s_and_not1_b32 exec_lo, exec_lo, s0
	s_cbranch_execnz .LBB90_21
.LBB90_22:
	s_endpgm
	.section	.rodata,"a",@progbits
	.p2align	6, 0x0
	.amdhsa_kernel _ZL54rocblas_symv_kernel_upper_double_buffered_non_diagonalILi32ELi4ELi4E24rocblas_internal_val_ptrIdEPKdPdEvbiT2_lT3_lllS6_lllT4_llli
		.amdhsa_group_segment_fixed_size 6400
		.amdhsa_private_segment_fixed_size 0
		.amdhsa_kernarg_size 384
		.amdhsa_user_sgpr_count 13
		.amdhsa_user_sgpr_dispatch_ptr 0
		.amdhsa_user_sgpr_queue_ptr 0
		.amdhsa_user_sgpr_kernarg_segment_ptr 1
		.amdhsa_user_sgpr_dispatch_id 0
		.amdhsa_user_sgpr_private_segment_size 0
		.amdhsa_wavefront_size32 1
		.amdhsa_uses_dynamic_stack 0
		.amdhsa_enable_private_segment 0
		.amdhsa_system_sgpr_workgroup_id_x 1
		.amdhsa_system_sgpr_workgroup_id_y 1
		.amdhsa_system_sgpr_workgroup_id_z 1
		.amdhsa_system_sgpr_workgroup_info 0
		.amdhsa_system_vgpr_workitem_id 1
		.amdhsa_next_free_vgpr 72
		.amdhsa_next_free_sgpr 32
		.amdhsa_reserve_vcc 1
		.amdhsa_float_round_mode_32 0
		.amdhsa_float_round_mode_16_64 0
		.amdhsa_float_denorm_mode_32 3
		.amdhsa_float_denorm_mode_16_64 3
		.amdhsa_dx10_clamp 1
		.amdhsa_ieee_mode 1
		.amdhsa_fp16_overflow 0
		.amdhsa_workgroup_processor_mode 1
		.amdhsa_memory_ordered 1
		.amdhsa_forward_progress 0
		.amdhsa_shared_vgpr_count 0
		.amdhsa_exception_fp_ieee_invalid_op 0
		.amdhsa_exception_fp_denorm_src 0
		.amdhsa_exception_fp_ieee_div_zero 0
		.amdhsa_exception_fp_ieee_overflow 0
		.amdhsa_exception_fp_ieee_underflow 0
		.amdhsa_exception_fp_ieee_inexact 0
		.amdhsa_exception_int_div_zero 0
	.end_amdhsa_kernel
	.section	.text._ZL54rocblas_symv_kernel_upper_double_buffered_non_diagonalILi32ELi4ELi4E24rocblas_internal_val_ptrIdEPKdPdEvbiT2_lT3_lllS6_lllT4_llli,"axG",@progbits,_ZL54rocblas_symv_kernel_upper_double_buffered_non_diagonalILi32ELi4ELi4E24rocblas_internal_val_ptrIdEPKdPdEvbiT2_lT3_lllS6_lllT4_llli,comdat
.Lfunc_end90:
	.size	_ZL54rocblas_symv_kernel_upper_double_buffered_non_diagonalILi32ELi4ELi4E24rocblas_internal_val_ptrIdEPKdPdEvbiT2_lT3_lllS6_lllT4_llli, .Lfunc_end90-_ZL54rocblas_symv_kernel_upper_double_buffered_non_diagonalILi32ELi4ELi4E24rocblas_internal_val_ptrIdEPKdPdEvbiT2_lT3_lllS6_lllT4_llli
                                        ; -- End function
	.section	.AMDGPU.csdata,"",@progbits
; Kernel info:
; codeLenInByte = 2860
; NumSgprs: 34
; NumVgprs: 72
; ScratchSize: 0
; MemoryBound: 0
; FloatMode: 240
; IeeeMode: 1
; LDSByteSize: 6400 bytes/workgroup (compile time only)
; SGPRBlocks: 4
; VGPRBlocks: 8
; NumSGPRsForWavesPerEU: 34
; NumVGPRsForWavesPerEU: 72
; Occupancy: 16
; WaveLimiterHint : 0
; COMPUTE_PGM_RSRC2:SCRATCH_EN: 0
; COMPUTE_PGM_RSRC2:USER_SGPR: 13
; COMPUTE_PGM_RSRC2:TRAP_HANDLER: 0
; COMPUTE_PGM_RSRC2:TGID_X_EN: 1
; COMPUTE_PGM_RSRC2:TGID_Y_EN: 1
; COMPUTE_PGM_RSRC2:TGID_Z_EN: 1
; COMPUTE_PGM_RSRC2:TIDIG_COMP_CNT: 1
	.section	.text._ZL58rocblas_symv_kernel_upper_double_buffered_diagonal_genericILi32ELi8E24rocblas_internal_val_ptrIdEPKdPdEvbiT1_lT2_lllS6_lllS5_lT3_lllii,"axG",@progbits,_ZL58rocblas_symv_kernel_upper_double_buffered_diagonal_genericILi32ELi8E24rocblas_internal_val_ptrIdEPKdPdEvbiT1_lT2_lllS6_lllS5_lT3_lllii,comdat
	.globl	_ZL58rocblas_symv_kernel_upper_double_buffered_diagonal_genericILi32ELi8E24rocblas_internal_val_ptrIdEPKdPdEvbiT1_lT2_lllS6_lllS5_lT3_lllii ; -- Begin function _ZL58rocblas_symv_kernel_upper_double_buffered_diagonal_genericILi32ELi8E24rocblas_internal_val_ptrIdEPKdPdEvbiT1_lT2_lllS6_lllS5_lT3_lllii
	.p2align	8
	.type	_ZL58rocblas_symv_kernel_upper_double_buffered_diagonal_genericILi32ELi8E24rocblas_internal_val_ptrIdEPKdPdEvbiT1_lT2_lllS6_lllS5_lT3_lllii,@function
_ZL58rocblas_symv_kernel_upper_double_buffered_diagonal_genericILi32ELi8E24rocblas_internal_val_ptrIdEPKdPdEvbiT1_lT2_lllS6_lllS5_lT3_lllii: ; @_ZL58rocblas_symv_kernel_upper_double_buffered_diagonal_genericILi32ELi8E24rocblas_internal_val_ptrIdEPKdPdEvbiT1_lT2_lllS6_lllS5_lT3_lllii
; %bb.0:
	s_clause 0x2
	s_load_b32 s2, s[0:1], 0x0
	s_load_b512 s[16:31], s[0:1], 0x8
	s_load_b256 s[4:11], s[0:1], 0x48
	s_waitcnt lgkmcnt(0)
	s_bitcmp1_b32 s2, 0
	v_dual_mov_b32 v3, s16 :: v_dual_mov_b32 v4, s17
	s_cselect_b32 s2, -1, 0
	s_delay_alu instid0(SALU_CYCLE_1)
	s_and_b32 vcc_lo, exec_lo, s2
	s_xor_b32 s2, s2, -1
	s_cbranch_vccnz .LBB91_2
; %bb.1:
	s_mul_i32 s3, s15, s19
	s_mul_hi_u32 s12, s15, s18
	s_delay_alu instid0(SALU_CYCLE_1) | instskip(SKIP_1) | instid1(SALU_CYCLE_1)
	s_add_i32 s13, s12, s3
	s_mul_i32 s12, s15, s18
	s_lshl_b64 s[12:13], s[12:13], 3
	s_delay_alu instid0(SALU_CYCLE_1) | instskip(SKIP_1) | instid1(SALU_CYCLE_1)
	s_add_u32 s12, s16, s12
	s_addc_u32 s13, s17, s13
	v_dual_mov_b32 v1, s12 :: v_dual_mov_b32 v2, s13
	flat_load_b64 v[3:4], v[1:2]
.LBB91_2:
	v_dual_mov_b32 v1, s8 :: v_dual_mov_b32 v2, s9
	s_and_not1_b32 vcc_lo, exec_lo, s2
	s_cbranch_vccnz .LBB91_4
; %bb.3:
	s_mul_i32 s2, s15, s11
	s_mul_hi_u32 s3, s15, s10
	s_delay_alu instid0(SALU_CYCLE_1) | instskip(SKIP_1) | instid1(SALU_CYCLE_1)
	s_add_i32 s3, s3, s2
	s_mul_i32 s2, s15, s10
	s_lshl_b64 s[2:3], s[2:3], 3
	s_delay_alu instid0(SALU_CYCLE_1) | instskip(SKIP_1) | instid1(SALU_CYCLE_1)
	s_add_u32 s2, s8, s2
	s_addc_u32 s3, s9, s3
	v_dual_mov_b32 v1, s2 :: v_dual_mov_b32 v2, s3
	flat_load_b64 v[1:2], v[1:2]
.LBB91_4:
	s_waitcnt vmcnt(0) lgkmcnt(0)
	v_cmp_neq_f64_e32 vcc_lo, 0, v[3:4]
	v_cmp_neq_f64_e64 s2, 1.0, v[1:2]
	s_delay_alu instid0(VALU_DEP_1) | instskip(NEXT) | instid1(SALU_CYCLE_1)
	s_or_b32 s2, vcc_lo, s2
	s_and_saveexec_b32 s3, s2
	s_cbranch_execz .LBB91_51
; %bb.5:
	s_clause 0x2
	s_load_b64 s[2:3], s[0:1], 0x80
	s_load_b64 s[12:13], s[0:1], 0x68
	s_load_b128 s[8:11], s[0:1], 0x70
	v_cmp_eq_f64_e32 vcc_lo, 0, v[3:4]
	s_load_b32 s16, s[0:1], 0x88
	v_and_b32_e32 v15, 0x3ff, v0
	v_bfe_u32 v0, v0, 10, 10
	s_waitcnt lgkmcnt(0)
	s_mul_i32 s3, s15, s3
	s_mul_hi_u32 s17, s15, s2
	s_mul_i32 s2, s15, s2
	s_add_i32 s3, s17, s3
	s_delay_alu instid0(SALU_CYCLE_1) | instskip(NEXT) | instid1(SALU_CYCLE_1)
	s_lshl_b64 s[2:3], s[2:3], 3
	s_add_u32 s12, s12, s2
	s_addc_u32 s13, s13, s3
	s_lshl_b64 s[2:3], s[8:9], 3
	s_delay_alu instid0(SALU_CYCLE_1) | instskip(SKIP_2) | instid1(SALU_CYCLE_1)
	s_add_u32 s8, s12, s2
	s_addc_u32 s9, s13, s3
	s_lshl_b32 s18, s14, 5
	s_mul_i32 s2, s18, s11
	s_mul_hi_u32 s3, s18, s10
	s_ashr_i32 s19, s18, 31
	s_add_i32 s2, s3, s2
	s_mul_i32 s3, s19, s10
	s_delay_alu instid0(SALU_CYCLE_1) | instskip(SKIP_1) | instid1(SALU_CYCLE_1)
	s_add_i32 s3, s2, s3
	s_mul_i32 s2, s18, s10
	s_lshl_b64 s[2:3], s[2:3], 3
	s_delay_alu instid0(SALU_CYCLE_1) | instskip(SKIP_2) | instid1(SALU_CYCLE_1)
	s_add_u32 s12, s8, s2
	s_addc_u32 s13, s9, s3
	s_and_saveexec_b32 s2, vcc_lo
	s_xor_b32 s2, exec_lo, s2
	s_cbranch_execz .LBB91_12
; %bb.6:
	s_mov_b32 s3, exec_lo
	v_cmpx_eq_u32_e32 0, v0
	s_cbranch_execz .LBB91_11
; %bb.7:
	v_cmp_gt_i32_e64 s8, s16, v15
	s_mov_b32 s9, exec_lo
	v_cmpx_le_i32_e64 s16, v15
	s_cbranch_execz .LBB91_9
; %bb.8:
	s_load_b32 s17, s[0:1], 0x90
	s_waitcnt lgkmcnt(0)
	s_add_i32 s17, s17, -1
	s_delay_alu instid0(SALU_CYCLE_1) | instskip(SKIP_3) | instid1(SALU_CYCLE_1)
	s_cmp_lt_u32 s14, s17
	s_cselect_b32 s17, -1, 0
	s_and_not1_b32 s8, s8, exec_lo
	s_and_b32 s17, s17, exec_lo
	s_or_b32 s8, s8, s17
.LBB91_9:
	s_or_b32 exec_lo, exec_lo, s9
	s_delay_alu instid0(SALU_CYCLE_1)
	s_and_b32 exec_lo, exec_lo, s8
	s_cbranch_execz .LBB91_11
; %bb.10:
	v_mad_u64_u32 v[3:4], null, v15, s10, 0
	s_delay_alu instid0(VALU_DEP_1) | instskip(NEXT) | instid1(VALU_DEP_1)
	v_mov_b32_e32 v0, v4
	v_mad_u64_u32 v[4:5], null, v15, s11, v[0:1]
	s_delay_alu instid0(VALU_DEP_1) | instskip(NEXT) | instid1(VALU_DEP_1)
	v_lshlrev_b64 v[3:4], 3, v[3:4]
	v_add_co_u32 v3, vcc_lo, s12, v3
	s_delay_alu instid0(VALU_DEP_2)
	v_add_co_ci_u32_e32 v4, vcc_lo, s13, v4, vcc_lo
	global_load_b64 v[5:6], v[3:4], off
	s_waitcnt vmcnt(0)
	v_mul_f64 v[0:1], v[1:2], v[5:6]
	global_store_b64 v[3:4], v[0:1], off
.LBB91_11:
	s_or_b32 exec_lo, exec_lo, s3
                                        ; implicit-def: $vgpr0
                                        ; implicit-def: $vgpr15
                                        ; implicit-def: $vgpr1_vgpr2
                                        ; implicit-def: $vgpr3_vgpr4
.LBB91_12:
	s_and_not1_saveexec_b32 s2, s2
	s_cbranch_execz .LBB91_51
; %bb.13:
	v_mov_b32_e32 v5, 0
	v_cmp_ne_u32_e64 s3, 0, v0
	v_mov_b32_e32 v6, 0
	v_cmp_eq_u32_e64 s2, 0, v0
	s_mov_b32 s17, 0
	s_delay_alu instid0(VALU_DEP_1)
	s_and_saveexec_b32 s33, s2
	s_cbranch_execz .LBB91_21
; %bb.14:
	v_cmp_gt_i32_e64 s34, s16, v15
	s_mov_b32 s35, exec_lo
                                        ; implicit-def: $sgpr8_sgpr9
	v_cmpx_le_i32_e64 s16, v15
	s_cbranch_execz .LBB91_16
; %bb.15:
	s_load_b32 s8, s[0:1], 0x90
	s_waitcnt lgkmcnt(0)
	s_add_i32 s8, s8, -1
	s_delay_alu instid0(SALU_CYCLE_1)
	s_cmp_lt_u32 s14, s8
	s_cselect_b32 s8, -1, 0
	s_and_not1_b32 s34, s34, exec_lo
	s_and_b32 s36, s8, exec_lo
	s_mov_b64 s[8:9], 0
	s_or_b32 s34, s34, s36
.LBB91_16:
	s_or_b32 exec_lo, exec_lo, s35
	v_dual_mov_b32 v5, s8 :: v_dual_mov_b32 v6, s9
	s_and_saveexec_b32 s8, s34
	s_cbranch_execz .LBB91_20
; %bb.17:
	v_mad_u64_u32 v[5:6], null, v15, s4, 0
	s_mul_i32 s7, s15, s7
	s_mul_hi_u32 s9, s15, s6
	s_mul_i32 s6, s15, s6
	s_add_i32 s7, s9, s7
	s_mul_i32 s34, s18, s5
	s_lshl_b64 s[6:7], s[6:7], 3
	s_delay_alu instid0(VALU_DEP_1)
	v_mad_u64_u32 v[7:8], null, v15, s5, v[6:7]
	s_add_u32 s9, s28, s6
	s_addc_u32 s28, s29, s7
	s_lshl_b64 s[6:7], s[30:31], 3
	s_mul_hi_u32 s5, s18, s4
	s_add_u32 s6, s9, s6
	s_mul_i32 s29, s19, s4
	s_delay_alu instid0(VALU_DEP_1)
	v_dual_mov_b32 v6, v7 :: v_dual_lshlrev_b32 v9, 3, v15
	s_addc_u32 s7, s28, s7
	s_add_i32 s5, s5, s34
	s_mul_i32 s4, s18, s4
	s_add_i32 s5, s5, s29
	v_lshlrev_b64 v[5:6], 3, v[5:6]
	s_lshl_b64 s[4:5], s[4:5], 3
	s_delay_alu instid0(SALU_CYCLE_1) | instskip(SKIP_1) | instid1(VALU_DEP_1)
	s_add_u32 s4, s6, s4
	s_addc_u32 s5, s7, s5
	v_add_co_u32 v5, vcc_lo, s4, v5
	s_delay_alu instid0(VALU_DEP_2)
	v_add_co_ci_u32_e32 v6, vcc_lo, s5, v6, vcc_lo
	s_mov_b32 s4, exec_lo
	global_load_b64 v[7:8], v[5:6], off
	v_mov_b32_e32 v5, 0
	v_mov_b32_e32 v6, 0
	s_waitcnt vmcnt(0)
	ds_store_b64 v9, v[7:8] offset:12288
	v_cmpx_neq_f64_e32 0, v[1:2]
	s_cbranch_execz .LBB91_19
; %bb.18:
	v_mad_u64_u32 v[5:6], null, v15, s10, 0
	s_delay_alu instid0(VALU_DEP_1) | instskip(NEXT) | instid1(VALU_DEP_1)
	v_mad_u64_u32 v[7:8], null, v15, s11, v[6:7]
	v_mov_b32_e32 v6, v7
	s_delay_alu instid0(VALU_DEP_1) | instskip(NEXT) | instid1(VALU_DEP_1)
	v_lshlrev_b64 v[5:6], 3, v[5:6]
	v_add_co_u32 v5, vcc_lo, s12, v5
	s_delay_alu instid0(VALU_DEP_2)
	v_add_co_ci_u32_e32 v6, vcc_lo, s13, v6, vcc_lo
	global_load_b64 v[5:6], v[5:6], off
	s_waitcnt vmcnt(0)
	v_mul_f64 v[5:6], v[1:2], v[5:6]
.LBB91_19:
	s_or_b32 exec_lo, exec_lo, s4
.LBB91_20:
	s_delay_alu instid0(SALU_CYCLE_1)
	s_or_b32 exec_lo, exec_lo, s8
.LBB91_21:
	s_delay_alu instid0(SALU_CYCLE_1)
	s_or_b32 exec_lo, exec_lo, s33
	v_mad_u64_u32 v[7:8], null, v0, s24, 0
	s_mul_i32 s5, s15, s27
	s_mul_hi_u32 s6, s15, s26
	s_mul_i32 s4, s15, s26
	s_add_i32 s5, s6, s5
	s_load_b32 s15, s[0:1], 0x90
	s_lshl_b64 s[6:7], s[4:5], 3
	s_delay_alu instid0(VALU_DEP_1)
	v_mad_u64_u32 v[9:10], null, v0, s25, v[8:9]
	s_add_u32 s8, s20, s6
	s_addc_u32 s9, s21, s7
	s_lshl_b64 s[4:5], s[22:23], 3
	v_lshl_add_u32 v19, v0, 5, v15
	s_add_u32 s8, s8, s4
	s_addc_u32 s9, s9, s5
	s_add_u32 s0, s24, 1
	s_delay_alu instid0(VALU_DEP_1)
	v_dual_mov_b32 v8, v9 :: v_dual_lshlrev_b32 v17, 3, v19
	s_addc_u32 s1, s25, 0
	s_mul_i32 s19, s0, s19
	s_mul_hi_u32 s22, s0, s18
	s_mul_i32 s1, s1, s18
	s_add_i32 s19, s22, s19
	s_mul_i32 s0, s0, s18
	s_add_i32 s1, s19, s1
	v_lshlrev_b64 v[7:8], 3, v[7:8]
	s_lshl_b64 s[0:1], s[0:1], 3
	v_lshlrev_b32_e32 v16, 3, v15
	s_add_u32 s8, s8, s0
	s_addc_u32 s9, s9, s1
	v_add_nc_u32_e32 v18, 16, v0
	v_add_co_u32 v20, vcc_lo, s8, v7
	v_add_co_ci_u32_e32 v21, vcc_lo, s9, v8, vcc_lo
	s_waitcnt lgkmcnt(0)
	s_add_i32 s15, s15, -1
	s_delay_alu instid0(VALU_DEP_2) | instskip(NEXT) | instid1(VALU_DEP_2)
	v_add_co_u32 v7, vcc_lo, v20, v16
	v_add_co_ci_u32_e32 v8, vcc_lo, 0, v21, vcc_lo
	s_cmp_eq_u32 s14, s15
	s_mov_b32 s8, -1
	s_cbranch_scc1 .LBB91_24
; %bb.22:
	s_lshl_b64 s[8:9], s[24:25], 6
	s_mov_b32 s17, -1
	v_add_co_u32 v9, vcc_lo, v7, s8
	v_add_co_ci_u32_e32 v10, vcc_lo, s9, v8, vcc_lo
	s_delay_alu instid0(VALU_DEP_2) | instskip(NEXT) | instid1(VALU_DEP_2)
	v_add_co_u32 v11, vcc_lo, v9, s8
	v_add_co_ci_u32_e32 v12, vcc_lo, s9, v10, vcc_lo
	s_clause 0x1
	global_load_b64 v[13:14], v[7:8], off
	global_load_b64 v[22:23], v[9:10], off
	;; [unrolled: 1-line block ×3, first 2 shown]
	v_mad_u64_u32 v[9:10], null, 0xc0, s24, v[7:8]
	v_add_nc_u32_e32 v12, 16, v0
	s_delay_alu instid0(VALU_DEP_2) | instskip(NEXT) | instid1(VALU_DEP_2)
	v_mad_u64_u32 v[26:27], null, 0xc0, s25, v[10:11]
	v_lshlrev_b32_e32 v10, 5, v12
	v_lshlrev_b32_e32 v27, 3, v19
	v_add_nc_u32_e32 v11, 0x300, v19
	s_delay_alu instid0(VALU_DEP_3)
	v_add_lshl_u32 v28, v10, v15, 3
	v_mov_b32_e32 v10, v26
	s_waitcnt vmcnt(1)
	ds_store_2addr_stride64_b64 v27, v[13:14], v[22:23] offset1:4
	s_waitcnt vmcnt(0)
	ds_store_b64 v28, v[24:25]
	s_cbranch_execz .LBB91_25
.LBB91_23:
                                        ; implicit-def: $vgpr18
	s_and_saveexec_b32 s0, s17
	s_cbranch_execnz .LBB91_39
	s_branch .LBB91_40
.LBB91_24:
                                        ; implicit-def: $vgpr12
                                        ; implicit-def: $vgpr9_vgpr10
                                        ; implicit-def: $vgpr11
	s_and_not1_b32 vcc_lo, exec_lo, s8
	s_cbranch_vccnz .LBB91_23
.LBB91_25:
	s_mov_b32 s8, 0
	v_cmp_gt_i32_e32 vcc_lo, s16, v15
	s_mov_b32 s9, s8
	s_delay_alu instid0(SALU_CYCLE_1) | instskip(SKIP_2) | instid1(VALU_DEP_2)
	v_dual_mov_b32 v10, s9 :: v_dual_lshlrev_b32 v11, 5, v18
	v_mov_b32_e32 v9, s8
	s_or_b32 s3, s3, vcc_lo
	v_add_lshl_u32 v11, v11, v15, 3
	s_xor_b32 s8, s3, -1
	ds_store_2addr_stride64_b64 v17, v[9:10], v[9:10] offset1:4
	ds_store_b64 v11, v[9:10]
	ds_store_b64 v17, v[9:10] offset:6144
	s_and_saveexec_b32 s3, s8
	s_cbranch_execz .LBB91_27
; %bb.26:
	v_mov_b32_e32 v9, 0
	s_delay_alu instid0(VALU_DEP_1)
	v_mov_b32_e32 v10, v9
	ds_store_b64 v16, v[9:10] offset:12288
.LBB91_27:
	s_or_b32 exec_lo, exec_lo, s3
                                        ; implicit-def: $vgpr12
                                        ; implicit-def: $vgpr9_vgpr10
                                        ; implicit-def: $vgpr11
	s_and_saveexec_b32 s3, vcc_lo
	s_cbranch_execz .LBB91_38
; %bb.28:
	s_cmp_lt_u32 s16, 8
	s_mov_b32 s18, 0
	s_cbranch_scc1 .LBB91_35
; %bb.29:
	s_lshr_b32 s18, s16, 3
	s_mov_b32 s19, 0
	s_add_i32 s8, s18, -1
	s_delay_alu instid0(SALU_CYCLE_1)
	s_cmp_lt_u32 s8, 3
	s_cbranch_scc1 .LBB91_32
; %bb.30:
	v_lshlrev_b32_e32 v9, 3, v0
	s_and_b32 s19, s18, 0x1ffffffc
	s_add_u32 s8, s0, s6
	s_addc_u32 s9, s1, s7
	s_add_u32 s22, s20, s4
	v_add_nc_u32_e32 v24, 0xc0, v9
	v_add_nc_u32_e32 v25, 0x80, v9
	s_addc_u32 s23, s21, s5
	v_add_nc_u32_e32 v26, 64, v9
	s_add_u32 s8, s22, s8
	s_addc_u32 s9, s23, s9
	s_mov_b32 s22, 0
	v_mad_u64_u32 v[9:10], null, s24, v24, s[8:9]
	v_mad_u64_u32 v[11:12], null, s24, v25, s[8:9]
	;; [unrolled: 1-line block ×3, first 2 shown]
	s_lshl_b64 s[8:9], s[24:25], 8
	s_delay_alu instid0(VALU_DEP_2) | instskip(NEXT) | instid1(VALU_DEP_2)
	v_mad_u64_u32 v[22:23], null, s25, v24, v[10:11]
	v_mad_u64_u32 v[23:24], null, s25, v25, v[12:13]
	s_delay_alu instid0(VALU_DEP_3) | instskip(NEXT) | instid1(VALU_DEP_3)
	v_mad_u64_u32 v[24:25], null, s25, v26, v[14:15]
	v_mov_b32_e32 v10, v22
	v_mov_b32_e32 v22, v17
	s_delay_alu instid0(VALU_DEP_4) | instskip(NEXT) | instid1(VALU_DEP_4)
	v_mov_b32_e32 v12, v23
	v_mov_b32_e32 v14, v24
	s_set_inst_prefetch_distance 0x1
	.p2align	6
.LBB91_31:                              ; =>This Inner Loop Header: Depth=1
	v_add_co_u32 v23, vcc_lo, v20, v16
	v_add_co_ci_u32_e32 v24, vcc_lo, 0, v21, vcc_lo
	v_add_co_u32 v25, vcc_lo, v13, v16
	v_add_co_ci_u32_e32 v26, vcc_lo, 0, v14, vcc_lo
	;; [unrolled: 2-line block ×4, first 2 shown]
	global_load_b64 v[23:24], v[23:24], off
	global_load_b64 v[25:26], v[25:26], off
	;; [unrolled: 1-line block ×4, first 2 shown]
	v_add_co_u32 v9, vcc_lo, v9, s8
	v_add_co_ci_u32_e32 v10, vcc_lo, s9, v10, vcc_lo
	v_add_co_u32 v11, vcc_lo, v11, s8
	v_add_co_ci_u32_e32 v12, vcc_lo, s9, v12, vcc_lo
	;; [unrolled: 2-line block ×4, first 2 shown]
	s_add_i32 s22, s22, 4
	s_waitcnt vmcnt(2)
	ds_store_2addr_stride64_b64 v22, v[23:24], v[25:26] offset1:4
	s_waitcnt vmcnt(0)
	ds_store_2addr_stride64_b64 v22, v[27:28], v[29:30] offset0:8 offset1:12
	v_add_nc_u32_e32 v22, 0x2000, v22
	s_cmp_lg_u32 s19, s22
	s_cbranch_scc1 .LBB91_31
.LBB91_32:
	s_set_inst_prefetch_distance 0x2
	s_bfe_u32 s22, s16, 0x20003
	s_mov_b32 s9, 0
	s_cmp_eq_u32 s22, 0
	s_cbranch_scc1 .LBB91_35
; %bb.33:
	s_lshl_b32 s23, s19, 11
	s_add_u32 s6, s0, s6
	v_lshlrev_b32_e32 v9, 3, v0
	s_addc_u32 s7, s1, s7
	s_lshl_b32 s8, s19, 3
	s_delay_alu instid0(SALU_CYCLE_1)
	s_lshl_b64 s[0:1], s[8:9], 3
	s_delay_alu instid0(VALU_DEP_1) | instid1(SALU_CYCLE_1)
	v_add_co_u32 v11, s0, v9, s0
	s_delay_alu instid0(VALU_DEP_1)
	v_add_co_ci_u32_e64 v12, null, 0, s1, s0
	s_add_u32 s0, s4, s6
	s_addc_u32 s1, s5, s7
	s_delay_alu instid0(VALU_DEP_2) | instid1(SALU_CYCLE_1)
	v_mad_u64_u32 v[9:10], null, s24, v11, s[0:1]
	s_delay_alu instid0(VALU_DEP_2) | instskip(SKIP_2) | instid1(VALU_DEP_3)
	v_mul_lo_u32 v12, s24, v12
	v_mul_lo_u32 v11, s25, v11
	s_lshl_b64 s[0:1], s[24:25], 6
	v_add_co_u32 v9, vcc_lo, v9, v16
	s_delay_alu instid0(VALU_DEP_2) | instskip(SKIP_1) | instid1(VALU_DEP_2)
	v_add3_u32 v10, v11, v10, v12
	v_lshlrev_b32_e32 v11, 8, v0
	v_add_co_ci_u32_e32 v10, vcc_lo, 0, v10, vcc_lo
	s_delay_alu instid0(VALU_DEP_4) | instskip(NEXT) | instid1(VALU_DEP_3)
	v_add_co_u32 v9, vcc_lo, s20, v9
	v_add3_u32 v11, s23, v11, v16
	s_delay_alu instid0(VALU_DEP_3)
	v_add_co_ci_u32_e32 v10, vcc_lo, s21, v10, vcc_lo
.LBB91_34:                              ; =>This Inner Loop Header: Depth=1
	global_load_b64 v[12:13], v[9:10], off
	v_add_co_u32 v9, vcc_lo, v9, s0
	v_add_co_ci_u32_e32 v10, vcc_lo, s1, v10, vcc_lo
	s_add_i32 s22, s22, -1
	s_delay_alu instid0(SALU_CYCLE_1)
	s_cmp_lg_u32 s22, 0
	s_waitcnt vmcnt(0)
	ds_store_b64 v11, v[12:13]
	v_add_nc_u32_e32 v11, 0x800, v11
	s_cbranch_scc1 .LBB91_34
.LBB91_35:
	s_and_b32 s0, s16, 7
                                        ; implicit-def: $vgpr9_vgpr10
                                        ; implicit-def: $vgpr11
	s_delay_alu instid0(SALU_CYCLE_1)
	v_cmp_gt_u32_e32 vcc_lo, s0, v0
	s_mov_b32 s0, s17
	s_and_saveexec_b32 s1, vcc_lo
; %bb.36:
	s_lshl_b32 s0, s18, 3
	v_lshl_add_u32 v11, s18, 8, v19
	s_mul_i32 s5, s0, s25
	s_mul_hi_u32 s6, s0, s24
	s_mul_i32 s4, s0, s24
	s_add_i32 s5, s6, s5
	s_or_b32 s0, s17, exec_lo
	s_lshl_b64 s[4:5], s[4:5], 3
	s_delay_alu instid0(SALU_CYCLE_1)
	v_add_co_u32 v9, vcc_lo, v7, s4
	v_add_co_ci_u32_e32 v10, vcc_lo, s5, v8, vcc_lo
; %bb.37:
	s_or_b32 exec_lo, exec_lo, s1
	v_mov_b32_e32 v12, v18
	s_and_not1_b32 s1, s17, exec_lo
	s_and_b32 s0, s0, exec_lo
	s_delay_alu instid0(SALU_CYCLE_1)
	s_or_b32 s17, s1, s0
.LBB91_38:
	s_or_b32 exec_lo, exec_lo, s3
	s_and_saveexec_b32 s0, s17
	s_cbranch_execz .LBB91_40
.LBB91_39:
	global_load_b64 v[7:8], v[9:10], off
	v_dual_mov_b32 v18, v12 :: v_dual_lshlrev_b32 v9, 3, v11
	s_waitcnt vmcnt(0)
	ds_store_b64 v9, v[7:8]
.LBB91_40:
	s_or_b32 exec_lo, exec_lo, s0
	v_sub_nc_u32_e32 v7, v15, v0
	v_lshlrev_b32_e32 v8, 5, v15
	s_mov_b32 s0, exec_lo
	s_waitcnt lgkmcnt(0)
	s_waitcnt_vscnt null, 0x0
	s_barrier
	v_sub_nc_u32_e32 v9, 0, v7
	v_add_nc_u32_e32 v10, v18, v8
	buffer_gl0_inv
	v_max_i32_e32 v9, v7, v9
	v_lshlrev_b32_e32 v7, 5, v18
	v_lshlrev_b32_e32 v10, 3, v10
	s_delay_alu instid0(VALU_DEP_3)
	v_cmpx_lt_u32_e32 16, v9
	s_cbranch_execz .LBB91_42
; %bb.41:
	ds_load_b64 v[11:12], v10
	v_add_lshl_u32 v13, v7, v15, 3
	s_waitcnt lgkmcnt(0)
	ds_store_b64 v13, v[11:12]
.LBB91_42:
	s_or_b32 exec_lo, exec_lo, s0
	s_delay_alu instid0(SALU_CYCLE_1)
	s_mov_b32 s0, exec_lo
	v_cmpx_lt_u32_e32 24, v9
	s_cbranch_execz .LBB91_44
; %bb.43:
	ds_load_b64 v[10:11], v10 offset:64
	s_waitcnt lgkmcnt(0)
	ds_store_b64 v17, v[10:11] offset:6144
.LBB91_44:
	s_or_b32 exec_lo, exec_lo, s0
	s_delay_alu instid0(SALU_CYCLE_1)
	s_mov_b32 s0, exec_lo
	v_cmpx_ge_u32_e64 v15, v0
	s_cbranch_execz .LBB91_46
; %bb.45:
	v_add_lshl_u32 v10, v8, v0, 3
	ds_load_b64 v[10:11], v10
	s_waitcnt lgkmcnt(0)
	ds_store_b64 v17, v[10:11]
.LBB91_46:
	s_or_b32 exec_lo, exec_lo, s0
	v_lshlrev_b32_e32 v10, 5, v0
	v_cmp_lt_u32_e32 vcc_lo, 8, v9
	s_delay_alu instid0(VALU_DEP_2) | instskip(NEXT) | instid1(VALU_DEP_1)
	v_add3_u32 v11, v10, v15, 0x100
	v_lshlrev_b32_e32 v9, 3, v11
	s_and_saveexec_b32 s0, vcc_lo
	s_cbranch_execz .LBB91_48
; %bb.47:
	v_add_lshl_u32 v8, v0, v8, 3
	ds_load_b64 v[11:12], v8 offset:64
	s_waitcnt lgkmcnt(0)
	ds_store_b64 v9, v[11:12]
.LBB91_48:
	s_or_b32 exec_lo, exec_lo, s0
	v_lshlrev_b32_e32 v0, 3, v0
	s_waitcnt lgkmcnt(0)
	s_barrier
	buffer_gl0_inv
	v_add_lshl_u32 v7, v7, v15, 3
	v_add_nc_u32_e32 v8, 0x3000, v0
	ds_load_2addr_b64 v[11:14], v8 offset1:8
	ds_load_b64 v[19:20], v17
	ds_load_b64 v[8:9], v9
	s_waitcnt lgkmcnt(1)
	v_fma_f64 v[11:12], v[19:20], v[11:12], 0
	s_waitcnt lgkmcnt(0)
	s_delay_alu instid0(VALU_DEP_1)
	v_fma_f64 v[8:9], v[8:9], v[13:14], v[11:12]
	v_lshlrev_b32_e32 v13, 3, v18
	ds_load_b64 v[11:12], v7
	ds_load_b64 v[13:14], v13 offset:12288
	v_add_lshl_u32 v7, v10, v15, 3
	ds_load_b64 v[18:19], v7 offset:6144
	ds_load_b64 v[20:21], v0 offset:12480
	s_waitcnt lgkmcnt(2)
	v_fma_f64 v[7:8], v[11:12], v[13:14], v[8:9]
	s_waitcnt lgkmcnt(0)
	s_delay_alu instid0(VALU_DEP_1)
	v_fma_f64 v[7:8], v[18:19], v[20:21], v[7:8]
	ds_store_b64 v17, v[7:8] offset:8192
	s_waitcnt lgkmcnt(0)
	s_barrier
	buffer_gl0_inv
	s_and_saveexec_b32 s0, s2
	s_cbranch_execz .LBB91_51
; %bb.49:
	v_cmp_gt_i32_e32 vcc_lo, s16, v15
	s_cmp_lt_u32 s14, s15
	s_cselect_b32 s0, -1, 0
	s_delay_alu instid0(SALU_CYCLE_1) | instskip(NEXT) | instid1(SALU_CYCLE_1)
	s_or_b32 s0, vcc_lo, s0
	s_and_b32 exec_lo, exec_lo, s0
	s_cbranch_execz .LBB91_51
; %bb.50:
	v_add_nc_u32_e32 v0, 0x2000, v16
	v_cmp_neq_f64_e32 vcc_lo, 0, v[1:2]
	ds_load_2addr_b64 v[7:10], v0 offset1:32
	s_waitcnt lgkmcnt(0)
	v_add_f64 v[7:8], v[7:8], 0
	s_delay_alu instid0(VALU_DEP_1) | instskip(SKIP_3) | instid1(VALU_DEP_1)
	v_add_f64 v[11:12], v[7:8], v[9:10]
	ds_load_2addr_b64 v[7:10], v0 offset0:64 offset1:96
	s_waitcnt lgkmcnt(0)
	v_add_f64 v[7:8], v[11:12], v[7:8]
	v_add_f64 v[11:12], v[7:8], v[9:10]
	ds_load_2addr_b64 v[7:10], v0 offset0:128 offset1:160
	s_waitcnt lgkmcnt(0)
	v_add_f64 v[7:8], v[11:12], v[7:8]
	s_delay_alu instid0(VALU_DEP_1) | instskip(SKIP_4) | instid1(VALU_DEP_1)
	v_add_f64 v[11:12], v[7:8], v[9:10]
	ds_load_2addr_b64 v[7:10], v0 offset0:192 offset1:224
	v_mad_u64_u32 v[0:1], null, v15, s10, 0
	s_waitcnt lgkmcnt(0)
	v_add_f64 v[7:8], v[11:12], v[7:8]
	v_add_f64 v[7:8], v[7:8], v[9:10]
	s_delay_alu instid0(VALU_DEP_1) | instskip(SKIP_2) | instid1(VALU_DEP_1)
	v_mul_f64 v[9:10], v[3:4], v[7:8]
	v_fma_f64 v[3:4], v[3:4], v[7:8], v[5:6]
	v_mad_u64_u32 v[5:6], null, v15, s11, v[1:2]
	v_mov_b32_e32 v1, v5
	s_delay_alu instid0(VALU_DEP_1) | instskip(NEXT) | instid1(VALU_DEP_4)
	v_lshlrev_b64 v[0:1], 3, v[0:1]
	v_dual_cndmask_b32 v4, v10, v4 :: v_dual_cndmask_b32 v3, v9, v3
	s_delay_alu instid0(VALU_DEP_2) | instskip(NEXT) | instid1(VALU_DEP_3)
	v_add_co_u32 v0, vcc_lo, s12, v0
	v_add_co_ci_u32_e32 v1, vcc_lo, s13, v1, vcc_lo
	global_store_b64 v[0:1], v[3:4], off
.LBB91_51:
	s_nop 0
	s_sendmsg sendmsg(MSG_DEALLOC_VGPRS)
	s_endpgm
	.section	.rodata,"a",@progbits
	.p2align	6, 0x0
	.amdhsa_kernel _ZL58rocblas_symv_kernel_upper_double_buffered_diagonal_genericILi32ELi8E24rocblas_internal_val_ptrIdEPKdPdEvbiT1_lT2_lllS6_lllS5_lT3_lllii
		.amdhsa_group_segment_fixed_size 12544
		.amdhsa_private_segment_fixed_size 0
		.amdhsa_kernarg_size 400
		.amdhsa_user_sgpr_count 14
		.amdhsa_user_sgpr_dispatch_ptr 0
		.amdhsa_user_sgpr_queue_ptr 0
		.amdhsa_user_sgpr_kernarg_segment_ptr 1
		.amdhsa_user_sgpr_dispatch_id 0
		.amdhsa_user_sgpr_private_segment_size 0
		.amdhsa_wavefront_size32 1
		.amdhsa_uses_dynamic_stack 0
		.amdhsa_enable_private_segment 0
		.amdhsa_system_sgpr_workgroup_id_x 1
		.amdhsa_system_sgpr_workgroup_id_y 0
		.amdhsa_system_sgpr_workgroup_id_z 1
		.amdhsa_system_sgpr_workgroup_info 0
		.amdhsa_system_vgpr_workitem_id 1
		.amdhsa_next_free_vgpr 31
		.amdhsa_next_free_sgpr 37
		.amdhsa_reserve_vcc 1
		.amdhsa_float_round_mode_32 0
		.amdhsa_float_round_mode_16_64 0
		.amdhsa_float_denorm_mode_32 3
		.amdhsa_float_denorm_mode_16_64 3
		.amdhsa_dx10_clamp 1
		.amdhsa_ieee_mode 1
		.amdhsa_fp16_overflow 0
		.amdhsa_workgroup_processor_mode 1
		.amdhsa_memory_ordered 1
		.amdhsa_forward_progress 0
		.amdhsa_shared_vgpr_count 0
		.amdhsa_exception_fp_ieee_invalid_op 0
		.amdhsa_exception_fp_denorm_src 0
		.amdhsa_exception_fp_ieee_div_zero 0
		.amdhsa_exception_fp_ieee_overflow 0
		.amdhsa_exception_fp_ieee_underflow 0
		.amdhsa_exception_fp_ieee_inexact 0
		.amdhsa_exception_int_div_zero 0
	.end_amdhsa_kernel
	.section	.text._ZL58rocblas_symv_kernel_upper_double_buffered_diagonal_genericILi32ELi8E24rocblas_internal_val_ptrIdEPKdPdEvbiT1_lT2_lllS6_lllS5_lT3_lllii,"axG",@progbits,_ZL58rocblas_symv_kernel_upper_double_buffered_diagonal_genericILi32ELi8E24rocblas_internal_val_ptrIdEPKdPdEvbiT1_lT2_lllS6_lllS5_lT3_lllii,comdat
.Lfunc_end91:
	.size	_ZL58rocblas_symv_kernel_upper_double_buffered_diagonal_genericILi32ELi8E24rocblas_internal_val_ptrIdEPKdPdEvbiT1_lT2_lllS6_lllS5_lT3_lllii, .Lfunc_end91-_ZL58rocblas_symv_kernel_upper_double_buffered_diagonal_genericILi32ELi8E24rocblas_internal_val_ptrIdEPKdPdEvbiT1_lT2_lllS6_lllS5_lT3_lllii
                                        ; -- End function
	.section	.AMDGPU.csdata,"",@progbits
; Kernel info:
; codeLenInByte = 2876
; NumSgprs: 39
; NumVgprs: 31
; ScratchSize: 0
; MemoryBound: 0
; FloatMode: 240
; IeeeMode: 1
; LDSByteSize: 12544 bytes/workgroup (compile time only)
; SGPRBlocks: 4
; VGPRBlocks: 3
; NumSGPRsForWavesPerEU: 39
; NumVGPRsForWavesPerEU: 31
; Occupancy: 16
; WaveLimiterHint : 0
; COMPUTE_PGM_RSRC2:SCRATCH_EN: 0
; COMPUTE_PGM_RSRC2:USER_SGPR: 14
; COMPUTE_PGM_RSRC2:TRAP_HANDLER: 0
; COMPUTE_PGM_RSRC2:TGID_X_EN: 1
; COMPUTE_PGM_RSRC2:TGID_Y_EN: 0
; COMPUTE_PGM_RSRC2:TGID_Z_EN: 1
; COMPUTE_PGM_RSRC2:TIDIG_COMP_CNT: 1
	.section	.text._ZL62rocblas_symv_kernel_upper_double_buffered_non_diagonal_genericILi32ELi8ELi2ELi0E24rocblas_internal_val_ptrIdEPKdPdEvbiT3_lT4_lllS6_lllT5_lllii,"axG",@progbits,_ZL62rocblas_symv_kernel_upper_double_buffered_non_diagonal_genericILi32ELi8ELi2ELi0E24rocblas_internal_val_ptrIdEPKdPdEvbiT3_lT4_lllS6_lllT5_lllii,comdat
	.globl	_ZL62rocblas_symv_kernel_upper_double_buffered_non_diagonal_genericILi32ELi8ELi2ELi0E24rocblas_internal_val_ptrIdEPKdPdEvbiT3_lT4_lllS6_lllT5_lllii ; -- Begin function _ZL62rocblas_symv_kernel_upper_double_buffered_non_diagonal_genericILi32ELi8ELi2ELi0E24rocblas_internal_val_ptrIdEPKdPdEvbiT3_lT4_lllS6_lllT5_lllii
	.p2align	8
	.type	_ZL62rocblas_symv_kernel_upper_double_buffered_non_diagonal_genericILi32ELi8ELi2ELi0E24rocblas_internal_val_ptrIdEPKdPdEvbiT3_lT4_lllS6_lllT5_lllii,@function
_ZL62rocblas_symv_kernel_upper_double_buffered_non_diagonal_genericILi32ELi8ELi2ELi0E24rocblas_internal_val_ptrIdEPKdPdEvbiT3_lT4_lllS6_lllT5_lllii: ; @_ZL62rocblas_symv_kernel_upper_double_buffered_non_diagonal_genericILi32ELi8ELi2ELi0E24rocblas_internal_val_ptrIdEPKdPdEvbiT3_lT4_lllS6_lllT5_lllii
; %bb.0:
	s_clause 0x1
	s_load_b32 s2, s[0:1], 0x0
	s_load_b512 s[16:31], s[0:1], 0x8
	s_waitcnt lgkmcnt(0)
	s_bitcmp1_b32 s2, 0
	v_dual_mov_b32 v12, s16 :: v_dual_mov_b32 v13, s17
	s_cselect_b32 s2, -1, 0
	s_delay_alu instid0(SALU_CYCLE_1)
	s_and_b32 vcc_lo, exec_lo, s2
	s_cbranch_vccnz .LBB92_2
; %bb.1:
	s_mul_i32 s2, s15, s19
	s_mul_hi_u32 s3, s15, s18
	s_delay_alu instid0(SALU_CYCLE_1) | instskip(SKIP_1) | instid1(SALU_CYCLE_1)
	s_add_i32 s3, s3, s2
	s_mul_i32 s2, s15, s18
	s_lshl_b64 s[2:3], s[2:3], 3
	s_delay_alu instid0(SALU_CYCLE_1) | instskip(SKIP_1) | instid1(SALU_CYCLE_1)
	s_add_u32 s2, s16, s2
	s_addc_u32 s3, s17, s3
	v_dual_mov_b32 v1, s2 :: v_dual_mov_b32 v2, s3
	flat_load_b64 v[12:13], v[1:2]
.LBB92_2:
	s_mov_b32 s2, exec_lo
	s_waitcnt vmcnt(0) lgkmcnt(0)
	v_cmpx_neq_f64_e32 0, v[12:13]
	s_cbranch_execz .LBB92_41
; %bb.3:
	s_load_b32 s4, s[0:1], 0x84
	s_add_u32 s2, s0, 0x80
	s_addc_u32 s3, s1, 0
	s_cmp_eq_u32 s13, 0
	s_waitcnt lgkmcnt(0)
	v_cvt_f32_u32_e32 v1, s4
	s_delay_alu instid0(VALU_DEP_1) | instskip(SKIP_2) | instid1(VALU_DEP_1)
	v_rcp_iflag_f32_e32 v1, v1
	s_waitcnt_depctr 0xfff
	v_mul_f32_e32 v1, 0x4f7ffffe, v1
	v_cvt_u32_f32_e32 v1, v1
	s_delay_alu instid0(VALU_DEP_1)
	v_readfirstlane_b32 s5, v1
	s_cbranch_scc1 .LBB92_41
; %bb.4:
	s_sub_i32 s6, 0, s4
	s_delay_alu instid0(VALU_DEP_1) | instid1(SALU_CYCLE_1)
	s_mul_i32 s6, s6, s5
	s_delay_alu instid0(SALU_CYCLE_1) | instskip(NEXT) | instid1(SALU_CYCLE_1)
	s_mul_hi_u32 s6, s5, s6
	s_add_i32 s5, s5, s6
	s_delay_alu instid0(SALU_CYCLE_1) | instskip(NEXT) | instid1(SALU_CYCLE_1)
	s_mul_hi_u32 s5, s13, s5
	s_mul_i32 s6, s5, s4
	s_add_i32 s7, s5, 1
	s_sub_i32 s6, s13, s6
	s_delay_alu instid0(SALU_CYCLE_1)
	s_sub_i32 s8, s6, s4
	s_cmp_ge_u32 s6, s4
	s_cselect_b32 s5, s7, s5
	s_cselect_b32 s6, s8, s6
	s_add_i32 s7, s5, 1
	s_cmp_ge_u32 s6, s4
	s_cselect_b32 s6, s7, s5
	s_add_i32 s5, s4, -1
	s_mov_b32 s19, s6
	s_cmp_lg_u32 s14, s5
	s_cbranch_scc1 .LBB92_6
; %bb.5:
	s_mul_i32 s4, s6, s4
	s_delay_alu instid0(SALU_CYCLE_1) | instskip(NEXT) | instid1(SALU_CYCLE_1)
	s_sub_i32 s4, s13, s4
	s_add_i32 s19, s4, s6
.LBB92_6:
	s_delay_alu instid0(SALU_CYCLE_1)
	s_cmp_eq_u32 s19, 0
	s_cbranch_scc1 .LBB92_41
; %bb.7:
	s_clause 0x1
	s_load_b128 s[8:11], s[0:1], 0x48
	s_load_b32 s18, s[0:1], 0x78
	v_and_b32_e32 v45, 0x3ff, v0
	v_bfe_u32 v0, v0, 10, 10
	s_delay_alu instid0(VALU_DEP_2) | instskip(NEXT) | instid1(VALU_DEP_2)
	v_and_b32_e32 v14, 15, v45
	v_lshl_add_u32 v1, v0, 5, v45
	s_delay_alu instid0(VALU_DEP_1)
	v_lshrrev_b32_e32 v6, 4, v1
	s_waitcnt lgkmcnt(0)
	s_mul_i32 s5, s15, s11
	s_mul_hi_u32 s7, s15, s10
	s_mul_i32 s4, s15, s10
	s_add_i32 s5, s7, s5
	s_load_b32 s7, s[2:3], 0x0
	s_lshl_b64 s[4:5], s[4:5], 3
	s_delay_alu instid0(SALU_CYCLE_1) | instskip(SKIP_2) | instid1(SALU_CYCLE_1)
	s_add_u32 s4, s28, s4
	s_addc_u32 s5, s29, s5
	s_lshl_b64 s[2:3], s[30:31], 3
	s_add_u32 s29, s4, s2
	s_addc_u32 s30, s5, s3
	s_lshl_b32 s3, s13, 5
	s_delay_alu instid0(SALU_CYCLE_1)
	s_mul_i32 s2, s3, s9
	s_mul_hi_u32 s4, s3, s8
	s_ashr_i32 s12, s3, 31
	s_add_i32 s2, s4, s2
	s_mul_i32 s5, s12, s8
	s_mul_i32 s4, s3, s8
	s_add_i32 s5, s2, s5
	v_cmp_eq_u32_e64 s2, 0, v0
	s_lshl_b64 s[4:5], s[4:5], 3
	s_delay_alu instid0(SALU_CYCLE_1)
	s_add_u32 s10, s29, s4
	s_addc_u32 s11, s30, s5
	s_waitcnt lgkmcnt(0)
	s_add_i32 s28, s7, -1
	s_mov_b32 s4, -1
	s_cmp_lg_u32 s13, s28
	s_cselect_b32 s7, -1, 0
	s_delay_alu instid0(SALU_CYCLE_1)
	s_and_b32 vcc_lo, exec_lo, s7
	s_cbranch_vccnz .LBB92_13
; %bb.8:
	s_and_saveexec_b32 s4, s2
	s_cbranch_execz .LBB92_12
; %bb.9:
	v_mov_b32_e32 v0, 0
	v_mov_b32_e32 v1, 0
	s_mov_b32 s5, exec_lo
	v_cmpx_gt_i32_e64 s18, v45
	s_cbranch_execz .LBB92_11
; %bb.10:
	v_mad_u64_u32 v[0:1], null, v45, s8, 0
	s_delay_alu instid0(VALU_DEP_1) | instskip(NEXT) | instid1(VALU_DEP_1)
	v_mad_u64_u32 v[2:3], null, v45, s9, v[1:2]
	v_mov_b32_e32 v1, v2
	s_delay_alu instid0(VALU_DEP_1) | instskip(NEXT) | instid1(VALU_DEP_1)
	v_lshlrev_b64 v[0:1], 3, v[0:1]
	v_add_co_u32 v0, vcc_lo, s10, v0
	s_delay_alu instid0(VALU_DEP_2)
	v_add_co_ci_u32_e32 v1, vcc_lo, s11, v1, vcc_lo
	global_load_b64 v[0:1], v[0:1], off
.LBB92_11:
	s_or_b32 exec_lo, exec_lo, s5
	v_lshlrev_b32_e32 v2, 3, v45
	s_waitcnt vmcnt(0)
	ds_store_b64 v2, v[0:1] offset:8192
.LBB92_12:
	s_or_b32 exec_lo, exec_lo, s4
	s_mov_b32 s4, 0
	s_delay_alu instid0(SALU_CYCLE_1) | instskip(SKIP_1) | instid1(VALU_DEP_1)
	s_mov_b32 s5, s4
	v_lshlrev_b32_e32 v0, 3, v14
	v_lshl_or_b32 v2, v6, 8, v0
	v_dual_mov_b32 v0, s4 :: v_dual_mov_b32 v1, s5
	s_delay_alu instid0(VALU_DEP_2)
	v_add_nc_u32_e32 v3, 0x1000, v2
	ds_store_2addr_b64 v2, v[0:1], v[0:1] offset1:16
	ds_store_2addr_b64 v3, v[0:1], v[0:1] offset1:16
.LBB92_13:
	s_load_b64 s[16:17], s[0:1], 0x58
	s_and_b32 vcc_lo, exec_lo, s4
	s_cbranch_vccz .LBB92_17
; %bb.14:
	s_and_saveexec_b32 s4, s2
	s_cbranch_execz .LBB92_16
; %bb.15:
	v_mad_u64_u32 v[0:1], null, v45, s8, 0
	s_delay_alu instid0(VALU_DEP_1) | instskip(NEXT) | instid1(VALU_DEP_1)
	v_mad_u64_u32 v[2:3], null, v45, s9, v[1:2]
	v_dual_mov_b32 v1, v2 :: v_dual_lshlrev_b32 v2, 3, v45
	s_delay_alu instid0(VALU_DEP_1) | instskip(NEXT) | instid1(VALU_DEP_1)
	v_lshlrev_b64 v[0:1], 3, v[0:1]
	v_add_co_u32 v0, vcc_lo, s10, v0
	s_delay_alu instid0(VALU_DEP_2)
	v_add_co_ci_u32_e32 v1, vcc_lo, s11, v1, vcc_lo
	global_load_b64 v[0:1], v[0:1], off
	s_waitcnt vmcnt(0)
	ds_store_b64 v2, v[0:1] offset:8192
.LBB92_16:
	s_or_b32 exec_lo, exec_lo, s4
.LBB92_17:
	s_mov_b32 s36, 0
	v_lshlrev_b32_e32 v7, 1, v6
	s_mov_b32 s37, s36
	s_mov_b32 s38, s36
	;; [unrolled: 1-line block ×3, first 2 shown]
	v_mov_b32_e32 v15, 0
	s_mul_i32 s4, s15, s27
	s_mul_hi_u32 s5, s15, s26
	s_lshr_b32 s10, s18, 31
	s_add_i32 s5, s5, s4
	v_mad_u64_u32 v[4:5], null, v7, s24, v[14:15]
	s_mul_i32 s4, s15, s26
	s_add_i32 s10, s18, s10
	s_lshl_b64 s[4:5], s[4:5], 3
	s_ashr_i32 s26, s10, 1
	s_add_u32 s10, s20, s4
	s_addc_u32 s11, s21, s5
	s_delay_alu instid0(VALU_DEP_1)
	v_mov_b32_e32 v0, v5
	s_lshl_b64 s[4:5], s[22:23], 3
	s_mul_hi_u32 s20, s3, s24
	s_add_u32 s10, s10, s4
	s_mul_i32 s4, s3, s25
	v_mad_u64_u32 v[1:2], null, v7, s25, v[0:1]
	s_addc_u32 s11, s11, s5
	s_add_i32 s4, s20, s4
	s_mul_i32 s5, s12, s24
	s_mul_i32 s14, s14, s6
	s_add_i32 s5, s4, s5
	s_mul_i32 s4, s3, s24
	s_delay_alu instid0(VALU_DEP_1)
	v_mov_b32_e32 v5, v1
	s_lshl_b64 s[4:5], s[4:5], 3
	v_cmp_gt_i32_e32 vcc_lo, s26, v6
	s_add_u32 s20, s10, s4
	s_addc_u32 s6, s11, s5
	s_lshl_b32 s10, s14, 5
	v_mov_b32_e32 v0, s36
	v_mov_b32_e32 v2, s38
	s_ashr_i32 s11, s10, 31
	v_lshlrev_b64 v[15:16], 3, v[4:5]
	s_lshl_b64 s[4:5], s[10:11], 3
	v_mov_b32_e32 v1, s37
	v_mov_b32_e32 v3, s39
	s_add_u32 s20, s20, s4
	s_addc_u32 s21, s6, s5
	s_or_b32 s22, s7, vcc_lo
	s_waitcnt lgkmcnt(0)
	s_barrier
	buffer_gl0_inv
	s_and_saveexec_b32 s4, s22
; %bb.18:
	v_add_co_u32 v0, vcc_lo, s20, v15
	v_add_co_ci_u32_e32 v1, vcc_lo, s21, v16, vcc_lo
	s_lshl_b64 s[6:7], s[24:25], 3
	s_delay_alu instid0(VALU_DEP_2) | instid1(SALU_CYCLE_1)
	v_add_co_u32 v2, vcc_lo, v0, s6
	s_delay_alu instid0(VALU_DEP_2)
	v_add_co_ci_u32_e32 v3, vcc_lo, s7, v1, vcc_lo
	s_clause 0x1
	global_load_b64 v[0:1], v[0:1], off
	global_load_b64 v[2:3], v[2:3], off
; %bb.19:
	s_or_b32 exec_lo, exec_lo, s4
	s_clause 0x1
	s_load_b64 s[26:27], s[0:1], 0x70
	s_load_b128 s[4:7], s[0:1], 0x60
	v_lshl_or_b32 v46, v6, 5, v14
	s_waitcnt lgkmcnt(0)
	s_mul_i32 s1, s15, s27
	s_mul_hi_u32 s14, s15, s26
	s_mul_i32 s0, s15, s26
	s_add_i32 s1, s14, s1
	s_delay_alu instid0(SALU_CYCLE_1) | instskip(NEXT) | instid1(SALU_CYCLE_1)
	s_lshl_b64 s[0:1], s[0:1], 3
	s_add_u32 s14, s16, s0
	s_addc_u32 s15, s17, s1
	s_lshl_b64 s[0:1], s[4:5], 3
	s_delay_alu instid0(SALU_CYCLE_1)
	s_add_u32 s14, s14, s0
	s_addc_u32 s15, s15, s1
	s_cmp_gt_i32 s19, 0
	s_cbranch_scc1 .LBB92_21
; %bb.20:
	v_lshl_or_b32 v6, v6, 5, v14
	s_mov_b32 s4, 0
	s_mov_b64 s[0:1], 0
	s_delay_alu instid0(VALU_DEP_1)
	v_or_b32_e32 v47, 16, v6
	s_branch .LBB92_22
.LBB92_21:
	s_mov_b32 s4, -1
                                        ; implicit-def: $sgpr0_sgpr1
                                        ; implicit-def: $vgpr6
                                        ; implicit-def: $vgpr47
.LBB92_22:
	v_dual_mov_b32 v24, s1 :: v_dual_mov_b32 v23, s0
	v_dual_mov_b32 v22, s1 :: v_dual_mov_b32 v21, s0
	s_and_not1_b32 vcc_lo, exec_lo, s4
	s_cbranch_vccnz .LBB92_37
; %bb.23:
	v_mad_u64_u32 v[8:9], null, v14, s8, 0
	s_mul_i32 s0, s10, s9
	s_mul_hi_u32 s1, s10, s8
	s_mul_i32 s4, s11, s8
	s_add_i32 s1, s1, s0
	s_mul_i32 s0, s10, s8
	s_add_i32 s1, s1, s4
	s_delay_alu instid0(VALU_DEP_1)
	v_mov_b32_e32 v6, v9
	s_lshl_b64 s[0:1], s[0:1], 3
	v_or_b32_e32 v23, 16, v14
	s_add_u32 s16, s29, s0
	s_addc_u32 s17, s30, s1
	v_mad_u64_u32 v[9:10], null, v14, s9, v[6:7]
	v_mad_u64_u32 v[10:11], null, v45, s6, 0
	s_mul_i32 s0, s10, s7
	s_mul_hi_u32 s1, s10, s6
	v_or_b32_e32 v47, 16, v46
	s_add_i32 s0, s1, s0
	s_delay_alu instid0(VALU_DEP_3)
	v_lshlrev_b64 v[17:18], 3, v[8:9]
	s_mul_i32 s1, s11, s6
	v_lshl_add_u32 v49, v7, 3, 0x2000
	s_add_i32 s1, s0, s1
	s_mul_i32 s0, s10, s6
	s_mov_b32 s11, 0
	v_add_co_u32 v8, vcc_lo, s16, v17
	v_add_co_ci_u32_e32 v9, vcc_lo, s17, v18, vcc_lo
	v_add_co_u32 v4, vcc_lo, v4, s24
	s_lshl_b64 s[0:1], s[0:1], 3
	global_load_b64 v[19:20], v[8:9], off
	v_mad_u64_u32 v[8:9], null, v23, s8, 0
	v_add_co_ci_u32_e32 v5, vcc_lo, s25, v5, vcc_lo
	s_add_u32 s4, s14, s0
	s_addc_u32 s5, s15, s1
	v_lshlrev_b32_e32 v48, 3, v46
	s_delay_alu instid0(VALU_DEP_2) | instskip(NEXT) | instid1(VALU_DEP_4)
	v_lshlrev_b64 v[29:30], 3, v[4:5]
	v_mov_b32_e32 v6, v9
	s_lshl_b64 s[0:1], s[8:9], 8
	s_add_i32 s10, s19, -1
	s_delay_alu instid0(VALU_DEP_1) | instskip(SKIP_2) | instid1(VALU_DEP_2)
	v_mad_u64_u32 v[21:22], null, v23, s9, v[6:7]
	v_mov_b32_e32 v6, v11
	s_lshl_b64 s[8:9], s[24:25], 3
	v_mov_b32_e32 v9, v21
	s_delay_alu instid0(VALU_DEP_2) | instskip(NEXT) | instid1(VALU_DEP_2)
	v_mad_u64_u32 v[22:23], null, v45, s7, v[6:7]
	v_lshlrev_b64 v[27:28], 3, v[8:9]
	s_delay_alu instid0(VALU_DEP_2)
	v_mov_b32_e32 v11, v22
	v_mov_b32_e32 v21, 0
	;; [unrolled: 1-line block ×4, first 2 shown]
	v_lshlrev_b32_e32 v50, 3, v45
	v_lshlrev_b64 v[31:32], 3, v[10:11]
	s_delay_alu instid0(VALU_DEP_4)
	v_dual_mov_b32 v25, s4 :: v_dual_mov_b32 v24, v22
	v_mov_b32_e32 v34, v22
	v_dual_mov_b32 v36, v22 :: v_dual_mov_b32 v35, v21
	v_mov_b32_e32 v23, v21
	v_mov_b32_e32 v33, v21
	s_lshl_b64 s[4:5], s[6:7], 8
.LBB92_24:                              ; =>This Loop Header: Depth=1
                                        ;     Child Loop BB92_32 Depth 2
	v_add_co_u32 v4, vcc_lo, s16, v27
	v_add_co_ci_u32_e32 v5, vcc_lo, s17, v28, vcc_lo
	global_load_b64 v[37:38], v[4:5], off
	s_and_saveexec_b32 s23, s22
; %bb.25:                               ;   in Loop: Header=BB92_24 Depth=1
	v_add_co_u32 v4, vcc_lo, s20, v15
	v_add_co_ci_u32_e32 v5, vcc_lo, s21, v16, vcc_lo
	v_add_co_u32 v6, vcc_lo, s20, v29
	v_add_co_ci_u32_e32 v7, vcc_lo, s21, v30, vcc_lo
	s_clause 0x1
	global_load_b64 v[33:34], v[4:5], off offset:128
	global_load_b64 v[35:36], v[6:7], off offset:128
; %bb.26:                               ;   in Loop: Header=BB92_24 Depth=1
	s_or_b32 exec_lo, exec_lo, s23
	ds_load_b128 v[8:11], v49
	s_waitcnt vmcnt(2)
	v_dual_mov_b32 v7, v3 :: v_dual_mov_b32 v6, v2
	s_waitcnt vmcnt(1)
	v_dual_mov_b32 v40, v20 :: v_dual_mov_b32 v39, v19
	v_dual_mov_b32 v5, v1 :: v_dual_mov_b32 v4, v0
	s_add_u32 s16, s16, s0
	s_addc_u32 s17, s17, s1
	s_cmp_eq_u32 s11, s10
	s_cbranch_scc1 .LBB92_30
; %bb.27:                               ;   in Loop: Header=BB92_24 Depth=1
	v_dual_mov_b32 v7, v3 :: v_dual_mov_b32 v6, v2
	v_dual_mov_b32 v5, v1 :: v_dual_mov_b32 v4, v0
	s_and_saveexec_b32 s23, s22
; %bb.28:                               ;   in Loop: Header=BB92_24 Depth=1
	v_add_co_u32 v4, vcc_lo, s20, v15
	v_add_co_ci_u32_e32 v5, vcc_lo, s21, v16, vcc_lo
	s_delay_alu instid0(VALU_DEP_2) | instskip(NEXT) | instid1(VALU_DEP_2)
	v_add_co_u32 v6, vcc_lo, v4, s8
	v_add_co_ci_u32_e32 v7, vcc_lo, s9, v5, vcc_lo
	s_clause 0x1
	global_load_b64 v[4:5], v[4:5], off offset:256
	global_load_b64 v[6:7], v[6:7], off offset:256
; %bb.29:                               ;   in Loop: Header=BB92_24 Depth=1
	s_or_b32 exec_lo, exec_lo, s23
	v_add_co_u32 v39, vcc_lo, s16, v17
	v_add_co_ci_u32_e32 v40, vcc_lo, s17, v18, vcc_lo
	global_load_b64 v[39:40], v[39:40], off
.LBB92_30:                              ;   in Loop: Header=BB92_24 Depth=1
	s_waitcnt lgkmcnt(0)
	v_fma_f64 v[41:42], v[0:1], v[8:9], 0
	v_fma_f64 v[8:9], v[33:34], v[8:9], 0
	s_waitcnt vmcnt(0)
	s_barrier
	buffer_gl0_inv
	v_fma_f64 v[41:42], v[2:3], v[10:11], v[41:42]
	v_fma_f64 v[8:9], v[35:36], v[10:11], v[8:9]
	ds_store_2addr_b64 v48, v[41:42], v[8:9] offset1:16
	s_waitcnt lgkmcnt(0)
	s_barrier
	buffer_gl0_inv
	s_and_saveexec_b32 s23, s2
	s_cbranch_execz .LBB92_34
; %bb.31:                               ;   in Loop: Header=BB92_24 Depth=1
	ds_load_2addr_b64 v[8:11], v50 offset1:32
	v_add_nc_u32_e32 v55, 0x800, v50
	s_mov_b32 s24, 0
	ds_load_2addr_b64 v[51:54], v55 offset0:64 offset1:96
	s_waitcnt lgkmcnt(1)
	v_add_f64 v[8:9], v[8:9], 0
	s_delay_alu instid0(VALU_DEP_1) | instskip(SKIP_3) | instid1(VALU_DEP_1)
	v_add_f64 v[41:42], v[8:9], v[10:11]
	ds_load_2addr_b64 v[8:11], v50 offset0:64 offset1:96
	s_waitcnt lgkmcnt(0)
	v_add_f64 v[8:9], v[41:42], v[8:9]
	v_add_f64 v[41:42], v[8:9], v[10:11]
	ds_load_2addr_b64 v[8:11], v50 offset0:128 offset1:160
	s_waitcnt lgkmcnt(0)
	v_add_f64 v[8:9], v[41:42], v[8:9]
	s_delay_alu instid0(VALU_DEP_1)
	v_add_f64 v[41:42], v[8:9], v[10:11]
	ds_load_2addr_b64 v[8:11], v50 offset0:192 offset1:224
	s_waitcnt lgkmcnt(0)
	v_add_f64 v[8:9], v[41:42], v[8:9]
	ds_load_2addr_b64 v[41:44], v55 offset1:32
	v_add_f64 v[8:9], v[8:9], v[10:11]
	s_waitcnt lgkmcnt(0)
	s_delay_alu instid0(VALU_DEP_1) | instskip(SKIP_4) | instid1(VALU_DEP_1)
	v_add_f64 v[8:9], v[8:9], v[41:42]
	v_add_co_u32 v41, vcc_lo, v25, v31
	v_add_co_ci_u32_e32 v42, vcc_lo, v26, v32, vcc_lo
	global_load_b64 v[10:11], v[41:42], off
	v_add_f64 v[8:9], v[8:9], v[43:44]
	v_add_f64 v[8:9], v[8:9], v[51:52]
	s_delay_alu instid0(VALU_DEP_1) | instskip(SKIP_3) | instid1(VALU_DEP_1)
	v_add_f64 v[8:9], v[8:9], v[53:54]
	ds_load_2addr_b64 v[51:54], v55 offset0:128 offset1:160
	s_waitcnt lgkmcnt(0)
	v_add_f64 v[8:9], v[8:9], v[51:52]
	v_add_f64 v[8:9], v[8:9], v[53:54]
	ds_load_2addr_b64 v[51:54], v55 offset0:192 offset1:224
	s_waitcnt lgkmcnt(0)
	v_add_f64 v[8:9], v[8:9], v[51:52]
	s_delay_alu instid0(VALU_DEP_1) | instskip(NEXT) | instid1(VALU_DEP_1)
	v_add_f64 v[8:9], v[8:9], v[53:54]
	v_mul_f64 v[43:44], v[12:13], v[8:9]
.LBB92_32:                              ;   Parent Loop BB92_24 Depth=1
                                        ; =>  This Inner Loop Header: Depth=2
	s_waitcnt vmcnt(0)
	s_delay_alu instid0(VALU_DEP_1)
	v_add_f64 v[8:9], v[10:11], v[43:44]
	global_atomic_cmpswap_b64 v[8:9], v[41:42], v[8:11], off glc
	s_waitcnt vmcnt(0)
	v_cmp_eq_u64_e32 vcc_lo, v[8:9], v[10:11]
	v_dual_mov_b32 v11, v9 :: v_dual_mov_b32 v10, v8
	s_or_b32 s24, vcc_lo, s24
	s_delay_alu instid0(SALU_CYCLE_1)
	s_and_not1_b32 exec_lo, exec_lo, s24
	s_cbranch_execnz .LBB92_32
; %bb.33:                               ;   in Loop: Header=BB92_24 Depth=1
	s_or_b32 exec_lo, exec_lo, s24
	v_add_co_u32 v25, vcc_lo, v25, s4
	v_add_co_ci_u32_e32 v26, vcc_lo, s5, v26, vcc_lo
.LBB92_34:                              ;   in Loop: Header=BB92_24 Depth=1
	s_or_b32 exec_lo, exec_lo, s23
	v_fma_f64 v[0:1], v[19:20], v[0:1], v[21:22]
	v_fma_f64 v[2:3], v[19:20], v[2:3], v[23:24]
	s_add_u32 s20, s20, 0x100
	s_addc_u32 s21, s21, 0
	s_add_i32 s11, s11, 1
	s_delay_alu instid0(SALU_CYCLE_1) | instskip(NEXT) | instid1(VALU_DEP_2)
	s_cmp_eq_u32 s11, s19
	v_fma_f64 v[21:22], v[37:38], v[33:34], v[0:1]
	s_delay_alu instid0(VALU_DEP_2)
	v_fma_f64 v[23:24], v[37:38], v[35:36], v[2:3]
	s_cbranch_scc1 .LBB92_36
; %bb.35:                               ;   in Loop: Header=BB92_24 Depth=1
	v_dual_mov_b32 v0, v4 :: v_dual_mov_b32 v1, v5
	v_dual_mov_b32 v19, v39 :: v_dual_mov_b32 v20, v40
	;; [unrolled: 1-line block ×3, first 2 shown]
	s_branch .LBB92_24
.LBB92_36:
	v_mov_b32_e32 v6, v46
.LBB92_37:
	s_waitcnt vmcnt(1)
	s_delay_alu instid0(VALU_DEP_1)
	v_lshlrev_b32_e32 v0, 3, v6
	v_lshlrev_b32_e32 v1, 3, v47
	ds_store_b64 v0, v[21:22] offset:4096
	ds_store_b64 v1, v[23:24] offset:4096
	s_waitcnt vmcnt(0) lgkmcnt(0)
	s_barrier
	buffer_gl0_inv
	s_and_b32 exec_lo, exec_lo, s2
	s_cbranch_execz .LBB92_41
; %bb.38:
	v_cmp_gt_i32_e32 vcc_lo, s18, v45
	s_cmp_lt_u32 s13, s28
	s_cselect_b32 s0, -1, 0
	s_delay_alu instid0(SALU_CYCLE_1) | instskip(NEXT) | instid1(SALU_CYCLE_1)
	s_or_b32 s0, vcc_lo, s0
	s_and_b32 exec_lo, exec_lo, s0
	s_cbranch_execz .LBB92_41
; %bb.39:
	v_lshlrev_b32_e32 v11, 4, v45
	v_add_nc_u32_e32 v2, 1, v45
	v_add_nc_u32_e32 v3, 2, v45
	;; [unrolled: 1-line block ×3, first 2 shown]
	s_mul_i32 s0, s3, s7
	v_or_b32_e32 v10, v14, v11
	v_and_or_b32 v2, v2, 15, v11
	v_and_or_b32 v3, v3, 15, v11
	;; [unrolled: 1-line block ×3, first 2 shown]
	s_mul_hi_u32 s1, s3, s6
	v_lshlrev_b32_e32 v0, 3, v10
	v_lshlrev_b32_e32 v2, 3, v2
	;; [unrolled: 1-line block ×4, first 2 shown]
	s_add_i32 s0, s1, s0
	ds_load_b64 v[0:1], v0 offset:4096
	ds_load_b64 v[2:3], v2 offset:4096
	;; [unrolled: 1-line block ×4, first 2 shown]
	s_mul_i32 s1, s12, s6
	s_delay_alu instid0(SALU_CYCLE_1) | instskip(SKIP_1) | instid1(SALU_CYCLE_1)
	s_add_i32 s1, s0, s1
	s_mul_i32 s0, s3, s6
	s_lshl_b64 s[0:1], s[0:1], 3
	s_delay_alu instid0(SALU_CYCLE_1) | instskip(SKIP_4) | instid1(VALU_DEP_1)
	s_add_u32 s0, s14, s0
	s_addc_u32 s1, s15, s1
	s_waitcnt lgkmcnt(3)
	v_add_f64 v[0:1], v[0:1], 0
	s_waitcnt lgkmcnt(2)
	v_add_f64 v[0:1], v[0:1], v[2:3]
	v_add_nc_u32_e32 v2, 4, v45
	s_delay_alu instid0(VALU_DEP_1) | instskip(NEXT) | instid1(VALU_DEP_1)
	v_and_or_b32 v2, v2, 15, v11
	v_lshlrev_b32_e32 v2, 3, v2
	ds_load_b64 v[2:3], v2 offset:4096
	s_waitcnt lgkmcnt(2)
	v_add_f64 v[0:1], v[0:1], v[4:5]
	v_add_nc_u32_e32 v4, 5, v45
	v_add_nc_u32_e32 v5, 6, v45
	s_delay_alu instid0(VALU_DEP_2) | instskip(NEXT) | instid1(VALU_DEP_2)
	v_and_or_b32 v4, v4, 15, v11
	v_and_or_b32 v5, v5, 15, v11
	s_delay_alu instid0(VALU_DEP_2) | instskip(SKIP_4) | instid1(VALU_DEP_2)
	v_lshlrev_b32_e32 v4, 3, v4
	s_waitcnt lgkmcnt(1)
	v_add_f64 v[0:1], v[0:1], v[6:7]
	v_add_nc_u32_e32 v6, 7, v45
	v_lshlrev_b32_e32 v7, 3, v5
	v_and_or_b32 v6, v6, 15, v11
	s_delay_alu instid0(VALU_DEP_1)
	v_lshlrev_b32_e32 v8, 3, v6
	ds_load_b64 v[4:5], v4 offset:4096
	ds_load_b64 v[6:7], v7 offset:4096
	;; [unrolled: 1-line block ×3, first 2 shown]
	s_waitcnt lgkmcnt(3)
	v_add_f64 v[0:1], v[0:1], v[2:3]
	v_xor_b32_e32 v2, 8, v10
	s_delay_alu instid0(VALU_DEP_1)
	v_lshlrev_b32_e32 v2, 3, v2
	ds_load_b64 v[2:3], v2 offset:4096
	s_waitcnt lgkmcnt(3)
	v_add_f64 v[0:1], v[0:1], v[4:5]
	v_mad_u64_u32 v[4:5], null, v45, s6, 0
	s_waitcnt lgkmcnt(2)
	s_delay_alu instid0(VALU_DEP_2) | instskip(SKIP_2) | instid1(VALU_DEP_2)
	v_add_f64 v[0:1], v[0:1], v[6:7]
	v_add_nc_u32_e32 v6, 9, v45
	v_add_nc_u32_e32 v7, 10, v45
	v_and_or_b32 v6, v6, 15, v11
	s_delay_alu instid0(VALU_DEP_2) | instskip(NEXT) | instid1(VALU_DEP_1)
	v_and_or_b32 v7, v7, 15, v11
	v_lshlrev_b32_e32 v10, 3, v7
	s_waitcnt lgkmcnt(1)
	v_add_f64 v[0:1], v[0:1], v[8:9]
	v_lshlrev_b32_e32 v9, 3, v6
	v_mad_u64_u32 v[6:7], null, v45, s7, v[5:6]
	v_add_nc_u32_e32 v8, 11, v45
	s_delay_alu instid0(VALU_DEP_1) | instskip(NEXT) | instid1(VALU_DEP_3)
	v_and_or_b32 v8, v8, 15, v11
	v_dual_mov_b32 v5, v6 :: v_dual_add_nc_u32 v6, 12, v45
	s_delay_alu instid0(VALU_DEP_2) | instskip(SKIP_4) | instid1(VALU_DEP_1)
	v_lshlrev_b32_e32 v14, 3, v8
	ds_load_b64 v[7:8], v9 offset:4096
	ds_load_b64 v[9:10], v10 offset:4096
	;; [unrolled: 1-line block ×3, first 2 shown]
	v_and_or_b32 v6, v6, 15, v11
	v_lshlrev_b32_e32 v6, 3, v6
	s_waitcnt lgkmcnt(3)
	v_add_f64 v[0:1], v[0:1], v[2:3]
	v_lshlrev_b64 v[2:3], 3, v[4:5]
	s_delay_alu instid0(VALU_DEP_1) | instskip(NEXT) | instid1(VALU_DEP_2)
	v_add_co_u32 v4, vcc_lo, s0, v2
	v_add_co_ci_u32_e32 v5, vcc_lo, s1, v3, vcc_lo
	s_mov_b32 s0, 0
	global_load_b64 v[2:3], v[4:5], off
	s_waitcnt lgkmcnt(2)
	v_add_f64 v[0:1], v[0:1], v[7:8]
	ds_load_b64 v[6:7], v6 offset:4096
	v_add_nc_u32_e32 v8, 13, v45
	s_delay_alu instid0(VALU_DEP_1) | instskip(NEXT) | instid1(VALU_DEP_1)
	v_and_or_b32 v8, v8, 15, v11
	v_lshlrev_b32_e32 v8, 3, v8
	s_waitcnt lgkmcnt(2)
	v_add_f64 v[0:1], v[0:1], v[9:10]
	v_add_nc_u32_e32 v9, 14, v45
	v_add_nc_u32_e32 v10, -1, v45
	s_delay_alu instid0(VALU_DEP_2) | instskip(NEXT) | instid1(VALU_DEP_2)
	v_and_or_b32 v9, v9, 15, v11
	v_and_or_b32 v10, v10, 15, v11
	s_delay_alu instid0(VALU_DEP_2) | instskip(SKIP_2) | instid1(VALU_DEP_3)
	v_lshlrev_b32_e32 v11, 3, v9
	s_waitcnt lgkmcnt(1)
	v_add_f64 v[0:1], v[0:1], v[14:15]
	v_lshlrev_b32_e32 v14, 3, v10
	ds_load_b64 v[8:9], v8 offset:4096
	ds_load_b64 v[10:11], v11 offset:4096
	ds_load_b64 v[14:15], v14 offset:4096
	s_waitcnt lgkmcnt(3)
	v_add_f64 v[0:1], v[0:1], v[6:7]
	s_waitcnt lgkmcnt(2)
	s_delay_alu instid0(VALU_DEP_1) | instskip(SKIP_1) | instid1(VALU_DEP_1)
	v_add_f64 v[0:1], v[0:1], v[8:9]
	s_waitcnt lgkmcnt(1)
	v_add_f64 v[0:1], v[0:1], v[10:11]
	s_waitcnt lgkmcnt(0)
	s_delay_alu instid0(VALU_DEP_1) | instskip(NEXT) | instid1(VALU_DEP_1)
	v_add_f64 v[0:1], v[0:1], v[14:15]
	v_mul_f64 v[6:7], v[12:13], v[0:1]
.LBB92_40:                              ; =>This Inner Loop Header: Depth=1
	s_waitcnt vmcnt(0)
	s_delay_alu instid0(VALU_DEP_1)
	v_add_f64 v[0:1], v[2:3], v[6:7]
	global_atomic_cmpswap_b64 v[0:1], v[4:5], v[0:3], off glc
	s_waitcnt vmcnt(0)
	v_cmp_eq_u64_e32 vcc_lo, v[0:1], v[2:3]
	v_dual_mov_b32 v3, v1 :: v_dual_mov_b32 v2, v0
	s_or_b32 s0, vcc_lo, s0
	s_delay_alu instid0(SALU_CYCLE_1)
	s_and_not1_b32 exec_lo, exec_lo, s0
	s_cbranch_execnz .LBB92_40
.LBB92_41:
	s_endpgm
	.section	.rodata,"a",@progbits
	.p2align	6, 0x0
	.amdhsa_kernel _ZL62rocblas_symv_kernel_upper_double_buffered_non_diagonal_genericILi32ELi8ELi2ELi0E24rocblas_internal_val_ptrIdEPKdPdEvbiT3_lT4_lllS6_lllT5_lllii
		.amdhsa_group_segment_fixed_size 8448
		.amdhsa_private_segment_fixed_size 0
		.amdhsa_kernarg_size 384
		.amdhsa_user_sgpr_count 13
		.amdhsa_user_sgpr_dispatch_ptr 0
		.amdhsa_user_sgpr_queue_ptr 0
		.amdhsa_user_sgpr_kernarg_segment_ptr 1
		.amdhsa_user_sgpr_dispatch_id 0
		.amdhsa_user_sgpr_private_segment_size 0
		.amdhsa_wavefront_size32 1
		.amdhsa_uses_dynamic_stack 0
		.amdhsa_enable_private_segment 0
		.amdhsa_system_sgpr_workgroup_id_x 1
		.amdhsa_system_sgpr_workgroup_id_y 1
		.amdhsa_system_sgpr_workgroup_id_z 1
		.amdhsa_system_sgpr_workgroup_info 0
		.amdhsa_system_vgpr_workitem_id 1
		.amdhsa_next_free_vgpr 56
		.amdhsa_next_free_sgpr 40
		.amdhsa_reserve_vcc 1
		.amdhsa_float_round_mode_32 0
		.amdhsa_float_round_mode_16_64 0
		.amdhsa_float_denorm_mode_32 3
		.amdhsa_float_denorm_mode_16_64 3
		.amdhsa_dx10_clamp 1
		.amdhsa_ieee_mode 1
		.amdhsa_fp16_overflow 0
		.amdhsa_workgroup_processor_mode 1
		.amdhsa_memory_ordered 1
		.amdhsa_forward_progress 0
		.amdhsa_shared_vgpr_count 0
		.amdhsa_exception_fp_ieee_invalid_op 0
		.amdhsa_exception_fp_denorm_src 0
		.amdhsa_exception_fp_ieee_div_zero 0
		.amdhsa_exception_fp_ieee_overflow 0
		.amdhsa_exception_fp_ieee_underflow 0
		.amdhsa_exception_fp_ieee_inexact 0
		.amdhsa_exception_int_div_zero 0
	.end_amdhsa_kernel
	.section	.text._ZL62rocblas_symv_kernel_upper_double_buffered_non_diagonal_genericILi32ELi8ELi2ELi0E24rocblas_internal_val_ptrIdEPKdPdEvbiT3_lT4_lllS6_lllT5_lllii,"axG",@progbits,_ZL62rocblas_symv_kernel_upper_double_buffered_non_diagonal_genericILi32ELi8ELi2ELi0E24rocblas_internal_val_ptrIdEPKdPdEvbiT3_lT4_lllS6_lllT5_lllii,comdat
.Lfunc_end92:
	.size	_ZL62rocblas_symv_kernel_upper_double_buffered_non_diagonal_genericILi32ELi8ELi2ELi0E24rocblas_internal_val_ptrIdEPKdPdEvbiT3_lT4_lllS6_lllT5_lllii, .Lfunc_end92-_ZL62rocblas_symv_kernel_upper_double_buffered_non_diagonal_genericILi32ELi8ELi2ELi0E24rocblas_internal_val_ptrIdEPKdPdEvbiT3_lT4_lllS6_lllT5_lllii
                                        ; -- End function
	.section	.AMDGPU.csdata,"",@progbits
; Kernel info:
; codeLenInByte = 3168
; NumSgprs: 42
; NumVgprs: 56
; ScratchSize: 0
; MemoryBound: 1
; FloatMode: 240
; IeeeMode: 1
; LDSByteSize: 8448 bytes/workgroup (compile time only)
; SGPRBlocks: 5
; VGPRBlocks: 6
; NumSGPRsForWavesPerEU: 42
; NumVGPRsForWavesPerEU: 56
; Occupancy: 16
; WaveLimiterHint : 0
; COMPUTE_PGM_RSRC2:SCRATCH_EN: 0
; COMPUTE_PGM_RSRC2:USER_SGPR: 13
; COMPUTE_PGM_RSRC2:TRAP_HANDLER: 0
; COMPUTE_PGM_RSRC2:TGID_X_EN: 1
; COMPUTE_PGM_RSRC2:TGID_Y_EN: 1
; COMPUTE_PGM_RSRC2:TGID_Z_EN: 1
; COMPUTE_PGM_RSRC2:TIDIG_COMP_CNT: 1
	.section	.text._ZL62rocblas_symv_kernel_upper_double_buffered_non_diagonal_genericILi32ELi8ELi2ELi1E24rocblas_internal_val_ptrIdEPKdPdEvbiT3_lT4_lllS6_lllT5_lllii,"axG",@progbits,_ZL62rocblas_symv_kernel_upper_double_buffered_non_diagonal_genericILi32ELi8ELi2ELi1E24rocblas_internal_val_ptrIdEPKdPdEvbiT3_lT4_lllS6_lllT5_lllii,comdat
	.globl	_ZL62rocblas_symv_kernel_upper_double_buffered_non_diagonal_genericILi32ELi8ELi2ELi1E24rocblas_internal_val_ptrIdEPKdPdEvbiT3_lT4_lllS6_lllT5_lllii ; -- Begin function _ZL62rocblas_symv_kernel_upper_double_buffered_non_diagonal_genericILi32ELi8ELi2ELi1E24rocblas_internal_val_ptrIdEPKdPdEvbiT3_lT4_lllS6_lllT5_lllii
	.p2align	8
	.type	_ZL62rocblas_symv_kernel_upper_double_buffered_non_diagonal_genericILi32ELi8ELi2ELi1E24rocblas_internal_val_ptrIdEPKdPdEvbiT3_lT4_lllS6_lllT5_lllii,@function
_ZL62rocblas_symv_kernel_upper_double_buffered_non_diagonal_genericILi32ELi8ELi2ELi1E24rocblas_internal_val_ptrIdEPKdPdEvbiT3_lT4_lllS6_lllT5_lllii: ; @_ZL62rocblas_symv_kernel_upper_double_buffered_non_diagonal_genericILi32ELi8ELi2ELi1E24rocblas_internal_val_ptrIdEPKdPdEvbiT3_lT4_lllS6_lllT5_lllii
; %bb.0:
	s_clause 0x1
	s_load_b32 s2, s[0:1], 0x0
	s_load_b512 s[16:31], s[0:1], 0x8
	s_waitcnt lgkmcnt(0)
	s_bitcmp1_b32 s2, 0
	v_dual_mov_b32 v12, s16 :: v_dual_mov_b32 v13, s17
	s_cselect_b32 s2, -1, 0
	s_delay_alu instid0(SALU_CYCLE_1)
	s_and_b32 vcc_lo, exec_lo, s2
	s_cbranch_vccnz .LBB93_2
; %bb.1:
	s_mul_i32 s2, s15, s19
	s_mul_hi_u32 s3, s15, s18
	s_delay_alu instid0(SALU_CYCLE_1) | instskip(SKIP_1) | instid1(SALU_CYCLE_1)
	s_add_i32 s3, s3, s2
	s_mul_i32 s2, s15, s18
	s_lshl_b64 s[2:3], s[2:3], 3
	s_delay_alu instid0(SALU_CYCLE_1) | instskip(SKIP_1) | instid1(SALU_CYCLE_1)
	s_add_u32 s2, s16, s2
	s_addc_u32 s3, s17, s3
	v_dual_mov_b32 v1, s2 :: v_dual_mov_b32 v2, s3
	flat_load_b64 v[12:13], v[1:2]
.LBB93_2:
	s_mov_b32 s2, exec_lo
	s_waitcnt vmcnt(0) lgkmcnt(0)
	v_cmpx_neq_f64_e32 0, v[12:13]
	s_cbranch_execz .LBB93_65
; %bb.3:
	s_load_b32 s5, s[0:1], 0x84
	s_add_u32 s2, s0, 0x80
	s_addc_u32 s3, s1, 0
	s_cmp_eq_u32 s13, 0
	s_waitcnt lgkmcnt(0)
	v_cvt_f32_u32_e32 v1, s5
	s_delay_alu instid0(VALU_DEP_1) | instskip(SKIP_2) | instid1(VALU_DEP_1)
	v_rcp_iflag_f32_e32 v1, v1
	s_waitcnt_depctr 0xfff
	v_mul_f32_e32 v1, 0x4f7ffffe, v1
	v_cvt_u32_f32_e32 v1, v1
	s_delay_alu instid0(VALU_DEP_1)
	v_readfirstlane_b32 s4, v1
	s_cbranch_scc1 .LBB93_65
; %bb.4:
	s_sub_i32 s6, 0, s5
	s_delay_alu instid0(VALU_DEP_1) | instid1(SALU_CYCLE_1)
	s_mul_i32 s6, s6, s4
	s_delay_alu instid0(SALU_CYCLE_1) | instskip(NEXT) | instid1(SALU_CYCLE_1)
	s_mul_hi_u32 s6, s4, s6
	s_add_i32 s4, s4, s6
	s_delay_alu instid0(SALU_CYCLE_1) | instskip(NEXT) | instid1(SALU_CYCLE_1)
	s_mul_hi_u32 s4, s13, s4
	s_mul_i32 s6, s4, s5
	s_add_i32 s7, s4, 1
	s_sub_i32 s6, s13, s6
	s_delay_alu instid0(SALU_CYCLE_1)
	s_sub_i32 s8, s6, s5
	s_cmp_ge_u32 s6, s5
	s_cselect_b32 s4, s7, s4
	s_cselect_b32 s6, s8, s6
	s_add_i32 s7, s4, 1
	s_cmp_ge_u32 s6, s5
	s_cselect_b32 s4, s7, s4
	s_add_i32 s6, s5, -1
	s_mov_b32 s19, s4
	s_cmp_lg_u32 s14, s6
	s_cbranch_scc1 .LBB93_6
; %bb.5:
	s_mul_i32 s5, s4, s5
	s_delay_alu instid0(SALU_CYCLE_1) | instskip(NEXT) | instid1(SALU_CYCLE_1)
	s_sub_i32 s5, s13, s5
	s_add_i32 s19, s5, s4
.LBB93_6:
	s_delay_alu instid0(SALU_CYCLE_1)
	s_cmp_eq_u32 s19, 0
	s_cbranch_scc1 .LBB93_65
; %bb.7:
	s_load_b128 s[8:11], s[0:1], 0x48
	v_and_b32_e32 v43, 0x3ff, v0
	v_bfe_u32 v1, v0, 10, 10
	s_delay_alu instid0(VALU_DEP_1)
	v_lshl_add_u32 v0, v1, 5, v43
	s_waitcnt lgkmcnt(0)
	s_mul_i32 s5, s15, s11
	s_mul_hi_u32 s7, s15, s10
	s_mul_i32 s6, s15, s10
	s_load_b32 s10, s[2:3], 0x0
	s_add_i32 s7, s7, s5
	s_delay_alu instid0(SALU_CYCLE_1) | instskip(NEXT) | instid1(SALU_CYCLE_1)
	s_lshl_b64 s[6:7], s[6:7], 3
	s_add_u32 s5, s28, s6
	s_addc_u32 s6, s29, s7
	s_lshl_b64 s[2:3], s[30:31], 3
	s_mov_b32 s7, -1
	s_add_u32 s30, s5, s2
	s_addc_u32 s31, s6, s3
	s_lshl_b32 s12, s13, 5
	s_delay_alu instid0(SALU_CYCLE_1)
	s_mul_i32 s2, s12, s9
	s_mul_hi_u32 s3, s12, s8
	s_ashr_i32 s18, s12, 31
	s_add_i32 s3, s3, s2
	s_mul_i32 s5, s18, s8
	s_mul_i32 s2, s12, s8
	s_add_i32 s3, s3, s5
	s_delay_alu instid0(SALU_CYCLE_1) | instskip(NEXT) | instid1(SALU_CYCLE_1)
	s_lshl_b64 s[2:3], s[2:3], 3
	s_add_u32 s5, s30, s2
	s_addc_u32 s6, s31, s3
	s_waitcnt lgkmcnt(0)
	s_add_i32 s28, s10, -1
	v_cmp_eq_u32_e64 s2, 0, v1
	s_cmp_lg_u32 s13, s28
	s_cselect_b32 s3, -1, 0
	s_delay_alu instid0(SALU_CYCLE_1)
	s_and_b32 vcc_lo, exec_lo, s3
	s_cbranch_vccz .LBB93_11
; %bb.8:
	s_and_saveexec_b32 s7, s2
	s_cbranch_execz .LBB93_10
; %bb.9:
	v_mad_u64_u32 v[1:2], null, v43, s8, 0
	s_delay_alu instid0(VALU_DEP_1) | instskip(NEXT) | instid1(VALU_DEP_1)
	v_mad_u64_u32 v[3:4], null, v43, s9, v[2:3]
	v_dual_mov_b32 v2, v3 :: v_dual_lshlrev_b32 v3, 3, v43
	s_delay_alu instid0(VALU_DEP_1) | instskip(NEXT) | instid1(VALU_DEP_1)
	v_lshlrev_b64 v[1:2], 3, v[1:2]
	v_add_co_u32 v1, vcc_lo, s5, v1
	s_delay_alu instid0(VALU_DEP_2)
	v_add_co_ci_u32_e32 v2, vcc_lo, s6, v2, vcc_lo
	global_load_b64 v[1:2], v[1:2], off
	s_waitcnt vmcnt(0)
	ds_store_b64 v3, v[1:2] offset:8192
.LBB93_10:
	s_or_b32 exec_lo, exec_lo, s7
	s_mov_b32 s7, 0
.LBB93_11:
	s_load_b32 s29, s[0:1], 0x78
	v_and_b32_e32 v14, 15, v43
	v_lshrrev_b32_e32 v4, 4, v0
	s_and_not1_b32 vcc_lo, exec_lo, s7
	s_cbranch_vccnz .LBB93_17
; %bb.12:
	s_and_saveexec_b32 s7, s2
	s_cbranch_execz .LBB93_16
; %bb.13:
	v_mov_b32_e32 v0, 0
	v_mov_b32_e32 v1, 0
	s_mov_b32 s10, exec_lo
	s_waitcnt lgkmcnt(0)
	v_cmpx_gt_i32_e64 s29, v43
	s_cbranch_execz .LBB93_15
; %bb.14:
	v_mad_u64_u32 v[0:1], null, v43, s8, 0
	s_delay_alu instid0(VALU_DEP_1) | instskip(NEXT) | instid1(VALU_DEP_1)
	v_mad_u64_u32 v[2:3], null, v43, s9, v[1:2]
	v_mov_b32_e32 v1, v2
	s_delay_alu instid0(VALU_DEP_1) | instskip(NEXT) | instid1(VALU_DEP_1)
	v_lshlrev_b64 v[0:1], 3, v[0:1]
	v_add_co_u32 v0, vcc_lo, s5, v0
	s_delay_alu instid0(VALU_DEP_2)
	v_add_co_ci_u32_e32 v1, vcc_lo, s6, v1, vcc_lo
	global_load_b64 v[0:1], v[0:1], off
.LBB93_15:
	s_or_b32 exec_lo, exec_lo, s10
	v_lshlrev_b32_e32 v2, 3, v43
	s_waitcnt vmcnt(0)
	ds_store_b64 v2, v[0:1] offset:8192
.LBB93_16:
	s_or_b32 exec_lo, exec_lo, s7
	s_mov_b32 s6, 0
	s_delay_alu instid0(SALU_CYCLE_1) | instskip(SKIP_1) | instid1(VALU_DEP_1)
	s_mov_b32 s7, s6
	v_lshlrev_b32_e32 v0, 3, v14
	v_lshl_or_b32 v2, v4, 8, v0
	v_dual_mov_b32 v0, s6 :: v_dual_mov_b32 v1, s7
	s_delay_alu instid0(VALU_DEP_2)
	v_add_nc_u32_e32 v3, 0x1000, v2
	ds_store_2addr_b64 v2, v[0:1], v[0:1] offset1:16
	ds_store_2addr_b64 v3, v[0:1], v[0:1] offset1:16
.LBB93_17:
	s_delay_alu instid0(VALU_DEP_1)
	v_lshlrev_b32_e32 v5, 1, v4
	v_mov_b32_e32 v15, 0
	s_mul_i32 s5, s15, s27
	s_mul_hi_u32 s6, s15, s26
	s_waitcnt lgkmcnt(0)
	s_lshr_b32 s10, s29, 31
	s_add_i32 s7, s6, s5
	v_mad_u64_u32 v[0:1], null, v5, s24, v[14:15]
	s_mul_i32 s6, s15, s26
	s_add_i32 s5, s29, s10
	s_lshl_b64 s[6:7], s[6:7], 3
	s_ashr_i32 s26, s5, 1
	s_add_u32 s5, s20, s6
	s_addc_u32 s10, s21, s7
	s_lshl_b64 s[6:7], s[22:23], 3
	s_load_b64 s[16:17], s[0:1], 0x58
	v_mad_u64_u32 v[2:3], null, v5, s25, v[1:2]
	s_add_u32 s5, s5, s6
	s_mul_i32 s6, s12, s25
	s_mul_hi_u32 s11, s12, s24
	s_addc_u32 s10, s10, s7
	s_add_i32 s6, s11, s6
	s_mul_i32 s7, s18, s24
	s_mul_i32 s14, s14, s4
	s_add_i32 s7, s6, s7
	s_mul_i32 s6, s12, s24
	v_mov_b32_e32 v1, v2
	s_lshl_b64 s[6:7], s[6:7], 3
	v_cndmask_b32_e64 v44, 0, 1, s3
	s_add_u32 s6, s5, s6
	s_addc_u32 s7, s10, s7
	s_lshl_b32 s10, s14, 5
	v_lshlrev_b64 v[15:16], 3, v[0:1]
	s_ashr_i32 s11, s10, 31
	s_waitcnt lgkmcnt(0)
	s_lshl_b64 s[4:5], s[10:11], 3
	s_barrier
	s_add_u32 s20, s6, s4
	s_addc_u32 s21, s7, s5
	s_and_not1_b32 vcc_lo, exec_lo, s3
	buffer_gl0_inv
	s_cbranch_vccnz .LBB93_19
; %bb.18:
	v_add_co_u32 v0, vcc_lo, s20, v15
	v_add_co_ci_u32_e32 v1, vcc_lo, s21, v16, vcc_lo
	s_lshl_b64 s[4:5], s[24:25], 3
	s_delay_alu instid0(VALU_DEP_2) | instid1(SALU_CYCLE_1)
	v_add_co_u32 v2, vcc_lo, v0, s4
	s_delay_alu instid0(VALU_DEP_2)
	v_add_co_ci_u32_e32 v3, vcc_lo, s5, v1, vcc_lo
	s_clause 0x1
	global_load_b64 v[0:1], v[0:1], off
	global_load_b64 v[2:3], v[2:3], off
	v_cmp_le_i32_e64 s3, s26, v4
	s_cbranch_execz .LBB93_20
	s_branch .LBB93_27
.LBB93_19:
                                        ; implicit-def: $vgpr0_vgpr1_vgpr2_vgpr3
	v_cmp_le_i32_e64 s3, s26, v4
.LBB93_20:
                                        ; implicit-def: $vgpr0_vgpr1_vgpr2_vgpr3
	s_delay_alu instid0(VALU_DEP_1) | instskip(NEXT) | instid1(SALU_CYCLE_1)
	s_and_saveexec_b32 s4, s3
	s_xor_b32 s3, exec_lo, s4
	s_cbranch_execz .LBB93_24
; %bb.21:
	s_mov_b32 s4, 0
	s_delay_alu instid0(SALU_CYCLE_1)
	s_mov_b32 s5, s4
	s_mov_b32 s6, s4
	;; [unrolled: 1-line block ×3, first 2 shown]
	s_waitcnt vmcnt(0)
	v_dual_mov_b32 v0, s4 :: v_dual_mov_b32 v1, s5
	v_dual_mov_b32 v2, s6 :: v_dual_mov_b32 v3, s7
	s_mov_b32 s4, exec_lo
	v_cmpx_eq_u32_e64 s26, v4
	s_cbranch_execz .LBB93_23
; %bb.22:
	v_add_co_u32 v0, vcc_lo, s20, v15
	v_add_co_ci_u32_e32 v1, vcc_lo, s21, v16, vcc_lo
	v_mov_b32_e32 v2, 0
	global_load_b64 v[0:1], v[0:1], off
	v_mov_b32_e32 v3, v2
.LBB93_23:
	s_or_b32 exec_lo, exec_lo, s4
.LBB93_24:
	s_and_not1_saveexec_b32 s3, s3
	s_cbranch_execz .LBB93_26
; %bb.25:
	s_waitcnt vmcnt(0)
	v_add_co_u32 v0, vcc_lo, s20, v15
	v_add_co_ci_u32_e32 v1, vcc_lo, s21, v16, vcc_lo
	s_lshl_b64 s[4:5], s[24:25], 3
	s_delay_alu instid0(VALU_DEP_2) | instid1(SALU_CYCLE_1)
	v_add_co_u32 v2, vcc_lo, v0, s4
	s_delay_alu instid0(VALU_DEP_2)
	v_add_co_ci_u32_e32 v3, vcc_lo, s5, v1, vcc_lo
	s_clause 0x1
	global_load_b64 v[0:1], v[0:1], off
	global_load_b64 v[2:3], v[2:3], off
.LBB93_26:
	s_or_b32 exec_lo, exec_lo, s3
.LBB93_27:
	s_clause 0x1
	s_load_b64 s[22:23], s[0:1], 0x70
	s_load_b128 s[4:7], s[0:1], 0x60
	v_lshl_or_b32 v45, v4, 5, v14
	s_waitcnt lgkmcnt(0)
	s_mul_i32 s1, s15, s23
	s_mul_hi_u32 s3, s15, s22
	s_mul_i32 s0, s15, s22
	s_add_i32 s1, s3, s1
	s_delay_alu instid0(SALU_CYCLE_1) | instskip(NEXT) | instid1(SALU_CYCLE_1)
	s_lshl_b64 s[0:1], s[0:1], 3
	s_add_u32 s3, s16, s0
	s_addc_u32 s14, s17, s1
	s_lshl_b64 s[0:1], s[4:5], 3
	s_mov_b32 s4, 0
	s_add_u32 s3, s3, s0
	s_addc_u32 s14, s14, s1
	s_cmp_gt_i32 s19, 0
	s_cbranch_scc1 .LBB93_29
; %bb.28:
	v_lshl_or_b32 v6, v4, 5, v14
	s_mov_b64 s[0:1], 0
	s_delay_alu instid0(VALU_DEP_1)
	v_or_b32_e32 v46, 16, v6
	s_branch .LBB93_30
.LBB93_29:
	s_mov_b32 s4, -1
                                        ; implicit-def: $sgpr0_sgpr1
                                        ; implicit-def: $vgpr6
                                        ; implicit-def: $vgpr46
.LBB93_30:
	v_dual_mov_b32 v24, s1 :: v_dual_mov_b32 v23, s0
	v_dual_mov_b32 v22, s1 :: v_dual_mov_b32 v21, s0
	s_and_not1_b32 vcc_lo, exec_lo, s4
	s_cbranch_vccnz .LBB93_61
; %bb.31:
	v_mad_u64_u32 v[6:7], null, v14, s8, 0
	s_mul_i32 s0, s10, s9
	s_mul_hi_u32 s1, s10, s8
	s_mul_i32 s4, s11, s8
	s_add_i32 s1, s1, s0
	s_mul_i32 s0, s10, s8
	s_add_i32 s1, s1, s4
	s_delay_alu instid0(VALU_DEP_1)
	v_mad_u64_u32 v[8:9], null, v14, s9, v[7:8]
	s_lshl_b64 s[0:1], s[0:1], 3
	v_or_b32_e32 v21, 16, v14
	s_add_u32 s15, s30, s0
	s_addc_u32 s16, s31, s1
	s_mul_i32 s0, s10, s7
	s_mul_hi_u32 s1, s10, s6
	s_delay_alu instid0(VALU_DEP_2) | instskip(SKIP_3) | instid1(VALU_DEP_2)
	v_mov_b32_e32 v7, v8
	v_mad_u64_u32 v[8:9], null, v43, s6, 0
	s_add_i32 s0, s1, s0
	s_mul_i32 s1, s11, s6
	v_lshlrev_b64 v[17:18], 3, v[6:7]
	s_add_i32 s1, s0, s1
	s_mul_i32 s0, s10, s6
	v_lshl_add_u32 v48, v5, 3, 0x2000
	s_lshl_b64 s[0:1], s[0:1], 3
	v_or_b32_e32 v46, 16, v45
	v_add_co_u32 v6, vcc_lo, s15, v17
	v_add_co_ci_u32_e32 v7, vcc_lo, s16, v18, vcc_lo
	s_add_u32 s10, s3, s0
	s_addc_u32 s11, s14, s1
	v_cmp_le_i32_e64 s0, s26, v4
	global_load_b64 v[19:20], v[6:7], off
	v_mad_u64_u32 v[6:7], null, v21, s8, 0
	v_cmp_eq_u32_e64 s1, s26, v4
	s_lshl_b64 s[4:5], s[8:9], 8
	s_add_i32 s17, s19, -1
	s_mov_b32 s22, 0
	v_dual_mov_b32 v26, s11 :: v_dual_mov_b32 v25, s10
	s_delay_alu instid0(VALU_DEP_3) | instskip(SKIP_3) | instid1(VALU_DEP_1)
	v_mad_u64_u32 v[10:11], null, v21, s9, v[7:8]
	v_mov_b32_e32 v7, v9
	s_lshl_b64 s[8:9], s[6:7], 8
	s_lshl_b64 s[10:11], s[24:25], 3
	v_mad_u64_u32 v[21:22], null, v43, s7, v[7:8]
	s_delay_alu instid0(VALU_DEP_1) | instskip(SKIP_2) | instid1(VALU_DEP_2)
	v_mov_b32_e32 v9, v21
	v_mov_b32_e32 v21, 0
	v_dual_mov_b32 v22, 0 :: v_dual_mov_b32 v7, v10
	v_dual_mov_b32 v4, v21 :: v_dual_lshlrev_b32 v47, 3, v45
	v_lshlrev_b32_e32 v49, 3, v43
	v_lshlrev_b64 v[29:30], 3, v[8:9]
	s_delay_alu instid0(VALU_DEP_4)
	v_lshlrev_b64 v[27:28], 3, v[6:7]
	v_mov_b32_e32 v6, v21
	v_dual_mov_b32 v24, v22 :: v_dual_mov_b32 v23, v21
	v_mov_b32_e32 v7, v22
	v_mov_b32_e32 v5, v22
.LBB93_32:                              ; =>This Loop Header: Depth=1
                                        ;     Child Loop BB93_56 Depth 2
	v_add_co_u32 v8, vcc_lo, s15, v27
	v_add_co_ci_u32_e32 v9, vcc_lo, s16, v28, vcc_lo
	v_cmp_ne_u32_e32 vcc_lo, 1, v44
	global_load_b64 v[31:32], v[8:9], off
	s_cbranch_vccnz .LBB93_34
; %bb.33:                               ;   in Loop: Header=BB93_32 Depth=1
	v_add_co_u32 v8, vcc_lo, s20, v15
	v_add_co_ci_u32_e32 v9, vcc_lo, s21, v16, vcc_lo
	s_delay_alu instid0(VALU_DEP_2) | instskip(NEXT) | instid1(VALU_DEP_2)
	v_add_co_u32 v10, vcc_lo, v8, s10
	v_add_co_ci_u32_e32 v11, vcc_lo, s11, v9, vcc_lo
	s_clause 0x1
	global_load_b64 v[33:34], v[8:9], off offset:128
	global_load_b64 v[35:36], v[10:11], off offset:128
	s_cbranch_execz .LBB93_35
	s_branch .LBB93_42
.LBB93_34:                              ;   in Loop: Header=BB93_32 Depth=1
                                        ; implicit-def: $vgpr35_vgpr36
                                        ; implicit-def: $vgpr33_vgpr34
.LBB93_35:                              ;   in Loop: Header=BB93_32 Depth=1
	s_and_saveexec_b32 s23, s0
	s_delay_alu instid0(SALU_CYCLE_1)
	s_xor_b32 s23, exec_lo, s23
	s_cbranch_execz .LBB93_39
; %bb.36:                               ;   in Loop: Header=BB93_32 Depth=1
	s_and_saveexec_b32 s24, s1
	s_cbranch_execz .LBB93_38
; %bb.37:                               ;   in Loop: Header=BB93_32 Depth=1
	v_add_co_u32 v6, vcc_lo, s20, v15
	v_add_co_ci_u32_e32 v7, vcc_lo, s21, v16, vcc_lo
	global_load_b64 v[6:7], v[6:7], off offset:128
.LBB93_38:                              ;   in Loop: Header=BB93_32 Depth=1
	s_or_b32 exec_lo, exec_lo, s24
.LBB93_39:                              ;   in Loop: Header=BB93_32 Depth=1
	s_and_not1_saveexec_b32 s23, s23
; %bb.40:                               ;   in Loop: Header=BB93_32 Depth=1
	v_add_co_u32 v4, vcc_lo, s20, v15
	v_add_co_ci_u32_e32 v5, vcc_lo, s21, v16, vcc_lo
	s_delay_alu instid0(VALU_DEP_2) | instskip(NEXT) | instid1(VALU_DEP_2)
	v_add_co_u32 v8, vcc_lo, v4, s10
	v_add_co_ci_u32_e32 v9, vcc_lo, s11, v5, vcc_lo
	s_clause 0x1
	global_load_b64 v[6:7], v[4:5], off offset:128
	global_load_b64 v[4:5], v[8:9], off offset:128
; %bb.41:                               ;   in Loop: Header=BB93_32 Depth=1
	s_or_b32 exec_lo, exec_lo, s23
	s_waitcnt vmcnt(0)
	v_dual_mov_b32 v34, v7 :: v_dual_mov_b32 v33, v6
	v_dual_mov_b32 v36, v5 :: v_dual_mov_b32 v35, v4
.LBB93_42:                              ;   in Loop: Header=BB93_32 Depth=1
	ds_load_b128 v[8:11], v48
	s_waitcnt vmcnt(2)
	v_dual_mov_b32 v7, v3 :: v_dual_mov_b32 v6, v2
	s_waitcnt vmcnt(1)
	v_dual_mov_b32 v38, v20 :: v_dual_mov_b32 v37, v19
	v_dual_mov_b32 v5, v1 :: v_dual_mov_b32 v4, v0
	s_add_u32 s15, s15, s4
	s_addc_u32 s16, s16, s5
	s_cmp_eq_u32 s22, s17
	s_cbranch_scc1 .LBB93_54
; %bb.43:                               ;   in Loop: Header=BB93_32 Depth=1
	v_cmp_ne_u32_e32 vcc_lo, 1, v44
	s_cbranch_vccnz .LBB93_45
; %bb.44:                               ;   in Loop: Header=BB93_32 Depth=1
	v_add_co_u32 v4, vcc_lo, s20, v15
	v_add_co_ci_u32_e32 v5, vcc_lo, s21, v16, vcc_lo
	s_delay_alu instid0(VALU_DEP_2) | instskip(NEXT) | instid1(VALU_DEP_2)
	v_add_co_u32 v6, vcc_lo, v4, s10
	v_add_co_ci_u32_e32 v7, vcc_lo, s11, v5, vcc_lo
	s_clause 0x1
	global_load_b64 v[4:5], v[4:5], off offset:256
	global_load_b64 v[6:7], v[6:7], off offset:256
	s_cbranch_execz .LBB93_46
	s_branch .LBB93_53
.LBB93_45:                              ;   in Loop: Header=BB93_32 Depth=1
                                        ; implicit-def: $vgpr4_vgpr5_vgpr6_vgpr7
.LBB93_46:                              ;   in Loop: Header=BB93_32 Depth=1
                                        ; implicit-def: $vgpr4_vgpr5_vgpr6_vgpr7
	s_and_saveexec_b32 s23, s0
	s_delay_alu instid0(SALU_CYCLE_1)
	s_xor_b32 s23, exec_lo, s23
	s_cbranch_execz .LBB93_50
; %bb.47:                               ;   in Loop: Header=BB93_32 Depth=1
	s_waitcnt vmcnt(0)
	v_dual_mov_b32 v7, v3 :: v_dual_mov_b32 v6, v2
	v_dual_mov_b32 v5, v1 :: v_dual_mov_b32 v4, v0
	s_and_saveexec_b32 s24, s1
	s_cbranch_execz .LBB93_49
; %bb.48:                               ;   in Loop: Header=BB93_32 Depth=1
	v_add_co_u32 v4, vcc_lo, s20, v15
	v_add_co_ci_u32_e32 v5, vcc_lo, s21, v16, vcc_lo
	global_load_b64 v[37:38], v[4:5], off offset:256
	v_dual_mov_b32 v7, v3 :: v_dual_mov_b32 v6, v2
	v_dual_mov_b32 v5, v1 :: v_dual_mov_b32 v4, v0
	s_waitcnt vmcnt(0)
	v_dual_mov_b32 v4, v37 :: v_dual_mov_b32 v5, v38
.LBB93_49:                              ;   in Loop: Header=BB93_32 Depth=1
	s_or_b32 exec_lo, exec_lo, s24
.LBB93_50:                              ;   in Loop: Header=BB93_32 Depth=1
	s_and_not1_saveexec_b32 s23, s23
	s_cbranch_execz .LBB93_52
; %bb.51:                               ;   in Loop: Header=BB93_32 Depth=1
	s_waitcnt vmcnt(1)
	v_add_co_u32 v4, vcc_lo, s20, v15
	v_add_co_ci_u32_e32 v5, vcc_lo, s21, v16, vcc_lo
	s_waitcnt vmcnt(0)
	s_delay_alu instid0(VALU_DEP_2) | instskip(NEXT) | instid1(VALU_DEP_2)
	v_add_co_u32 v6, vcc_lo, v4, s10
	v_add_co_ci_u32_e32 v7, vcc_lo, s11, v5, vcc_lo
	s_clause 0x1
	global_load_b64 v[4:5], v[4:5], off offset:256
	global_load_b64 v[6:7], v[6:7], off offset:256
.LBB93_52:                              ;   in Loop: Header=BB93_32 Depth=1
	s_or_b32 exec_lo, exec_lo, s23
.LBB93_53:                              ;   in Loop: Header=BB93_32 Depth=1
	v_add_co_u32 v37, vcc_lo, s15, v17
	v_add_co_ci_u32_e32 v38, vcc_lo, s16, v18, vcc_lo
	global_load_b64 v[37:38], v[37:38], off
.LBB93_54:                              ;   in Loop: Header=BB93_32 Depth=1
	s_waitcnt lgkmcnt(0)
	v_fma_f64 v[39:40], v[0:1], v[8:9], 0
	v_fma_f64 v[8:9], v[33:34], v[8:9], 0
	s_waitcnt vmcnt(0)
	s_barrier
	buffer_gl0_inv
	v_fma_f64 v[39:40], v[2:3], v[10:11], v[39:40]
	v_fma_f64 v[8:9], v[35:36], v[10:11], v[8:9]
	ds_store_2addr_b64 v47, v[39:40], v[8:9] offset1:16
	s_waitcnt lgkmcnt(0)
	s_barrier
	buffer_gl0_inv
	s_and_saveexec_b32 s23, s2
	s_cbranch_execz .LBB93_58
; %bb.55:                               ;   in Loop: Header=BB93_32 Depth=1
	ds_load_2addr_b64 v[8:11], v49 offset1:32
	v_add_nc_u32_e32 v54, 0x800, v49
	s_mov_b32 s24, 0
	ds_load_2addr_b64 v[50:53], v54 offset0:64 offset1:96
	s_waitcnt lgkmcnt(1)
	v_add_f64 v[8:9], v[8:9], 0
	s_delay_alu instid0(VALU_DEP_1) | instskip(SKIP_3) | instid1(VALU_DEP_1)
	v_add_f64 v[39:40], v[8:9], v[10:11]
	ds_load_2addr_b64 v[8:11], v49 offset0:64 offset1:96
	s_waitcnt lgkmcnt(0)
	v_add_f64 v[8:9], v[39:40], v[8:9]
	v_add_f64 v[39:40], v[8:9], v[10:11]
	ds_load_2addr_b64 v[8:11], v49 offset0:128 offset1:160
	s_waitcnt lgkmcnt(0)
	v_add_f64 v[8:9], v[39:40], v[8:9]
	s_delay_alu instid0(VALU_DEP_1)
	v_add_f64 v[39:40], v[8:9], v[10:11]
	ds_load_2addr_b64 v[8:11], v49 offset0:192 offset1:224
	s_waitcnt lgkmcnt(0)
	v_add_f64 v[8:9], v[39:40], v[8:9]
	ds_load_2addr_b64 v[39:42], v54 offset1:32
	v_add_f64 v[8:9], v[8:9], v[10:11]
	s_waitcnt lgkmcnt(0)
	s_delay_alu instid0(VALU_DEP_1) | instskip(SKIP_4) | instid1(VALU_DEP_1)
	v_add_f64 v[8:9], v[8:9], v[39:40]
	v_add_co_u32 v39, vcc_lo, v25, v29
	v_add_co_ci_u32_e32 v40, vcc_lo, v26, v30, vcc_lo
	global_load_b64 v[10:11], v[39:40], off
	v_add_f64 v[8:9], v[8:9], v[41:42]
	v_add_f64 v[8:9], v[8:9], v[50:51]
	s_delay_alu instid0(VALU_DEP_1) | instskip(SKIP_3) | instid1(VALU_DEP_1)
	v_add_f64 v[8:9], v[8:9], v[52:53]
	ds_load_2addr_b64 v[50:53], v54 offset0:128 offset1:160
	s_waitcnt lgkmcnt(0)
	v_add_f64 v[8:9], v[8:9], v[50:51]
	v_add_f64 v[8:9], v[8:9], v[52:53]
	ds_load_2addr_b64 v[50:53], v54 offset0:192 offset1:224
	s_waitcnt lgkmcnt(0)
	v_add_f64 v[8:9], v[8:9], v[50:51]
	s_delay_alu instid0(VALU_DEP_1) | instskip(NEXT) | instid1(VALU_DEP_1)
	v_add_f64 v[8:9], v[8:9], v[52:53]
	v_mul_f64 v[41:42], v[12:13], v[8:9]
.LBB93_56:                              ;   Parent Loop BB93_32 Depth=1
                                        ; =>  This Inner Loop Header: Depth=2
	s_waitcnt vmcnt(0)
	s_delay_alu instid0(VALU_DEP_1)
	v_add_f64 v[8:9], v[10:11], v[41:42]
	global_atomic_cmpswap_b64 v[8:9], v[39:40], v[8:11], off glc
	s_waitcnt vmcnt(0)
	v_cmp_eq_u64_e32 vcc_lo, v[8:9], v[10:11]
	v_dual_mov_b32 v11, v9 :: v_dual_mov_b32 v10, v8
	s_or_b32 s24, vcc_lo, s24
	s_delay_alu instid0(SALU_CYCLE_1)
	s_and_not1_b32 exec_lo, exec_lo, s24
	s_cbranch_execnz .LBB93_56
; %bb.57:                               ;   in Loop: Header=BB93_32 Depth=1
	s_or_b32 exec_lo, exec_lo, s24
	v_add_co_u32 v25, vcc_lo, v25, s8
	v_add_co_ci_u32_e32 v26, vcc_lo, s9, v26, vcc_lo
.LBB93_58:                              ;   in Loop: Header=BB93_32 Depth=1
	s_or_b32 exec_lo, exec_lo, s23
	v_fma_f64 v[0:1], v[19:20], v[0:1], v[21:22]
	v_fma_f64 v[2:3], v[19:20], v[2:3], v[23:24]
	s_add_u32 s20, s20, 0x100
	s_addc_u32 s21, s21, 0
	s_add_i32 s22, s22, 1
	s_delay_alu instid0(SALU_CYCLE_1) | instskip(NEXT) | instid1(VALU_DEP_2)
	s_cmp_eq_u32 s22, s19
	v_fma_f64 v[21:22], v[31:32], v[33:34], v[0:1]
	s_delay_alu instid0(VALU_DEP_2)
	v_fma_f64 v[23:24], v[31:32], v[35:36], v[2:3]
	s_cbranch_scc1 .LBB93_60
; %bb.59:                               ;   in Loop: Header=BB93_32 Depth=1
	v_dual_mov_b32 v0, v4 :: v_dual_mov_b32 v1, v5
	v_dual_mov_b32 v19, v37 :: v_dual_mov_b32 v20, v38
	;; [unrolled: 1-line block ×5, first 2 shown]
	s_branch .LBB93_32
.LBB93_60:
	v_mov_b32_e32 v6, v45
.LBB93_61:
	s_waitcnt vmcnt(0)
	s_delay_alu instid0(VALU_DEP_1)
	v_lshlrev_b32_e32 v0, 3, v6
	v_lshlrev_b32_e32 v1, 3, v46
	ds_store_b64 v0, v[21:22] offset:4096
	ds_store_b64 v1, v[23:24] offset:4096
	s_waitcnt lgkmcnt(0)
	s_barrier
	buffer_gl0_inv
	s_and_b32 exec_lo, exec_lo, s2
	s_cbranch_execz .LBB93_65
; %bb.62:
	v_cmp_gt_i32_e32 vcc_lo, s29, v43
	s_cmp_lt_u32 s13, s28
	s_cselect_b32 s0, -1, 0
	s_delay_alu instid0(SALU_CYCLE_1) | instskip(NEXT) | instid1(SALU_CYCLE_1)
	s_or_b32 s0, vcc_lo, s0
	s_and_b32 exec_lo, exec_lo, s0
	s_cbranch_execz .LBB93_65
; %bb.63:
	v_lshlrev_b32_e32 v11, 4, v43
	v_add_nc_u32_e32 v2, 1, v43
	v_add_nc_u32_e32 v3, 2, v43
	;; [unrolled: 1-line block ×3, first 2 shown]
	s_mul_i32 s0, s12, s7
	v_or_b32_e32 v10, v14, v11
	v_and_or_b32 v2, v2, 15, v11
	v_and_or_b32 v3, v3, 15, v11
	;; [unrolled: 1-line block ×3, first 2 shown]
	s_mul_hi_u32 s1, s12, s6
	v_lshlrev_b32_e32 v0, 3, v10
	v_lshlrev_b32_e32 v2, 3, v2
	;; [unrolled: 1-line block ×4, first 2 shown]
	s_add_i32 s0, s1, s0
	ds_load_b64 v[0:1], v0 offset:4096
	ds_load_b64 v[2:3], v2 offset:4096
	;; [unrolled: 1-line block ×4, first 2 shown]
	s_mul_i32 s1, s18, s6
	s_delay_alu instid0(SALU_CYCLE_1) | instskip(SKIP_1) | instid1(SALU_CYCLE_1)
	s_add_i32 s1, s0, s1
	s_mul_i32 s0, s12, s6
	s_lshl_b64 s[0:1], s[0:1], 3
	s_delay_alu instid0(SALU_CYCLE_1) | instskip(SKIP_4) | instid1(VALU_DEP_1)
	s_add_u32 s0, s3, s0
	s_addc_u32 s1, s14, s1
	s_waitcnt lgkmcnt(3)
	v_add_f64 v[0:1], v[0:1], 0
	s_waitcnt lgkmcnt(2)
	v_add_f64 v[0:1], v[0:1], v[2:3]
	v_add_nc_u32_e32 v2, 4, v43
	s_delay_alu instid0(VALU_DEP_1) | instskip(NEXT) | instid1(VALU_DEP_1)
	v_and_or_b32 v2, v2, 15, v11
	v_lshlrev_b32_e32 v2, 3, v2
	ds_load_b64 v[2:3], v2 offset:4096
	s_waitcnt lgkmcnt(2)
	v_add_f64 v[0:1], v[0:1], v[4:5]
	v_add_nc_u32_e32 v4, 5, v43
	v_add_nc_u32_e32 v5, 6, v43
	s_delay_alu instid0(VALU_DEP_2) | instskip(NEXT) | instid1(VALU_DEP_2)
	v_and_or_b32 v4, v4, 15, v11
	v_and_or_b32 v5, v5, 15, v11
	s_delay_alu instid0(VALU_DEP_2) | instskip(SKIP_4) | instid1(VALU_DEP_2)
	v_lshlrev_b32_e32 v4, 3, v4
	s_waitcnt lgkmcnt(1)
	v_add_f64 v[0:1], v[0:1], v[6:7]
	v_add_nc_u32_e32 v6, 7, v43
	v_lshlrev_b32_e32 v7, 3, v5
	v_and_or_b32 v6, v6, 15, v11
	s_delay_alu instid0(VALU_DEP_1)
	v_lshlrev_b32_e32 v8, 3, v6
	ds_load_b64 v[4:5], v4 offset:4096
	ds_load_b64 v[6:7], v7 offset:4096
	;; [unrolled: 1-line block ×3, first 2 shown]
	s_waitcnt lgkmcnt(3)
	v_add_f64 v[0:1], v[0:1], v[2:3]
	v_xor_b32_e32 v2, 8, v10
	s_delay_alu instid0(VALU_DEP_1)
	v_lshlrev_b32_e32 v2, 3, v2
	ds_load_b64 v[2:3], v2 offset:4096
	s_waitcnt lgkmcnt(3)
	v_add_f64 v[0:1], v[0:1], v[4:5]
	v_mad_u64_u32 v[4:5], null, v43, s6, 0
	s_waitcnt lgkmcnt(2)
	s_delay_alu instid0(VALU_DEP_2) | instskip(SKIP_2) | instid1(VALU_DEP_2)
	v_add_f64 v[0:1], v[0:1], v[6:7]
	v_add_nc_u32_e32 v6, 9, v43
	v_add_nc_u32_e32 v7, 10, v43
	v_and_or_b32 v6, v6, 15, v11
	s_delay_alu instid0(VALU_DEP_2) | instskip(NEXT) | instid1(VALU_DEP_1)
	v_and_or_b32 v7, v7, 15, v11
	v_lshlrev_b32_e32 v10, 3, v7
	s_waitcnt lgkmcnt(1)
	v_add_f64 v[0:1], v[0:1], v[8:9]
	v_lshlrev_b32_e32 v9, 3, v6
	v_mad_u64_u32 v[6:7], null, v43, s7, v[5:6]
	v_add_nc_u32_e32 v8, 11, v43
	s_delay_alu instid0(VALU_DEP_1) | instskip(NEXT) | instid1(VALU_DEP_3)
	v_and_or_b32 v8, v8, 15, v11
	v_dual_mov_b32 v5, v6 :: v_dual_add_nc_u32 v6, 12, v43
	s_delay_alu instid0(VALU_DEP_2) | instskip(SKIP_4) | instid1(VALU_DEP_1)
	v_lshlrev_b32_e32 v14, 3, v8
	ds_load_b64 v[7:8], v9 offset:4096
	ds_load_b64 v[9:10], v10 offset:4096
	;; [unrolled: 1-line block ×3, first 2 shown]
	v_and_or_b32 v6, v6, 15, v11
	v_lshlrev_b32_e32 v6, 3, v6
	s_waitcnt lgkmcnt(3)
	v_add_f64 v[0:1], v[0:1], v[2:3]
	v_lshlrev_b64 v[2:3], 3, v[4:5]
	s_delay_alu instid0(VALU_DEP_1) | instskip(NEXT) | instid1(VALU_DEP_2)
	v_add_co_u32 v4, vcc_lo, s0, v2
	v_add_co_ci_u32_e32 v5, vcc_lo, s1, v3, vcc_lo
	s_mov_b32 s0, 0
	global_load_b64 v[2:3], v[4:5], off
	s_waitcnt lgkmcnt(2)
	v_add_f64 v[0:1], v[0:1], v[7:8]
	ds_load_b64 v[6:7], v6 offset:4096
	v_add_nc_u32_e32 v8, 13, v43
	s_delay_alu instid0(VALU_DEP_1) | instskip(NEXT) | instid1(VALU_DEP_1)
	v_and_or_b32 v8, v8, 15, v11
	v_lshlrev_b32_e32 v8, 3, v8
	s_waitcnt lgkmcnt(2)
	v_add_f64 v[0:1], v[0:1], v[9:10]
	v_add_nc_u32_e32 v9, 14, v43
	v_add_nc_u32_e32 v10, -1, v43
	s_delay_alu instid0(VALU_DEP_2) | instskip(NEXT) | instid1(VALU_DEP_2)
	v_and_or_b32 v9, v9, 15, v11
	v_and_or_b32 v10, v10, 15, v11
	s_delay_alu instid0(VALU_DEP_2) | instskip(SKIP_2) | instid1(VALU_DEP_3)
	v_lshlrev_b32_e32 v11, 3, v9
	s_waitcnt lgkmcnt(1)
	v_add_f64 v[0:1], v[0:1], v[14:15]
	v_lshlrev_b32_e32 v14, 3, v10
	ds_load_b64 v[8:9], v8 offset:4096
	ds_load_b64 v[10:11], v11 offset:4096
	;; [unrolled: 1-line block ×3, first 2 shown]
	s_waitcnt lgkmcnt(3)
	v_add_f64 v[0:1], v[0:1], v[6:7]
	s_waitcnt lgkmcnt(2)
	s_delay_alu instid0(VALU_DEP_1) | instskip(SKIP_1) | instid1(VALU_DEP_1)
	v_add_f64 v[0:1], v[0:1], v[8:9]
	s_waitcnt lgkmcnt(1)
	v_add_f64 v[0:1], v[0:1], v[10:11]
	s_waitcnt lgkmcnt(0)
	s_delay_alu instid0(VALU_DEP_1) | instskip(NEXT) | instid1(VALU_DEP_1)
	v_add_f64 v[0:1], v[0:1], v[14:15]
	v_mul_f64 v[6:7], v[12:13], v[0:1]
.LBB93_64:                              ; =>This Inner Loop Header: Depth=1
	s_waitcnt vmcnt(0)
	s_delay_alu instid0(VALU_DEP_1)
	v_add_f64 v[0:1], v[2:3], v[6:7]
	global_atomic_cmpswap_b64 v[0:1], v[4:5], v[0:3], off glc
	s_waitcnt vmcnt(0)
	v_cmp_eq_u64_e32 vcc_lo, v[0:1], v[2:3]
	v_dual_mov_b32 v3, v1 :: v_dual_mov_b32 v2, v0
	s_or_b32 s0, vcc_lo, s0
	s_delay_alu instid0(SALU_CYCLE_1)
	s_and_not1_b32 exec_lo, exec_lo, s0
	s_cbranch_execnz .LBB93_64
.LBB93_65:
	s_endpgm
	.section	.rodata,"a",@progbits
	.p2align	6, 0x0
	.amdhsa_kernel _ZL62rocblas_symv_kernel_upper_double_buffered_non_diagonal_genericILi32ELi8ELi2ELi1E24rocblas_internal_val_ptrIdEPKdPdEvbiT3_lT4_lllS6_lllT5_lllii
		.amdhsa_group_segment_fixed_size 8448
		.amdhsa_private_segment_fixed_size 0
		.amdhsa_kernarg_size 384
		.amdhsa_user_sgpr_count 13
		.amdhsa_user_sgpr_dispatch_ptr 0
		.amdhsa_user_sgpr_queue_ptr 0
		.amdhsa_user_sgpr_kernarg_segment_ptr 1
		.amdhsa_user_sgpr_dispatch_id 0
		.amdhsa_user_sgpr_private_segment_size 0
		.amdhsa_wavefront_size32 1
		.amdhsa_uses_dynamic_stack 0
		.amdhsa_enable_private_segment 0
		.amdhsa_system_sgpr_workgroup_id_x 1
		.amdhsa_system_sgpr_workgroup_id_y 1
		.amdhsa_system_sgpr_workgroup_id_z 1
		.amdhsa_system_sgpr_workgroup_info 0
		.amdhsa_system_vgpr_workitem_id 1
		.amdhsa_next_free_vgpr 55
		.amdhsa_next_free_sgpr 32
		.amdhsa_reserve_vcc 1
		.amdhsa_float_round_mode_32 0
		.amdhsa_float_round_mode_16_64 0
		.amdhsa_float_denorm_mode_32 3
		.amdhsa_float_denorm_mode_16_64 3
		.amdhsa_dx10_clamp 1
		.amdhsa_ieee_mode 1
		.amdhsa_fp16_overflow 0
		.amdhsa_workgroup_processor_mode 1
		.amdhsa_memory_ordered 1
		.amdhsa_forward_progress 0
		.amdhsa_shared_vgpr_count 0
		.amdhsa_exception_fp_ieee_invalid_op 0
		.amdhsa_exception_fp_denorm_src 0
		.amdhsa_exception_fp_ieee_div_zero 0
		.amdhsa_exception_fp_ieee_overflow 0
		.amdhsa_exception_fp_ieee_underflow 0
		.amdhsa_exception_fp_ieee_inexact 0
		.amdhsa_exception_int_div_zero 0
	.end_amdhsa_kernel
	.section	.text._ZL62rocblas_symv_kernel_upper_double_buffered_non_diagonal_genericILi32ELi8ELi2ELi1E24rocblas_internal_val_ptrIdEPKdPdEvbiT3_lT4_lllS6_lllT5_lllii,"axG",@progbits,_ZL62rocblas_symv_kernel_upper_double_buffered_non_diagonal_genericILi32ELi8ELi2ELi1E24rocblas_internal_val_ptrIdEPKdPdEvbiT3_lT4_lllS6_lllT5_lllii,comdat
.Lfunc_end93:
	.size	_ZL62rocblas_symv_kernel_upper_double_buffered_non_diagonal_genericILi32ELi8ELi2ELi1E24rocblas_internal_val_ptrIdEPKdPdEvbiT3_lT4_lllS6_lllT5_lllii, .Lfunc_end93-_ZL62rocblas_symv_kernel_upper_double_buffered_non_diagonal_genericILi32ELi8ELi2ELi1E24rocblas_internal_val_ptrIdEPKdPdEvbiT3_lT4_lllS6_lllT5_lllii
                                        ; -- End function
	.section	.AMDGPU.csdata,"",@progbits
; Kernel info:
; codeLenInByte = 3620
; NumSgprs: 34
; NumVgprs: 55
; ScratchSize: 0
; MemoryBound: 1
; FloatMode: 240
; IeeeMode: 1
; LDSByteSize: 8448 bytes/workgroup (compile time only)
; SGPRBlocks: 4
; VGPRBlocks: 6
; NumSGPRsForWavesPerEU: 34
; NumVGPRsForWavesPerEU: 55
; Occupancy: 16
; WaveLimiterHint : 0
; COMPUTE_PGM_RSRC2:SCRATCH_EN: 0
; COMPUTE_PGM_RSRC2:USER_SGPR: 13
; COMPUTE_PGM_RSRC2:TRAP_HANDLER: 0
; COMPUTE_PGM_RSRC2:TGID_X_EN: 1
; COMPUTE_PGM_RSRC2:TGID_Y_EN: 1
; COMPUTE_PGM_RSRC2:TGID_Z_EN: 1
; COMPUTE_PGM_RSRC2:TIDIG_COMP_CNT: 1
	.section	.text._ZL26rocblas_hemvn_kernel_upperILb0ELi64ELi4ELi33ELi32ELi16ElPKdS1_PdEviT6_lT7_lT5_lS4_lS5_lS3_lT8_i,"axG",@progbits,_ZL26rocblas_hemvn_kernel_upperILb0ELi64ELi4ELi33ELi32ELi16ElPKdS1_PdEviT6_lT7_lT5_lS4_lS5_lS3_lT8_i,comdat
	.globl	_ZL26rocblas_hemvn_kernel_upperILb0ELi64ELi4ELi33ELi32ELi16ElPKdS1_PdEviT6_lT7_lT5_lS4_lS5_lS3_lT8_i ; -- Begin function _ZL26rocblas_hemvn_kernel_upperILb0ELi64ELi4ELi33ELi32ELi16ElPKdS1_PdEviT6_lT7_lT5_lS4_lS5_lS3_lT8_i
	.p2align	8
	.type	_ZL26rocblas_hemvn_kernel_upperILb0ELi64ELi4ELi33ELi32ELi16ElPKdS1_PdEviT6_lT7_lT5_lS4_lS5_lS3_lT8_i,@function
_ZL26rocblas_hemvn_kernel_upperILb0ELi64ELi4ELi33ELi32ELi16ElPKdS1_PdEviT6_lT7_lT5_lS4_lS5_lS3_lT8_i: ; @_ZL26rocblas_hemvn_kernel_upperILb0ELi64ELi4ELi33ELi32ELi16ElPKdS1_PdEviT6_lT7_lT5_lS4_lS5_lS3_lT8_i
; %bb.0:
	s_load_b64 s[4:5], s[0:1], 0x84
	s_add_u32 s2, s0, 0x78
	s_addc_u32 s3, s1, 0
	s_waitcnt lgkmcnt(0)
	s_lshr_b32 s6, s4, 16
	s_and_b32 s4, s4, 0xffff
	s_and_b32 s5, s5, 0xffff
	s_mul_i32 s4, s6, s4
	s_delay_alu instid0(SALU_CYCLE_1) | instskip(NEXT) | instid1(SALU_CYCLE_1)
	s_mul_i32 s4, s4, s5
	s_cmpk_lg_i32 s4, 0x100
	s_cbranch_scc1 .LBB94_126
; %bb.1:
	s_clause 0x1
	s_load_b512 s[16:31], s[0:1], 0x8
	s_load_b256 s[36:43], s[0:1], 0x48
	s_waitcnt lgkmcnt(0)
	s_mul_i32 s5, s15, s19
	s_mul_hi_u32 s6, s15, s18
	s_mul_i32 s4, s15, s18
	s_add_i32 s5, s6, s5
	s_mul_i32 s6, s15, s43
	s_lshl_b64 s[4:5], s[4:5], 3
	s_mul_hi_u32 s7, s15, s42
	s_add_u32 s4, s16, s4
	s_addc_u32 s5, s17, s5
	s_add_i32 s7, s7, s6
	s_mul_i32 s6, s15, s42
	s_delay_alu instid0(SALU_CYCLE_1) | instskip(NEXT) | instid1(SALU_CYCLE_1)
	s_lshl_b64 s[6:7], s[6:7], 3
	s_add_u32 s6, s40, s6
	s_addc_u32 s7, s41, s7
	s_load_b64 s[4:5], s[4:5], 0x0
	s_load_b64 s[6:7], s[6:7], 0x0
	s_waitcnt lgkmcnt(0)
	v_cmp_eq_f64_e64 s4, s[4:5], 0
	v_cmp_eq_f64_e64 s5, s[6:7], 1.0
	s_delay_alu instid0(VALU_DEP_1) | instskip(NEXT) | instid1(SALU_CYCLE_1)
	s_and_b32 s5, s4, s5
	s_and_b32 vcc_lo, exec_lo, s5
	s_cbranch_vccnz .LBB94_126
; %bb.2:
	s_and_b32 vcc_lo, exec_lo, s4
	s_cbranch_vccnz .LBB94_126
; %bb.3:
	s_mul_i32 s5, s15, s39
	s_mul_hi_u32 s6, s15, s38
	s_mul_i32 s4, s15, s38
	s_add_i32 s5, s6, s5
	v_and_b32_e32 v92, 0x3ff, v0
	s_lshl_b64 s[4:5], s[4:5], 3
	s_clause 0x1
	s_load_b32 s33, s[0:1], 0x0
	s_load_b64 s[12:13], s[0:1], 0x68
	s_add_u32 s6, s28, s4
	s_addc_u32 s7, s29, s5
	s_lshl_b64 s[4:5], s[30:31], 3
	v_bfe_u32 v93, v0, 10, 10
	s_add_u32 s4, s6, s4
	s_addc_u32 s5, s7, s5
	s_lshl_b32 s10, s14, 6
	s_load_b32 s7, s[2:3], 0x0
	v_add_nc_u32_e32 v24, s10, v92
	s_delay_alu instid0(VALU_DEP_1) | instskip(SKIP_2) | instid1(VALU_DEP_3)
	v_ashrrev_i32_e32 v25, 31, v24
	v_mul_lo_u32 v3, v24, s37
	v_mad_u64_u32 v[1:2], null, v24, s36, 0
	v_mul_lo_u32 v4, v25, s36
	s_waitcnt lgkmcnt(0)
	s_ashr_i32 s28, s33, 31
	s_delay_alu instid0(SALU_CYCLE_1) | instskip(NEXT) | instid1(SALU_CYCLE_1)
	s_lshr_b32 s0, s28, 26
	s_add_i32 s0, s33, s0
	s_delay_alu instid0(SALU_CYCLE_1) | instskip(NEXT) | instid1(VALU_DEP_1)
	s_and_not1_b32 s0, s0, 63
	v_add3_u32 v2, v2, v3, v4
	s_add_i32 s1, s7, -1
	s_sub_i32 s18, s33, s0
	v_cmp_eq_u32_e64 s0, 0, v93
	s_cmp_eq_u32 s14, s1
	v_lshlrev_b64 v[1:2], 3, v[1:2]
	s_cselect_b32 s8, s18, 0
	s_delay_alu instid0(VALU_DEP_1) | instskip(NEXT) | instid1(VALU_DEP_2)
	v_add_co_u32 v14, vcc_lo, s4, v1
	v_add_co_ci_u32_e32 v15, vcc_lo, s5, v2, vcc_lo
	s_and_saveexec_b32 s1, s0
	s_cbranch_execz .LBB94_7
; %bb.4:
	v_cmp_gt_i32_e32 vcc_lo, s8, v92
	s_cmp_eq_u32 s8, 0
	v_mov_b32_e32 v0, 0
	v_mov_b32_e32 v1, 0
	s_cselect_b32 s2, -1, 0
	s_delay_alu instid0(SALU_CYCLE_1) | instskip(NEXT) | instid1(SALU_CYCLE_1)
	s_or_b32 s3, s2, vcc_lo
	s_and_saveexec_b32 s2, s3
	s_cbranch_execz .LBB94_6
; %bb.5:
	global_load_b64 v[0:1], v[14:15], off
.LBB94_6:
	s_or_b32 exec_lo, exec_lo, s2
	v_lshlrev_b32_e32 v2, 3, v92
	s_waitcnt vmcnt(0)
	ds_store_b64 v2, v[0:1] offset:9088
.LBB94_7:
	s_or_b32 exec_lo, exec_lo, s1
	v_lshl_add_u32 v22, v93, 6, v92
	v_dual_mov_b32 v1, 0 :: v_dual_and_b32 v0, 31, v92
	s_mul_i32 s1, s15, s27
	s_mul_hi_u32 s2, s15, s26
	s_delay_alu instid0(VALU_DEP_2)
	v_lshrrev_b32_e32 v11, 5, v22
	s_add_i32 s3, s2, s1
	s_mul_i32 s2, s15, s26
	v_lshlrev_b32_e32 v18, 3, v0
	s_lshl_b64 s[2:3], s[2:3], 3
	v_mad_u64_u32 v[2:3], null, v11, s24, v[0:1]
	s_add_u32 s1, s20, s2
	s_addc_u32 s4, s21, s3
	s_lshl_b64 s[2:3], s[22:23], 3
	s_delay_alu instid0(SALU_CYCLE_1) | instskip(SKIP_1) | instid1(VALU_DEP_1)
	s_add_u32 s1, s1, s2
	s_addc_u32 s4, s4, s3
	v_mov_b32_e32 v1, v3
	s_ashr_i32 s11, s10, 31
	s_delay_alu instid0(SALU_CYCLE_1) | instskip(NEXT) | instid1(SALU_CYCLE_1)
	s_lshl_b64 s[2:3], s[10:11], 3
	s_add_u32 s1, s1, s2
	s_delay_alu instid0(VALU_DEP_1) | instskip(SKIP_3) | instid1(SALU_CYCLE_1)
	v_mad_u64_u32 v[3:4], null, v11, s25, v[1:2]
	s_addc_u32 s4, s4, s3
	s_mul_i32 s2, s10, s25
	s_mul_hi_u32 s3, s10, s24
	s_add_i32 s2, s3, s2
	s_mul_i32 s3, s11, s24
	s_delay_alu instid0(VALU_DEP_1) | instskip(SKIP_2) | instid1(SALU_CYCLE_1)
	v_lshlrev_b64 v[12:13], 3, v[2:3]
	s_add_i32 s3, s2, s3
	s_mul_i32 s2, s10, s24
	s_lshl_b64 s[2:3], s[2:3], 3
	s_delay_alu instid0(SALU_CYCLE_1)
	s_add_u32 s1, s2, s1
	s_addc_u32 s2, s3, s4
	s_cmp_eq_u32 s8, 0
	v_add_co_u32 v3, s1, s1, v12
	s_cselect_b32 s19, -1, 0
	s_cmp_lg_u32 s8, 0
	v_add_co_ci_u32_e64 v4, s1, s2, v13, s1
	v_cmp_gt_i32_e64 s1, s8, v0
	s_cselect_b32 s20, -1, 0
	s_delay_alu instid0(SALU_CYCLE_1)
	s_and_b32 vcc_lo, exec_lo, s20
	s_cbranch_vccz .LBB94_17
; %bb.8:
	v_sub_co_u32 v1, vcc_lo, v3, v18
	s_ashr_i32 s9, s8, 31
	v_subrev_co_ci_u32_e32 v2, vcc_lo, 0, v4, vcc_lo
	s_lshl_b64 s[2:3], s[8:9], 3
	v_mov_b32_e32 v7, 0
	v_add_co_u32 v1, vcc_lo, v1, s2
	s_delay_alu instid0(VALU_DEP_3) | instskip(SKIP_1) | instid1(VALU_DEP_3)
	v_add_co_ci_u32_e32 v2, vcc_lo, s3, v2, vcc_lo
	v_mov_b32_e32 v8, 0
	v_add_co_u32 v1, vcc_lo, v1, -8
	s_delay_alu instid0(VALU_DEP_3) | instskip(NEXT) | instid1(VALU_DEP_3)
	v_add_co_ci_u32_e32 v2, vcc_lo, -1, v2, vcc_lo
	v_dual_mov_b32 v5, v7 :: v_dual_mov_b32 v6, v8
	s_delay_alu instid0(VALU_DEP_3) | instskip(NEXT) | instid1(VALU_DEP_3)
	v_cndmask_b32_e64 v1, v1, v3, s1
	v_cndmask_b32_e64 v2, v2, v4, s1
	s_mov_b32 s4, exec_lo
	v_cmpx_gt_i32_e64 s8, v11
	s_cbranch_execz .LBB94_10
; %bb.9:
	global_load_b64 v[5:6], v[1:2], off
.LBB94_10:
	s_or_b32 exec_lo, exec_lo, s4
	v_mul_u32_u24_e32 v9, 33, v11
	v_add_nc_u32_e32 v10, 8, v11
	s_mov_b32 s4, exec_lo
	s_delay_alu instid0(VALU_DEP_2)
	v_add_lshl_u32 v16, v9, v0, 3
	s_waitcnt vmcnt(0)
	ds_store_b64 v16, v[5:6]
	v_cmpx_gt_i32_e64 s8, v10
	s_cbranch_execz .LBB94_12
; %bb.11:
	s_lshl_b64 s[16:17], s[24:25], 6
	s_delay_alu instid0(SALU_CYCLE_1)
	v_add_co_u32 v5, vcc_lo, v1, s16
	v_add_co_ci_u32_e32 v6, vcc_lo, s17, v2, vcc_lo
	global_load_b64 v[7:8], v[5:6], off
.LBB94_12:
	s_or_b32 exec_lo, exec_lo, s4
	v_mov_b32_e32 v5, 0
	v_dual_mov_b32 v6, 0 :: v_dual_add_nc_u32 v9, 16, v11
	s_waitcnt vmcnt(0)
	ds_store_b64 v16, v[7:8] offset:2112
	v_cmp_gt_i32_e32 vcc_lo, s8, v9
	v_dual_mov_b32 v10, v6 :: v_dual_mov_b32 v9, v5
	s_and_saveexec_b32 s4, vcc_lo
	s_cbranch_execz .LBB94_14
; %bb.13:
	s_lshl_b64 s[16:17], s[24:25], 7
	s_delay_alu instid0(SALU_CYCLE_1)
	v_add_co_u32 v7, vcc_lo, v1, s16
	v_add_co_ci_u32_e32 v8, vcc_lo, s17, v2, vcc_lo
	global_load_b64 v[9:10], v[7:8], off
.LBB94_14:
	s_or_b32 exec_lo, exec_lo, s4
	v_add_nc_u32_e32 v7, 24, v11
	s_mov_b32 s4, exec_lo
	s_waitcnt vmcnt(0)
	ds_store_b64 v16, v[9:10] offset:4224
	v_cmpx_gt_i32_e64 s8, v7
	s_cbranch_execz .LBB94_16
; %bb.15:
	v_mad_u64_u32 v[5:6], null, 0xc0, s24, v[1:2]
	s_delay_alu instid0(VALU_DEP_1) | instskip(NEXT) | instid1(VALU_DEP_1)
	v_mad_u64_u32 v[7:8], null, 0xc0, s25, v[6:7]
	v_mov_b32_e32 v6, v7
	global_load_b64 v[5:6], v[5:6], off
.LBB94_16:
	s_or_b32 exec_lo, exec_lo, s4
	v_add_co_u32 v1, vcc_lo, v1, v18
	v_add_co_ci_u32_e32 v2, vcc_lo, 0, v2, vcc_lo
	s_waitcnt vmcnt(0)
	ds_store_b64 v16, v[5:6] offset:6336
	v_sub_co_u32 v1, vcc_lo, v1, s2
	v_subrev_co_ci_u32_e32 v2, vcc_lo, s3, v2, vcc_lo
	s_delay_alu instid0(VALU_DEP_2) | instskip(NEXT) | instid1(VALU_DEP_2)
	v_add_co_u32 v1, vcc_lo, v1, 8
	v_add_co_ci_u32_e32 v2, vcc_lo, 0, v2, vcc_lo
	s_delay_alu instid0(VALU_DEP_2) | instskip(NEXT) | instid1(VALU_DEP_2)
	v_cndmask_b32_e64 v1, v1, v3, s1
	v_cndmask_b32_e64 v2, v2, v4, s1
	v_mul_u32_u24_e32 v20, 33, v11
	s_branch .LBB94_19
.LBB94_17:
                                        ; implicit-def: $vgpr1_vgpr2
	v_mul_u32_u24_e32 v20, 33, v11
	s_cbranch_execz .LBB94_19
; %bb.18:
	v_mad_u64_u32 v[1:2], null, 0xc0, s24, v[3:4]
	s_lshl_b64 s[2:3], s[24:25], 6
	s_delay_alu instid0(VALU_DEP_2) | instskip(NEXT) | instid1(VALU_DEP_2)
	v_add_lshl_u32 v19, v20, v0, 3
	v_mad_u64_u32 v[5:6], null, 0xc0, s25, v[2:3]
	v_add_co_u32 v6, vcc_lo, v3, s2
	v_add_co_ci_u32_e32 v7, vcc_lo, s3, v4, vcc_lo
	s_delay_alu instid0(VALU_DEP_2) | instskip(NEXT) | instid1(VALU_DEP_2)
	v_add_co_u32 v8, vcc_lo, v6, s2
	v_add_co_ci_u32_e32 v9, vcc_lo, s3, v7, vcc_lo
	v_mov_b32_e32 v2, v5
	s_clause 0x1
	global_load_b64 v[16:17], v[3:4], off
	global_load_b64 v[5:6], v[6:7], off
	;; [unrolled: 1-line block ×4, first 2 shown]
	v_dual_mov_b32 v1, v3 :: v_dual_mov_b32 v2, v4
	s_waitcnt vmcnt(3)
	ds_store_b64 v19, v[16:17]
	s_waitcnt vmcnt(2)
	ds_store_b64 v19, v[5:6] offset:2112
	s_waitcnt vmcnt(1)
	ds_store_b64 v19, v[7:8] offset:4224
	;; [unrolled: 2-line block ×3, first 2 shown]
.LBB94_19:
	v_lshlrev_b32_e32 v3, 2, v11
	v_mul_u32_u24_e32 v19, 33, v0
	v_mul_u32_u24_e32 v4, 0x84, v11
	s_waitcnt lgkmcnt(0)
	s_barrier
	v_cmp_gt_u32_e64 s2, v3, v0
	v_add_lshl_u32 v31, v3, v19, 3
	buffer_gl0_inv
	s_and_saveexec_b32 s1, s2
	s_cbranch_execz .LBB94_21
; %bb.20:
	v_add_lshl_u32 v5, v4, v0, 3
	ds_load_b64 v[5:6], v5
	s_waitcnt lgkmcnt(0)
	ds_store_b64 v31, v[5:6]
.LBB94_21:
	s_or_b32 exec_lo, exec_lo, s1
	v_cmp_ge_u32_e64 s3, v3, v0
	s_delay_alu instid0(VALU_DEP_1)
	s_and_saveexec_b32 s1, s3
	s_cbranch_execz .LBB94_23
; %bb.22:
	v_or_b32_e32 v5, 1, v3
	s_delay_alu instid0(VALU_DEP_1) | instskip(NEXT) | instid1(VALU_DEP_1)
	v_mul_u32_u24_e32 v5, 33, v5
	v_add_lshl_u32 v5, v5, v0, 3
	ds_load_b64 v[5:6], v5
	s_waitcnt lgkmcnt(0)
	ds_store_b64 v31, v[5:6] offset:8
.LBB94_23:
	s_or_b32 exec_lo, exec_lo, s1
	v_or_b32_e32 v5, 2, v3
	s_delay_alu instid0(VALU_DEP_1) | instskip(NEXT) | instid1(VALU_DEP_1)
	v_cmp_gt_u32_e64 s4, v5, v0
	s_and_saveexec_b32 s1, s4
	s_cbranch_execz .LBB94_25
; %bb.24:
	v_mul_u32_u24_e32 v5, 33, v5
	s_delay_alu instid0(VALU_DEP_1)
	v_add_lshl_u32 v5, v5, v0, 3
	ds_load_b64 v[5:6], v5
	s_waitcnt lgkmcnt(0)
	ds_store_b64 v31, v[5:6] offset:16
.LBB94_25:
	s_or_b32 exec_lo, exec_lo, s1
	v_or_b32_e32 v5, 3, v3
	s_delay_alu instid0(VALU_DEP_1) | instskip(SKIP_1) | instid1(VALU_DEP_2)
	v_mad_u32_u24 v6, v5, 33, v0
	v_cmp_gt_u32_e64 s5, v5, v0
	v_lshlrev_b32_e32 v21, 3, v6
	s_delay_alu instid0(VALU_DEP_2)
	s_and_saveexec_b32 s1, s5
	s_cbranch_execz .LBB94_27
; %bb.26:
	ds_load_b64 v[5:6], v21
	s_waitcnt lgkmcnt(0)
	ds_store_b64 v31, v[5:6] offset:24
.LBB94_27:
	s_or_b32 exec_lo, exec_lo, s1
	v_add_lshl_u32 v29, v4, v0, 3
	v_lshlrev_b32_e32 v32, 3, v3
	v_dual_mov_b32 v26, 0 :: v_dual_lshlrev_b32 v23, 3, v19
	s_waitcnt lgkmcnt(0)
	s_barrier
	buffer_gl0_inv
	v_mov_b32_e32 v27, 0
	ds_load_b64 v[7:8], v29
	ds_load_b128 v[3:6], v32 offset:9088
	v_add_nc_u32_e32 v30, 0xfffffdf0, v21
	v_add_lshl_u32 v28, v11, v19, 3
	v_cmp_gt_u32_e64 s1, 32, v22
	s_waitcnt lgkmcnt(0)
	v_fma_f64 v[3:4], v[7:8], v[3:4], 0
	ds_load_2addr_b64 v[7:10], v30 offset1:33
	s_waitcnt lgkmcnt(0)
	v_fma_f64 v[7:8], v[7:8], v[5:6], v[3:4]
	ds_load_b128 v[3:6], v32 offset:9104
	ds_load_b64 v[16:17], v21
	s_waitcnt lgkmcnt(0)
	s_barrier
	buffer_gl0_inv
	v_fma_f64 v[3:4], v[9:10], v[3:4], v[7:8]
	s_delay_alu instid0(VALU_DEP_1)
	v_fma_f64 v[3:4], v[16:17], v[5:6], v[3:4]
	ds_store_b64 v28, v[3:4]
	s_waitcnt lgkmcnt(0)
	s_barrier
	buffer_gl0_inv
	s_and_saveexec_b32 s6, s1
	s_cbranch_execz .LBB94_29
; %bb.28:
	ds_load_2addr_b64 v[3:6], v23 offset1:1
	ds_load_2addr_b64 v[7:10], v23 offset0:2 offset1:3
	s_waitcnt lgkmcnt(1)
	v_add_f64 v[3:4], v[3:4], v[5:6]
	s_waitcnt lgkmcnt(0)
	s_delay_alu instid0(VALU_DEP_1) | instskip(NEXT) | instid1(VALU_DEP_1)
	v_add_f64 v[3:4], v[3:4], v[7:8]
	v_add_f64 v[16:17], v[3:4], v[9:10]
	ds_load_2addr_b64 v[3:6], v23 offset0:4 offset1:5
	ds_load_2addr_b64 v[7:10], v23 offset0:6 offset1:7
	s_waitcnt lgkmcnt(1)
	v_add_f64 v[3:4], v[16:17], v[3:4]
	s_delay_alu instid0(VALU_DEP_1) | instskip(SKIP_1) | instid1(VALU_DEP_1)
	v_add_f64 v[3:4], v[3:4], v[5:6]
	s_waitcnt lgkmcnt(0)
	v_add_f64 v[3:4], v[3:4], v[7:8]
	s_delay_alu instid0(VALU_DEP_1)
	v_add_f64 v[26:27], v[3:4], v[9:10]
.LBB94_29:
	s_or_b32 exec_lo, exec_lo, s6
	s_lshl_b64 s[16:17], s[24:25], 8
	s_delay_alu instid0(SALU_CYCLE_1) | instskip(SKIP_2) | instid1(VALU_DEP_2)
	v_add_co_u32 v5, vcc_lo, v1, s16
	v_add_co_ci_u32_e32 v6, vcc_lo, s17, v2, vcc_lo
	s_barrier
	v_add_co_u32 v3, vcc_lo, 0x100, v5
	s_delay_alu instid0(VALU_DEP_2)
	v_add_co_ci_u32_e32 v4, vcc_lo, 0, v6, vcc_lo
	s_and_b32 vcc_lo, exec_lo, s20
	buffer_gl0_inv
	s_cbranch_vccz .LBB94_39
; %bb.30:
	v_sub_co_u32 v1, vcc_lo, v3, v18
	s_ashr_i32 s9, s8, 31
	v_subrev_co_ci_u32_e32 v2, vcc_lo, 0, v4, vcc_lo
	s_lshl_b64 s[16:17], s[8:9], 3
	v_or_b32_e32 v7, 32, v0
	v_add_co_u32 v1, vcc_lo, v1, s16
	s_delay_alu instid0(VALU_DEP_3) | instskip(SKIP_1) | instid1(VALU_DEP_2)
	v_add_co_ci_u32_e32 v2, vcc_lo, s17, v2, vcc_lo
	s_sub_i32 s9, s8, 32
	v_add_co_u32 v1, vcc_lo, 0xfffffef8, v1
	s_delay_alu instid0(VALU_DEP_2)
	v_add_co_ci_u32_e32 v2, vcc_lo, -1, v2, vcc_lo
	v_cmp_gt_i32_e32 vcc_lo, s8, v7
	v_mov_b32_e32 v9, 0
	v_mov_b32_e32 v10, 0
	s_mov_b32 s21, exec_lo
	v_dual_cndmask_b32 v1, v1, v3 :: v_dual_cndmask_b32 v2, v2, v4
	s_delay_alu instid0(VALU_DEP_2)
	v_dual_mov_b32 v7, v9 :: v_dual_mov_b32 v8, v10
	v_cmpx_gt_i32_e64 s9, v11
	s_cbranch_execz .LBB94_32
; %bb.31:
	global_load_b64 v[7:8], v[1:2], off
.LBB94_32:
	s_or_b32 exec_lo, exec_lo, s21
	v_add_nc_u32_e32 v16, 8, v11
	v_add_lshl_u32 v33, v20, v0, 3
	s_mov_b32 s21, exec_lo
	s_waitcnt vmcnt(0)
	ds_store_b64 v33, v[7:8]
	v_cmpx_gt_i32_e64 s9, v16
	s_cbranch_execz .LBB94_34
; %bb.33:
	s_lshl_b64 s[22:23], s[24:25], 6
	s_delay_alu instid0(SALU_CYCLE_1) | instskip(NEXT) | instid1(VALU_DEP_1)
	v_add_co_u32 v7, s6, v1, s22
	v_add_co_ci_u32_e64 v8, s6, s23, v2, s6
	global_load_b64 v[9:10], v[7:8], off
.LBB94_34:
	s_or_b32 exec_lo, exec_lo, s21
	v_dual_mov_b32 v7, 0 :: v_dual_add_nc_u32 v16, 16, v11
	v_mov_b32_e32 v8, 0
	s_waitcnt vmcnt(0)
	ds_store_b64 v33, v[9:10] offset:2112
	v_cmp_gt_i32_e64 s6, s9, v16
	v_dual_mov_b32 v17, v8 :: v_dual_mov_b32 v16, v7
	s_delay_alu instid0(VALU_DEP_2)
	s_and_saveexec_b32 s21, s6
	s_cbranch_execz .LBB94_36
; %bb.35:
	s_lshl_b64 s[22:23], s[24:25], 7
	s_delay_alu instid0(SALU_CYCLE_1) | instskip(NEXT) | instid1(VALU_DEP_1)
	v_add_co_u32 v9, s6, v1, s22
	v_add_co_ci_u32_e64 v10, s6, s23, v2, s6
	global_load_b64 v[16:17], v[9:10], off
.LBB94_36:
	s_or_b32 exec_lo, exec_lo, s21
	v_add_nc_u32_e32 v9, 24, v11
	s_waitcnt vmcnt(0)
	ds_store_b64 v33, v[16:17] offset:4224
	v_cmp_gt_i32_e64 s6, s9, v9
	s_delay_alu instid0(VALU_DEP_1)
	s_and_saveexec_b32 s9, s6
	s_cbranch_execz .LBB94_38
; %bb.37:
	v_mad_u64_u32 v[7:8], null, 0xc0, s24, v[1:2]
	s_delay_alu instid0(VALU_DEP_1) | instskip(NEXT) | instid1(VALU_DEP_1)
	v_mad_u64_u32 v[9:10], null, 0xc0, s25, v[8:9]
	v_mov_b32_e32 v8, v9
	global_load_b64 v[7:8], v[7:8], off
.LBB94_38:
	s_or_b32 exec_lo, exec_lo, s9
	v_add_co_u32 v1, s6, v1, v18
	s_delay_alu instid0(VALU_DEP_1) | instskip(SKIP_3) | instid1(VALU_DEP_1)
	v_add_co_ci_u32_e64 v2, s6, 0, v2, s6
	s_waitcnt vmcnt(0)
	ds_store_b64 v33, v[7:8] offset:6336
	v_sub_co_u32 v1, s6, v1, s16
	v_subrev_co_ci_u32_e64 v2, s6, s17, v2, s6
	s_delay_alu instid0(VALU_DEP_2) | instskip(NEXT) | instid1(VALU_DEP_1)
	v_add_co_u32 v1, s6, 0x108, v1
	v_add_co_ci_u32_e64 v2, s6, 0, v2, s6
	s_delay_alu instid0(VALU_DEP_1)
	v_dual_cndmask_b32 v1, v1, v3 :: v_dual_cndmask_b32 v2, v2, v4
	s_branch .LBB94_41
.LBB94_39:
                                        ; implicit-def: $vgpr1_vgpr2
	s_cbranch_execz .LBB94_41
; %bb.40:
	v_mad_u64_u32 v[1:2], null, 0xc0, s24, v[5:6]
	s_lshl_b64 s[16:17], s[24:25], 6
	v_add_lshl_u32 v33, v20, v0, 3
	s_delay_alu instid0(VALU_DEP_2) | instskip(SKIP_2) | instid1(VALU_DEP_2)
	v_mad_u64_u32 v[7:8], null, 0xc0, s25, v[2:3]
	v_add_co_u32 v8, vcc_lo, v5, s16
	v_add_co_ci_u32_e32 v9, vcc_lo, s17, v6, vcc_lo
	v_add_co_u32 v16, vcc_lo, v8, s16
	s_delay_alu instid0(VALU_DEP_2)
	v_add_co_ci_u32_e32 v17, vcc_lo, s17, v9, vcc_lo
	v_mov_b32_e32 v2, v7
	s_clause 0x3
	global_load_b64 v[5:6], v[5:6], off offset:256
	global_load_b64 v[7:8], v[8:9], off offset:256
	global_load_b64 v[9:10], v[16:17], off offset:256
	global_load_b64 v[16:17], v[1:2], off offset:256
	v_dual_mov_b32 v1, v3 :: v_dual_mov_b32 v2, v4
	s_waitcnt vmcnt(3)
	ds_store_b64 v33, v[5:6]
	s_waitcnt vmcnt(2)
	ds_store_b64 v33, v[7:8] offset:2112
	s_waitcnt vmcnt(1)
	ds_store_b64 v33, v[9:10] offset:4224
	;; [unrolled: 2-line block ×3, first 2 shown]
.LBB94_41:
	s_waitcnt lgkmcnt(0)
	s_barrier
	buffer_gl0_inv
	s_and_saveexec_b32 s6, s2
	s_cbranch_execnz .LBB94_58
; %bb.42:
	s_or_b32 exec_lo, exec_lo, s6
	s_and_saveexec_b32 s2, s3
	s_cbranch_execnz .LBB94_59
.LBB94_43:
	s_or_b32 exec_lo, exec_lo, s2
	s_and_saveexec_b32 s2, s4
	s_cbranch_execnz .LBB94_60
.LBB94_44:
	s_or_b32 exec_lo, exec_lo, s2
	v_add_nc_u32_e32 v32, 0x2380, v32
	s_and_saveexec_b32 s2, s5
	s_cbranch_execz .LBB94_46
.LBB94_45:
	ds_load_b64 v[3:4], v21
	s_waitcnt lgkmcnt(0)
	ds_store_b64 v31, v[3:4] offset:24
.LBB94_46:
	s_or_b32 exec_lo, exec_lo, s2
	s_waitcnt lgkmcnt(0)
	s_barrier
	buffer_gl0_inv
	ds_load_b64 v[7:8], v29
	ds_load_b128 v[3:6], v32 offset:256
	v_cmp_eq_u32_e64 s2, 1, v11
	s_waitcnt lgkmcnt(0)
	v_fma_f64 v[3:4], v[7:8], v[3:4], 0
	ds_load_2addr_b64 v[7:10], v30 offset1:33
	s_waitcnt lgkmcnt(0)
	v_fma_f64 v[7:8], v[7:8], v[5:6], v[3:4]
	ds_load_b128 v[3:6], v32 offset:272
	ds_load_b64 v[16:17], v21
	s_waitcnt lgkmcnt(0)
	s_barrier
	buffer_gl0_inv
	v_fma_f64 v[3:4], v[9:10], v[3:4], v[7:8]
	s_delay_alu instid0(VALU_DEP_1)
	v_fma_f64 v[3:4], v[16:17], v[5:6], v[3:4]
	ds_store_b64 v28, v[3:4]
	s_waitcnt lgkmcnt(0)
	s_barrier
	buffer_gl0_inv
	s_and_saveexec_b32 s3, s2
	s_cbranch_execz .LBB94_48
; %bb.47:
	ds_load_2addr_b64 v[3:6], v23 offset1:1
	ds_load_2addr_b64 v[7:10], v23 offset0:2 offset1:3
	s_waitcnt lgkmcnt(1)
	v_add_f64 v[3:4], v[3:4], v[5:6]
	s_waitcnt lgkmcnt(0)
	s_delay_alu instid0(VALU_DEP_1) | instskip(NEXT) | instid1(VALU_DEP_1)
	v_add_f64 v[3:4], v[3:4], v[7:8]
	v_add_f64 v[16:17], v[3:4], v[9:10]
	ds_load_2addr_b64 v[3:6], v23 offset0:4 offset1:5
	ds_load_2addr_b64 v[7:10], v23 offset0:6 offset1:7
	s_waitcnt lgkmcnt(1)
	v_add_f64 v[3:4], v[16:17], v[3:4]
	s_delay_alu instid0(VALU_DEP_1) | instskip(SKIP_1) | instid1(VALU_DEP_1)
	v_add_f64 v[3:4], v[3:4], v[5:6]
	s_waitcnt lgkmcnt(0)
	v_add_f64 v[3:4], v[3:4], v[7:8]
	s_delay_alu instid0(VALU_DEP_1)
	v_add_f64 v[26:27], v[3:4], v[9:10]
.LBB94_48:
	s_or_b32 exec_lo, exec_lo, s3
	v_add_co_u32 v3, vcc_lo, 0xffffff00, v1
	v_add_co_ci_u32_e32 v4, vcc_lo, -1, v2, vcc_lo
	s_and_b32 vcc_lo, exec_lo, s20
	s_barrier
	buffer_gl0_inv
	s_cbranch_vccz .LBB94_61
; %bb.49:
	v_sub_co_u32 v5, vcc_lo, v1, v18
	s_ashr_i32 s9, s8, 31
	v_subrev_co_ci_u32_e32 v6, vcc_lo, 0, v2, vcc_lo
	s_lshl_b64 s[4:5], s[8:9], 3
	s_sub_i32 s6, s8, 32
	v_add_co_u32 v5, vcc_lo, v5, s4
	s_delay_alu instid0(VALU_DEP_2) | instskip(SKIP_1) | instid1(VALU_DEP_2)
	v_add_co_ci_u32_e32 v6, vcc_lo, s5, v6, vcc_lo
	s_mov_b32 s9, exec_lo
	v_add_co_u32 v5, vcc_lo, 0xfffffef8, v5
	s_delay_alu instid0(VALU_DEP_2) | instskip(SKIP_2) | instid1(VALU_DEP_4)
	v_add_co_ci_u32_e32 v6, vcc_lo, -1, v6, vcc_lo
	v_cmp_gt_i32_e32 vcc_lo, s8, v0
	v_mov_b32_e32 v9, 0
	v_dual_mov_b32 v10, 0 :: v_dual_cndmask_b32 v5, v5, v3
	s_delay_alu instid0(VALU_DEP_2) | instskip(NEXT) | instid1(VALU_DEP_2)
	v_dual_cndmask_b32 v6, v6, v4 :: v_dual_mov_b32 v7, v9
	v_mov_b32_e32 v8, v10
	v_cmpx_gt_i32_e64 s6, v11
	s_cbranch_execz .LBB94_51
; %bb.50:
	global_load_b64 v[7:8], v[5:6], off
.LBB94_51:
	s_or_b32 exec_lo, exec_lo, s9
	v_add_nc_u32_e32 v31, 8, v11
	v_add_lshl_u32 v34, v20, v0, 3
	s_mov_b32 s9, exec_lo
	s_waitcnt vmcnt(0)
	ds_store_b64 v34, v[7:8]
	v_cmpx_gt_i32_e64 s6, v31
	s_cbranch_execz .LBB94_53
; %bb.52:
	s_lshl_b64 s[16:17], s[24:25], 6
	s_delay_alu instid0(SALU_CYCLE_1) | instskip(NEXT) | instid1(VALU_DEP_1)
	v_add_co_u32 v7, s3, v5, s16
	v_add_co_ci_u32_e64 v8, s3, s17, v6, s3
	global_load_b64 v[9:10], v[7:8], off
.LBB94_53:
	s_or_b32 exec_lo, exec_lo, s9
	v_mov_b32_e32 v7, 0
	v_dual_mov_b32 v8, 0 :: v_dual_add_nc_u32 v33, 16, v11
	s_mov_b32 s9, exec_lo
	s_waitcnt vmcnt(0)
	ds_store_b64 v34, v[9:10] offset:2112
	v_dual_mov_b32 v17, v8 :: v_dual_mov_b32 v16, v7
	v_cmpx_gt_i32_e64 s6, v33
	s_cbranch_execz .LBB94_55
; %bb.54:
	s_lshl_b64 s[16:17], s[24:25], 7
	s_delay_alu instid0(SALU_CYCLE_1) | instskip(NEXT) | instid1(VALU_DEP_1)
	v_add_co_u32 v9, s3, v5, s16
	v_add_co_ci_u32_e64 v10, s3, s17, v6, s3
	global_load_b64 v[16:17], v[9:10], off
.LBB94_55:
	s_or_b32 exec_lo, exec_lo, s9
	v_add_nc_u32_e32 v9, 24, v11
	s_waitcnt vmcnt(0)
	ds_store_b64 v34, v[16:17] offset:4224
	v_cmp_gt_i32_e64 s3, s6, v9
	s_delay_alu instid0(VALU_DEP_1)
	s_and_saveexec_b32 s6, s3
	s_cbranch_execz .LBB94_57
; %bb.56:
	v_mad_u64_u32 v[7:8], null, 0xc0, s24, v[5:6]
	s_delay_alu instid0(VALU_DEP_1) | instskip(NEXT) | instid1(VALU_DEP_1)
	v_mad_u64_u32 v[16:17], null, 0xc0, s25, v[8:9]
	v_mov_b32_e32 v8, v16
	global_load_b64 v[7:8], v[7:8], off
.LBB94_57:
	s_or_b32 exec_lo, exec_lo, s6
	v_add_co_u32 v5, s3, v5, v18
	s_delay_alu instid0(VALU_DEP_1) | instskip(SKIP_3) | instid1(VALU_DEP_1)
	v_add_co_ci_u32_e64 v6, s3, 0, v6, s3
	s_waitcnt vmcnt(0)
	ds_store_b64 v34, v[7:8] offset:6336
	v_sub_co_u32 v5, s3, v5, s4
	v_subrev_co_ci_u32_e64 v6, s3, s5, v6, s3
	s_delay_alu instid0(VALU_DEP_2) | instskip(NEXT) | instid1(VALU_DEP_1)
	v_add_co_u32 v5, s3, v5, 8
	v_add_co_ci_u32_e64 v6, s3, 0, v6, s3
	s_delay_alu instid0(VALU_DEP_1)
	v_dual_cndmask_b32 v16, v5, v3 :: v_dual_cndmask_b32 v17, v6, v4
	s_branch .LBB94_63
.LBB94_58:
	ds_load_b64 v[3:4], v29
	s_waitcnt lgkmcnt(0)
	ds_store_b64 v31, v[3:4]
	s_or_b32 exec_lo, exec_lo, s6
	s_and_saveexec_b32 s2, s3
	s_cbranch_execz .LBB94_43
.LBB94_59:
	ds_load_b64 v[3:4], v30
	s_waitcnt lgkmcnt(0)
	ds_store_b64 v31, v[3:4] offset:8
	s_or_b32 exec_lo, exec_lo, s2
	s_and_saveexec_b32 s2, s4
	s_cbranch_execz .LBB94_44
.LBB94_60:
	ds_load_b64 v[3:4], v30 offset:264
	s_waitcnt lgkmcnt(0)
	ds_store_b64 v31, v[3:4] offset:16
	s_or_b32 exec_lo, exec_lo, s2
	v_add_nc_u32_e32 v32, 0x2380, v32
	s_and_saveexec_b32 s2, s5
	s_cbranch_execnz .LBB94_45
	s_branch .LBB94_46
.LBB94_61:
                                        ; implicit-def: $vgpr16_vgpr17
                                        ; implicit-def: $vgpr31
                                        ; implicit-def: $vgpr33
                                        ; implicit-def: $vgpr9
	s_cbranch_execz .LBB94_63
; %bb.62:
	v_mad_u64_u32 v[5:6], null, 0xc0, s24, v[1:2]
	s_lshl_b64 s[4:5], s[24:25], 6
	v_add_lshl_u32 v0, v20, v0, 3
	v_add_nc_u32_e32 v33, 16, v11
	v_add_nc_u32_e32 v31, 8, v11
	s_delay_alu instid0(VALU_DEP_4) | instskip(SKIP_2) | instid1(VALU_DEP_2)
	v_mad_u64_u32 v[7:8], null, 0xc0, s25, v[6:7]
	v_add_co_u32 v8, vcc_lo, v1, s4
	v_add_co_ci_u32_e32 v9, vcc_lo, s5, v2, vcc_lo
	v_add_co_u32 v16, vcc_lo, v8, s4
	s_delay_alu instid0(VALU_DEP_2)
	v_add_co_ci_u32_e32 v17, vcc_lo, s5, v9, vcc_lo
	v_mov_b32_e32 v6, v7
	s_clause 0x3
	global_load_b64 v[1:2], v[1:2], off offset:-256
	global_load_b64 v[7:8], v[8:9], off offset:-256
	;; [unrolled: 1-line block ×4, first 2 shown]
	v_mov_b32_e32 v17, v4
	v_dual_mov_b32 v16, v3 :: v_dual_add_nc_u32 v9, 24, v11
	s_waitcnt vmcnt(3)
	ds_store_b64 v0, v[1:2]
	s_waitcnt vmcnt(2)
	ds_store_b64 v0, v[7:8] offset:2112
	s_waitcnt vmcnt(1)
	ds_store_b64 v0, v[34:35] offset:4224
	;; [unrolled: 2-line block ×3, first 2 shown]
.LBB94_63:
	v_lshlrev_b32_e32 v0, 3, v11
	s_waitcnt lgkmcnt(0)
	s_barrier
	buffer_gl0_inv
	v_add_lshl_u32 v8, v31, v19, 3
	ds_load_b64 v[4:5], v0 offset:9088
	ds_load_b64 v[6:7], v28
	v_lshlrev_b32_e32 v18, 3, v31
	v_add_lshl_u32 v20, v33, v19, 3
	ds_load_b128 v[0:3], v32 offset:272
	ds_load_b64 v[10:11], v8
	ds_load_b64 v[34:35], v18 offset:9088
	ds_load_b64 v[36:37], v20
	v_add_lshl_u32 v8, v9, v19, 3
	s_waitcnt lgkmcnt(4)
	v_fma_f64 v[4:5], v[6:7], v[4:5], 0
	v_lshlrev_b32_e32 v6, 3, v33
	ds_load_b64 v[6:7], v6 offset:9088
	s_waitcnt lgkmcnt(2)
	v_fma_f64 v[4:5], v[10:11], v[34:35], v[4:5]
	v_lshlrev_b32_e32 v10, 3, v9
	ds_load_b64 v[8:9], v8
	ds_load_b64 v[10:11], v10 offset:9088
	ds_load_b64 v[18:19], v21
	s_waitcnt lgkmcnt(3)
	v_fma_f64 v[4:5], v[36:37], v[6:7], v[4:5]
	s_waitcnt lgkmcnt(1)
	s_delay_alu instid0(VALU_DEP_1)
	v_fma_f64 v[33:34], v[8:9], v[10:11], v[4:5]
	ds_load_b64 v[20:21], v29
	ds_load_b128 v[8:11], v32 offset:256
	ds_load_2addr_b64 v[4:7], v30 offset1:33
	s_waitcnt lgkmcnt(0)
	s_barrier
	buffer_gl0_inv
	ds_store_b64 v28, v[33:34]
	s_waitcnt lgkmcnt(0)
	s_barrier
	buffer_gl0_inv
	s_and_saveexec_b32 s3, s2
	s_cbranch_execz .LBB94_65
; %bb.64:
	ds_load_2addr_b64 v[29:32], v23 offset1:1
	ds_load_2addr_b64 v[33:36], v23 offset0:2 offset1:3
	s_waitcnt lgkmcnt(1)
	v_add_f64 v[26:27], v[26:27], v[29:30]
	s_delay_alu instid0(VALU_DEP_1) | instskip(SKIP_1) | instid1(VALU_DEP_1)
	v_add_f64 v[26:27], v[26:27], v[31:32]
	s_waitcnt lgkmcnt(0)
	v_add_f64 v[26:27], v[26:27], v[33:34]
	s_delay_alu instid0(VALU_DEP_1) | instskip(SKIP_4) | instid1(VALU_DEP_1)
	v_add_f64 v[26:27], v[26:27], v[35:36]
	ds_load_2addr_b64 v[29:32], v23 offset0:4 offset1:5
	ds_load_2addr_b64 v[33:36], v23 offset0:6 offset1:7
	s_waitcnt lgkmcnt(1)
	v_add_f64 v[26:27], v[26:27], v[29:30]
	v_add_f64 v[26:27], v[26:27], v[31:32]
	s_waitcnt lgkmcnt(0)
	s_delay_alu instid0(VALU_DEP_1) | instskip(NEXT) | instid1(VALU_DEP_1)
	v_add_f64 v[26:27], v[26:27], v[33:34]
	v_add_f64 v[26:27], v[26:27], v[35:36]
.LBB94_65:
	s_or_b32 exec_lo, exec_lo, s3
	v_fma_f64 v[8:9], v[20:21], v[8:9], 0
	s_barrier
	buffer_gl0_inv
	v_fma_f64 v[4:5], v[4:5], v[10:11], v[8:9]
	s_delay_alu instid0(VALU_DEP_1) | instskip(NEXT) | instid1(VALU_DEP_1)
	v_fma_f64 v[0:1], v[6:7], v[0:1], v[4:5]
	v_fma_f64 v[0:1], v[18:19], v[2:3], v[0:1]
	ds_store_b64 v28, v[0:1]
	s_waitcnt lgkmcnt(0)
	s_barrier
	buffer_gl0_inv
	s_and_saveexec_b32 s2, s1
	s_cbranch_execz .LBB94_67
; %bb.66:
	ds_load_2addr_b64 v[0:3], v23 offset1:1
	ds_load_2addr_b64 v[4:7], v23 offset0:2 offset1:3
	s_waitcnt lgkmcnt(1)
	v_add_f64 v[0:1], v[26:27], v[0:1]
	s_delay_alu instid0(VALU_DEP_1) | instskip(SKIP_1) | instid1(VALU_DEP_1)
	v_add_f64 v[0:1], v[0:1], v[2:3]
	s_waitcnt lgkmcnt(0)
	v_add_f64 v[0:1], v[0:1], v[4:5]
	s_delay_alu instid0(VALU_DEP_1) | instskip(SKIP_4) | instid1(VALU_DEP_1)
	v_add_f64 v[8:9], v[0:1], v[6:7]
	ds_load_2addr_b64 v[0:3], v23 offset0:4 offset1:5
	ds_load_2addr_b64 v[4:7], v23 offset0:6 offset1:7
	s_waitcnt lgkmcnt(1)
	v_add_f64 v[0:1], v[8:9], v[0:1]
	v_add_f64 v[0:1], v[0:1], v[2:3]
	s_waitcnt lgkmcnt(0)
	s_delay_alu instid0(VALU_DEP_1) | instskip(NEXT) | instid1(VALU_DEP_1)
	v_add_f64 v[0:1], v[0:1], v[4:5]
	v_add_f64 v[26:27], v[0:1], v[6:7]
.LBB94_67:
	s_or_b32 exec_lo, exec_lo, s2
	s_mul_hi_u32 s1, s33, s15
	s_mul_i32 s28, s28, s15
	s_mul_i32 s2, s33, s15
	s_add_i32 s1, s1, s28
	s_mul_hi_u32 s3, s2, s7
	s_mul_i32 s1, s1, s7
	s_mul_i32 s2, s2, s7
	s_add_i32 s3, s3, s1
	s_mul_hi_i32 s5, s33, s14
	s_lshl_b64 s[2:3], s[2:3], 3
	s_mul_i32 s4, s33, s14
	s_add_u32 s1, s12, s2
	s_addc_u32 s2, s13, s3
	s_lshl_b64 s[4:5], s[4:5], 3
	v_lshlrev_b32_e32 v94, 3, v92
	s_add_u32 s3, s1, s4
	s_addc_u32 s6, s2, s5
	s_add_i32 s1, s14, 1
	s_delay_alu instid0(SALU_CYCLE_1)
	s_cmp_ge_u32 s1, s7
	s_barrier
	buffer_gl0_inv
	s_cbranch_scc1 .LBB94_124
; %bb.68:
	v_lshrrev_b32_e32 v8, 4, v22
	v_lshlrev_b32_e32 v9, 5, v93
	v_and_b32_e32 v7, 15, v92
	v_or_b32_e32 v1, 0x78, v94
	s_mul_i32 s1, s10, s37
	v_lshlrev_b32_e32 v2, 5, v8
	v_add_nc_u32_e32 v11, 0x110, v9
	v_add_nc_u32_e32 v10, 0x100, v9
	v_mad_u32_u24 v101, 0x218, v7, v1
	s_mul_hi_u32 s2, s10, s36
	v_mad_u32_u24 v102, 0x218, v7, v2
	v_mad_u64_u32 v[2:3], null, s24, v11, 0
	v_and_b32_e32 v6, 48, v92
	s_mul_i32 s4, s11, s36
	s_add_i32 s1, s2, s1
	v_mad_u32_u24 v107, 0x860, v93, v94
	s_add_i32 s5, s1, s4
	v_lshlrev_b32_e32 v0, 3, v6
	s_mul_i32 s4, s10, s36
	v_cmp_gt_u32_e64 s1, 64, v22
	s_lshl_b64 s[4:5], s[4:5], 3
	s_add_i32 s9, s7, -2
	v_mad_u32_u24 v100, 0x218, v7, v0
	v_mad_u64_u32 v[0:1], null, s24, v10, 0
	v_sub_co_u32 v96, vcc_lo, v14, s4
	v_subrev_co_ci_u32_e32 v97, vcc_lo, s5, v15, vcc_lo
	v_mul_i32_i24_e32 v14, 0xffffffe8, v8
	s_add_i32 s10, s10, 64
	s_delay_alu instid0(VALU_DEP_4) | instskip(SKIP_4) | instid1(VALU_DEP_4)
	v_mad_u64_u32 v[4:5], null, s25, v10, v[1:2]
	v_dual_mov_b32 v1, v3 :: v_dual_add_nc_u32 v10, 0x108, v9
	v_or_b32_e32 v120, v6, v7
	v_add_nc_u32_e32 v98, 0x2180, v94
	v_add_nc_u32_e32 v153, v102, v14
	v_mad_u64_u32 v[5:6], null, s24, v10, 0
	v_mov_b32_e32 v7, v4
	v_mad_u64_u32 v[3:4], null, s25, v11, v[1:2]
	v_sub_co_u32 v1, vcc_lo, v0, v12
	s_delay_alu instid0(VALU_DEP_4) | instskip(NEXT) | instid1(VALU_DEP_4)
	v_dual_mov_b32 v0, v6 :: v_dual_lshlrev_b32 v95, 2, v93
	v_sub_co_ci_u32_e32 v4, vcc_lo, v7, v13, vcc_lo
	s_delay_alu instid0(VALU_DEP_3) | instskip(SKIP_1) | instid1(VALU_DEP_3)
	v_add_co_u32 v121, vcc_lo, v16, v1
	v_mov_b32_e32 v7, v3
	v_add_co_ci_u32_e32 v122, vcc_lo, v17, v4, vcc_lo
	v_mad_u64_u32 v[3:4], null, s25, v10, v[0:1]
	v_sub_co_u32 v2, vcc_lo, v2, v12
	v_add_nc_u32_e32 v6, 0x118, v9
	v_sub_co_ci_u32_e32 v4, vcc_lo, v7, v13, vcc_lo
	v_add_nc_u32_e32 v10, 0x180, v9
	s_delay_alu instid0(VALU_DEP_4) | instskip(NEXT) | instid1(VALU_DEP_4)
	v_add_co_u32 v123, vcc_lo, v16, v2
	v_mad_u64_u32 v[0:1], null, s24, v6, 0
	s_delay_alu instid0(VALU_DEP_4) | instskip(SKIP_4) | instid1(VALU_DEP_4)
	v_add_co_ci_u32_e32 v124, vcc_lo, v17, v4, vcc_lo
	v_mov_b32_e32 v4, v3
	v_mad_u64_u32 v[2:3], null, s24, v10, 0
	v_add_nc_u32_e32 v11, 0x188, v9
	v_sub_co_u32 v7, vcc_lo, v5, v12
	v_sub_co_ci_u32_e32 v8, vcc_lo, v4, v13, vcc_lo
	v_or_b32_e32 v103, 1, v95
	v_mad_u64_u32 v[4:5], null, s25, v6, v[1:2]
	v_mad_u64_u32 v[5:6], null, s24, v11, 0
	v_mov_b32_e32 v1, v3
	v_add_co_u32 v125, vcc_lo, v16, v7
	s_delay_alu instid0(VALU_DEP_4) | instskip(SKIP_1) | instid1(VALU_DEP_4)
	v_dual_mov_b32 v3, v4 :: v_dual_add_nc_u32 v108, 16, v95
	v_add_co_ci_u32_e32 v126, vcc_lo, v17, v8, vcc_lo
	v_mad_u64_u32 v[7:8], null, s25, v10, v[1:2]
	v_mov_b32_e32 v1, v6
	v_sub_co_u32 v6, vcc_lo, v0, v12
	v_sub_co_ci_u32_e32 v8, vcc_lo, v3, v13, vcc_lo
	v_add_nc_u32_e32 v10, 0x190, v9
	s_delay_alu instid0(VALU_DEP_4) | instskip(NEXT) | instid1(VALU_DEP_4)
	v_mad_u64_u32 v[3:4], null, s25, v11, v[1:2]
	v_add_co_u32 v127, vcc_lo, v16, v6
	s_delay_alu instid0(VALU_DEP_3)
	v_mad_u64_u32 v[0:1], null, s24, v10, 0
	v_add_co_ci_u32_e32 v128, vcc_lo, v17, v8, vcc_lo
	v_add_nc_u32_e32 v99, 0x2380, v94
	v_sub_co_u32 v6, vcc_lo, v2, v12
	v_mov_b32_e32 v2, v3
	v_add_nc_u32_e32 v8, 0x198, v9
	v_sub_co_ci_u32_e32 v7, vcc_lo, v7, v13, vcc_lo
	v_sub_co_u32 v5, vcc_lo, v5, v12
	s_delay_alu instid0(VALU_DEP_4)
	v_sub_co_ci_u32_e32 v11, vcc_lo, v2, v13, vcc_lo
	v_mad_u64_u32 v[2:3], null, s25, v10, v[1:2]
	v_mad_u64_u32 v[3:4], null, s24, v8, 0
	v_add_co_u32 v129, vcc_lo, v16, v6
	v_add_nc_u32_e32 v10, 0x200, v9
	v_add_co_ci_u32_e32 v130, vcc_lo, v17, v7, vcc_lo
	v_add_co_u32 v131, vcc_lo, v16, v5
	v_add_co_ci_u32_e32 v132, vcc_lo, v17, v11, vcc_lo
	v_dual_mov_b32 v1, v4 :: v_dual_add_nc_u32 v110, 18, v95
	v_sub_co_u32 v0, vcc_lo, v0, v12
	v_mad_u64_u32 v[4:5], null, s24, v10, 0
	v_sub_co_ci_u32_e32 v2, vcc_lo, v2, v13, vcc_lo
	s_delay_alu instid0(VALU_DEP_3) | instskip(SKIP_1) | instid1(VALU_DEP_3)
	v_add_co_u32 v133, vcc_lo, v16, v0
	v_or_b32_e32 v104, 2, v95
	v_mad_u64_u32 v[6:7], null, s25, v8, v[1:2]
	v_dual_mov_b32 v0, v5 :: v_dual_add_nc_u32 v7, 0x208, v9
	v_add_co_ci_u32_e32 v134, vcc_lo, v17, v2, vcc_lo
	v_add_nc_u32_e32 v109, 17, v95
	v_sub_co_u32 v3, vcc_lo, v3, v12
	v_mov_b32_e32 v8, v6
	v_mad_u64_u32 v[1:2], null, s24, v7, 0
	v_add_nc_u32_e32 v111, 19, v95
	v_add_nc_u32_e32 v15, 0x280, v9
	v_or_b32_e32 v105, 3, v95
	v_add_nc_u32_e32 v116, 48, v95
	v_add_nc_u32_e32 v118, 50, v95
	s_lshl_b64 s[4:5], s[24:25], 9
	v_mad_u64_u32 v[5:6], null, s25, v10, v[0:1]
	v_sub_co_ci_u32_e32 v6, vcc_lo, v8, v13, vcc_lo
	v_dual_mov_b32 v0, v2 :: v_dual_add_nc_u32 v113, 33, v95
	v_add_co_u32 v135, vcc_lo, v16, v3
	s_delay_alu instid0(VALU_DEP_4) | instskip(SKIP_4) | instid1(VALU_DEP_4)
	v_mov_b32_e32 v10, v5
	v_add_nc_u32_e32 v8, 0x210, v9
	v_add_co_ci_u32_e32 v136, vcc_lo, v17, v6, vcc_lo
	v_mad_u64_u32 v[2:3], null, s25, v7, v[0:1]
	v_sub_co_u32 v0, vcc_lo, v4, v12
	v_mad_u64_u32 v[5:6], null, s24, v8, 0
	v_sub_co_ci_u32_e32 v3, vcc_lo, v10, v13, vcc_lo
	v_add_nc_u32_e32 v10, 0x218, v9
	s_delay_alu instid0(VALU_DEP_4) | instskip(SKIP_1) | instid1(VALU_DEP_4)
	v_add_co_u32 v137, vcc_lo, v16, v0
	v_dual_mov_b32 v4, v2 :: v_dual_add_nc_u32 v115, 35, v95
	v_add_co_ci_u32_e32 v138, vcc_lo, v17, v3, vcc_lo
	s_delay_alu instid0(VALU_DEP_4) | instskip(SKIP_4) | instid1(VALU_DEP_3)
	v_mad_u64_u32 v[2:3], null, s24, v10, 0
	v_mov_b32_e32 v0, v6
	v_sub_co_u32 v1, vcc_lo, v1, v12
	v_add_nc_u32_e32 v117, 49, v95
	v_sub_co_ci_u32_e32 v11, vcc_lo, v4, v13, vcc_lo
	v_mad_u64_u32 v[6:7], null, s25, v8, v[0:1]
	v_mov_b32_e32 v0, v3
	v_mad_u64_u32 v[3:4], null, s24, v15, 0
	v_add_nc_u32_e32 v106, 0x2180, v9
	v_add_nc_u32_e32 v119, 51, v95
	v_add_co_u32 v139, vcc_lo, v16, v1
	v_mad_u64_u32 v[7:8], null, s25, v10, v[0:1]
	v_dual_mov_b32 v0, v4 :: v_dual_mov_b32 v1, v6
	v_add_nc_u32_e32 v10, 0x288, v9
	v_add_co_ci_u32_e32 v140, vcc_lo, v17, v11, vcc_lo
	v_sub_co_u32 v6, vcc_lo, v5, v12
	s_delay_alu instid0(VALU_DEP_4) | instskip(SKIP_2) | instid1(VALU_DEP_4)
	v_sub_co_ci_u32_e32 v8, vcc_lo, v1, v13, vcc_lo
	v_mad_u64_u32 v[4:5], null, s25, v15, v[0:1]
	v_mad_u64_u32 v[0:1], null, s24, v10, 0
	v_add_co_u32 v141, vcc_lo, v16, v6
	v_add_nc_u32_e32 v15, 0x290, v9
	v_add_nc_u32_e32 v9, 0x298, v9
	v_add_co_ci_u32_e32 v142, vcc_lo, v17, v8, vcc_lo
	v_sub_co_u32 v8, vcc_lo, v2, v12
	v_dual_mov_b32 v11, v4 :: v_dual_add_nc_u32 v112, 32, v95
	v_mad_u64_u32 v[4:5], null, s25, v10, v[1:2]
	v_sub_co_ci_u32_e32 v7, vcc_lo, v7, v13, vcc_lo
	v_mad_u64_u32 v[5:6], null, s24, v9, 0
	v_add_co_u32 v143, vcc_lo, v16, v8
	v_mad_u64_u32 v[1:2], null, s24, v15, 0
	s_delay_alu instid0(VALU_DEP_4)
	v_add_co_ci_u32_e32 v144, vcc_lo, v17, v7, vcc_lo
	v_sub_co_u32 v10, vcc_lo, v3, v12
	v_dual_mov_b32 v3, v6 :: v_dual_add_nc_u32 v114, 34, v95
	v_sub_co_ci_u32_e32 v11, vcc_lo, v11, v13, vcc_lo
	v_sub_co_u32 v0, vcc_lo, v0, v12
	v_sub_co_ci_u32_e32 v4, vcc_lo, v4, v13, vcc_lo
	s_delay_alu instid0(VALU_DEP_4) | instskip(SKIP_1) | instid1(VALU_DEP_3)
	v_mad_u64_u32 v[6:7], null, s25, v15, v[2:3]
	v_add_co_u32 v145, vcc_lo, v16, v10
	v_mad_u64_u32 v[7:8], null, s25, v9, v[3:4]
	v_add_co_ci_u32_e32 v146, vcc_lo, v17, v11, vcc_lo
	v_add_co_u32 v147, vcc_lo, v16, v0
	v_mov_b32_e32 v0, v6
	v_add_co_ci_u32_e32 v148, vcc_lo, v17, v4, vcc_lo
	v_mov_b32_e32 v2, v7
	v_sub_co_u32 v1, vcc_lo, v1, v12
	s_delay_alu instid0(VALU_DEP_4) | instskip(SKIP_1) | instid1(VALU_DEP_4)
	v_sub_co_ci_u32_e32 v0, vcc_lo, v0, v13, vcc_lo
	v_sub_co_u32 v3, vcc_lo, v5, v12
	v_sub_co_ci_u32_e32 v2, vcc_lo, v2, v13, vcc_lo
	s_delay_alu instid0(VALU_DEP_4) | instskip(NEXT) | instid1(VALU_DEP_4)
	v_add_co_u32 v149, vcc_lo, v16, v1
	v_add_co_ci_u32_e32 v150, vcc_lo, v17, v0, vcc_lo
	s_delay_alu instid0(VALU_DEP_4) | instskip(NEXT) | instid1(VALU_DEP_4)
	v_add_co_u32 v151, vcc_lo, v16, v3
	v_add_co_ci_u32_e32 v152, vcc_lo, v17, v2, vcc_lo
	s_cmp_eq_u32 s9, s14
	s_cselect_b32 s11, s18, 0
	s_and_saveexec_b32 s2, s0
	s_cbranch_execz .LBB94_72
.LBB94_69:
	v_cmp_gt_i32_e32 vcc_lo, s11, v92
	s_cmp_eq_u32 s11, 0
	v_mov_b32_e32 v0, 0
	v_mov_b32_e32 v1, 0
	s_cselect_b32 s12, -1, 0
	s_delay_alu instid0(SALU_CYCLE_1) | instskip(NEXT) | instid1(SALU_CYCLE_1)
	s_or_b32 s13, s12, vcc_lo
	s_and_saveexec_b32 s12, s13
	s_cbranch_execz .LBB94_71
; %bb.70:
	s_mul_i32 s13, s10, s37
	s_mul_hi_u32 s15, s10, s36
	s_ashr_i32 s16, s10, 31
	s_add_i32 s13, s15, s13
	s_mul_i32 s16, s16, s36
	s_delay_alu instid0(SALU_CYCLE_1) | instskip(SKIP_1) | instid1(SALU_CYCLE_1)
	s_add_i32 s17, s13, s16
	s_mul_i32 s16, s10, s36
	s_lshl_b64 s[16:17], s[16:17], 3
	s_delay_alu instid0(SALU_CYCLE_1)
	v_add_co_u32 v0, vcc_lo, v96, s16
	v_add_co_ci_u32_e32 v1, vcc_lo, s17, v97, vcc_lo
	global_load_b64 v[0:1], v[0:1], off
.LBB94_71:
	s_or_b32 exec_lo, exec_lo, s12
	s_waitcnt vmcnt(0)
	ds_store_b64 v98, v[0:1]
.LBB94_72:                              ; =>This Inner Loop Header: Depth=1
	s_or_b32 exec_lo, exec_lo, s2
	s_cmp_eq_u32 s11, 0
	v_add_co_u32 v0, vcc_lo, v121, v94
	s_cselect_b32 s12, -1, 0
	s_cmp_lg_u32 s11, 0
	v_add_co_ci_u32_e32 v1, vcc_lo, 0, v122, vcc_lo
	s_cselect_b32 s2, -1, 0
	s_waitcnt lgkmcnt(0)
	s_and_b32 vcc_lo, exec_lo, s2
	s_barrier
	buffer_gl0_inv
	s_cbranch_vccz .LBB94_120
; %bb.73:                               ;   in Loop: Header=BB94_72 Depth=1
	v_mov_b32_e32 v30, 0
	v_mov_b32_e32 v31, 0
	s_delay_alu instid0(VALU_DEP_2) | instskip(SKIP_1) | instid1(VALU_DEP_2)
	v_mov_b32_e32 v28, v30
	s_mov_b32 s13, exec_lo
	v_mov_b32_e32 v29, v31
	v_cmpx_gt_i32_e64 s11, v95
	s_cbranch_execz .LBB94_75
; %bb.74:                               ;   in Loop: Header=BB94_72 Depth=1
	global_load_b64 v[28:29], v[0:1], off
.LBB94_75:                              ;   in Loop: Header=BB94_72 Depth=1
	s_or_b32 exec_lo, exec_lo, s13
	s_delay_alu instid0(SALU_CYCLE_1)
	s_mov_b32 s13, exec_lo
	v_cmpx_gt_i32_e64 s11, v103
	s_cbranch_execz .LBB94_77
; %bb.76:                               ;   in Loop: Header=BB94_72 Depth=1
	v_add_co_u32 v2, vcc_lo, v125, v94
	v_add_co_ci_u32_e32 v3, vcc_lo, 0, v126, vcc_lo
	global_load_b64 v[30:31], v[2:3], off
.LBB94_77:                              ;   in Loop: Header=BB94_72 Depth=1
	s_or_b32 exec_lo, exec_lo, s13
	v_mov_b32_e32 v32, 0
	v_mov_b32_e32 v33, 0
	s_mov_b32 s13, exec_lo
	s_delay_alu instid0(VALU_DEP_1)
	v_dual_mov_b32 v35, v33 :: v_dual_mov_b32 v34, v32
	v_cmpx_gt_i32_e64 s11, v104
	s_cbranch_execz .LBB94_79
; %bb.78:                               ;   in Loop: Header=BB94_72 Depth=1
	v_add_co_u32 v2, vcc_lo, v123, v94
	v_add_co_ci_u32_e32 v3, vcc_lo, 0, v124, vcc_lo
	global_load_b64 v[34:35], v[2:3], off
.LBB94_79:                              ;   in Loop: Header=BB94_72 Depth=1
	s_or_b32 exec_lo, exec_lo, s13
	s_delay_alu instid0(SALU_CYCLE_1)
	s_mov_b32 s13, exec_lo
	v_cmpx_gt_i32_e64 s11, v105
	s_cbranch_execz .LBB94_81
; %bb.80:                               ;   in Loop: Header=BB94_72 Depth=1
	v_add_co_u32 v2, vcc_lo, v127, v94
	v_add_co_ci_u32_e32 v3, vcc_lo, 0, v128, vcc_lo
	global_load_b64 v[32:33], v[2:3], off
.LBB94_81:                              ;   in Loop: Header=BB94_72 Depth=1
	s_or_b32 exec_lo, exec_lo, s13
	s_branch .LBB94_83
.LBB94_82:                              ;   in Loop: Header=BB94_72 Depth=1
	v_add_co_u32 v2, vcc_lo, v125, v94
	v_add_co_ci_u32_e32 v3, vcc_lo, 0, v126, vcc_lo
	v_add_co_u32 v4, vcc_lo, v123, v94
	v_add_co_ci_u32_e32 v5, vcc_lo, 0, v124, vcc_lo
	;; [unrolled: 2-line block ×3, first 2 shown]
	global_load_b64 v[28:29], v[0:1], off
	global_load_b64 v[30:31], v[2:3], off
	;; [unrolled: 1-line block ×4, first 2 shown]
.LBB94_83:                              ;   in Loop: Header=BB94_72 Depth=1
	ds_load_b64 v[0:1], v99
	ds_load_b64 v[36:37], v106
	v_add_co_u32 v8, vcc_lo, v129, v94
	v_cndmask_b32_e64 v76, 0, 1, s2
	v_add_co_ci_u32_e32 v9, vcc_lo, 0, v130, vcc_lo
	s_and_not1_b32 vcc_lo, exec_lo, s2
	s_waitcnt vmcnt(0) lgkmcnt(1)
	v_mul_f64 v[2:3], v[28:29], v[0:1]
	v_mul_f64 v[4:5], v[30:31], v[0:1]
	;; [unrolled: 1-line block ×4, first 2 shown]
	ds_store_b64 v107, v[2:3]
	ds_load_b64 v[38:39], v106 offset:8
	ds_store_b64 v107, v[4:5] offset:536
	ds_load_b64 v[40:41], v106 offset:16
	ds_store_b64 v107, v[6:7] offset:1072
	;; [unrolled: 2-line block ×3, first 2 shown]
	s_waitcnt lgkmcnt(0)
	s_barrier
	buffer_gl0_inv
	ds_load_2addr_b64 v[4:7], v102 offset1:1
	ds_load_2addr_b64 v[0:3], v102 offset0:2 offset1:3
	s_waitcnt lgkmcnt(0)
	s_barrier
	buffer_gl0_inv
	s_cbranch_vccnz .LBB94_121
; %bb.84:                               ;   in Loop: Header=BB94_72 Depth=1
	v_mov_b32_e32 v46, 0
	v_mov_b32_e32 v47, 0
	s_delay_alu instid0(VALU_DEP_2) | instskip(SKIP_1) | instid1(VALU_DEP_2)
	v_mov_b32_e32 v44, v46
	s_mov_b32 s2, exec_lo
	v_mov_b32_e32 v45, v47
	v_cmpx_gt_i32_e64 s11, v108
	s_cbranch_execz .LBB94_86
; %bb.85:                               ;   in Loop: Header=BB94_72 Depth=1
	global_load_b64 v[44:45], v[8:9], off
.LBB94_86:                              ;   in Loop: Header=BB94_72 Depth=1
	s_or_b32 exec_lo, exec_lo, s2
	s_delay_alu instid0(SALU_CYCLE_1)
	s_mov_b32 s2, exec_lo
	v_cmpx_gt_i32_e64 s11, v109
	s_cbranch_execz .LBB94_88
; %bb.87:                               ;   in Loop: Header=BB94_72 Depth=1
	v_add_co_u32 v10, vcc_lo, v131, v94
	v_add_co_ci_u32_e32 v11, vcc_lo, 0, v132, vcc_lo
	global_load_b64 v[46:47], v[10:11], off
.LBB94_88:                              ;   in Loop: Header=BB94_72 Depth=1
	s_or_b32 exec_lo, exec_lo, s2
	v_mov_b32_e32 v48, 0
	v_mov_b32_e32 v49, 0
	s_mov_b32 s2, exec_lo
	s_delay_alu instid0(VALU_DEP_1)
	v_dual_mov_b32 v51, v49 :: v_dual_mov_b32 v50, v48
	v_cmpx_gt_i32_e64 s11, v110
	s_cbranch_execz .LBB94_90
; %bb.89:                               ;   in Loop: Header=BB94_72 Depth=1
	v_add_co_u32 v10, vcc_lo, v133, v94
	v_add_co_ci_u32_e32 v11, vcc_lo, 0, v134, vcc_lo
	global_load_b64 v[50:51], v[10:11], off
.LBB94_90:                              ;   in Loop: Header=BB94_72 Depth=1
	s_or_b32 exec_lo, exec_lo, s2
	s_delay_alu instid0(SALU_CYCLE_1)
	s_mov_b32 s2, exec_lo
	v_cmpx_gt_i32_e64 s11, v111
	s_cbranch_execz .LBB94_92
; %bb.91:                               ;   in Loop: Header=BB94_72 Depth=1
	v_add_co_u32 v10, vcc_lo, v135, v94
	v_add_co_ci_u32_e32 v11, vcc_lo, 0, v136, vcc_lo
	global_load_b64 v[48:49], v[10:11], off
.LBB94_92:                              ;   in Loop: Header=BB94_72 Depth=1
	s_or_b32 exec_lo, exec_lo, s2
	s_branch .LBB94_94
.LBB94_93:                              ;   in Loop: Header=BB94_72 Depth=1
	v_add_co_u32 v10, vcc_lo, v131, v94
	v_add_co_ci_u32_e32 v11, vcc_lo, 0, v132, vcc_lo
	v_add_co_u32 v12, vcc_lo, v133, v94
	v_add_co_ci_u32_e32 v13, vcc_lo, 0, v134, vcc_lo
	;; [unrolled: 2-line block ×3, first 2 shown]
	global_load_b64 v[44:45], v[8:9], off
	global_load_b64 v[46:47], v[10:11], off
	;; [unrolled: 1-line block ×4, first 2 shown]
.LBB94_94:                              ;   in Loop: Header=BB94_72 Depth=1
	ds_load_b64 v[8:9], v99
	ds_load_b64 v[52:53], v106 offset:128
	v_cmp_ne_u32_e32 vcc_lo, 1, v76
	v_add_co_u32 v16, s2, v137, v94
	s_delay_alu instid0(VALU_DEP_1)
	v_add_co_ci_u32_e64 v17, s2, 0, v138, s2
	s_and_b32 vcc_lo, exec_lo, vcc_lo
	s_waitcnt vmcnt(0) lgkmcnt(1)
	v_mul_f64 v[10:11], v[44:45], v[8:9]
	v_mul_f64 v[12:13], v[46:47], v[8:9]
	;; [unrolled: 1-line block ×4, first 2 shown]
	ds_store_b64 v107, v[10:11]
	ds_load_b64 v[54:55], v106 offset:136
	ds_store_b64 v107, v[12:13] offset:536
	ds_load_b64 v[56:57], v106 offset:144
	ds_store_b64 v107, v[14:15] offset:1072
	;; [unrolled: 2-line block ×3, first 2 shown]
	s_waitcnt lgkmcnt(0)
	s_barrier
	buffer_gl0_inv
	ds_load_2addr_b64 v[12:15], v102 offset1:1
	ds_load_2addr_b64 v[8:11], v102 offset0:2 offset1:3
	s_waitcnt lgkmcnt(0)
	s_barrier
	buffer_gl0_inv
	s_cbranch_vccnz .LBB94_122
; %bb.95:                               ;   in Loop: Header=BB94_72 Depth=1
	v_mov_b32_e32 v62, 0
	v_mov_b32_e32 v63, 0
	s_delay_alu instid0(VALU_DEP_2) | instskip(SKIP_1) | instid1(VALU_DEP_2)
	v_mov_b32_e32 v60, v62
	s_mov_b32 s2, exec_lo
	v_mov_b32_e32 v61, v63
	v_cmpx_gt_i32_e64 s11, v112
	s_cbranch_execz .LBB94_97
; %bb.96:                               ;   in Loop: Header=BB94_72 Depth=1
	global_load_b64 v[60:61], v[16:17], off
.LBB94_97:                              ;   in Loop: Header=BB94_72 Depth=1
	s_or_b32 exec_lo, exec_lo, s2
	s_delay_alu instid0(SALU_CYCLE_1)
	s_mov_b32 s2, exec_lo
	v_cmpx_gt_i32_e64 s11, v113
	s_cbranch_execz .LBB94_99
; %bb.98:                               ;   in Loop: Header=BB94_72 Depth=1
	v_add_co_u32 v18, vcc_lo, v139, v94
	v_add_co_ci_u32_e32 v19, vcc_lo, 0, v140, vcc_lo
	global_load_b64 v[62:63], v[18:19], off
.LBB94_99:                              ;   in Loop: Header=BB94_72 Depth=1
	s_or_b32 exec_lo, exec_lo, s2
	v_mov_b32_e32 v64, 0
	v_mov_b32_e32 v65, 0
	s_mov_b32 s2, exec_lo
	s_delay_alu instid0(VALU_DEP_1)
	v_dual_mov_b32 v67, v65 :: v_dual_mov_b32 v66, v64
	v_cmpx_gt_i32_e64 s11, v114
	s_cbranch_execz .LBB94_101
; %bb.100:                              ;   in Loop: Header=BB94_72 Depth=1
	v_add_co_u32 v18, vcc_lo, v141, v94
	v_add_co_ci_u32_e32 v19, vcc_lo, 0, v142, vcc_lo
	global_load_b64 v[66:67], v[18:19], off
.LBB94_101:                             ;   in Loop: Header=BB94_72 Depth=1
	s_or_b32 exec_lo, exec_lo, s2
	s_delay_alu instid0(SALU_CYCLE_1)
	s_mov_b32 s2, exec_lo
	v_cmpx_gt_i32_e64 s11, v115
	s_cbranch_execz .LBB94_103
; %bb.102:                              ;   in Loop: Header=BB94_72 Depth=1
	v_add_co_u32 v18, vcc_lo, v143, v94
	v_add_co_ci_u32_e32 v19, vcc_lo, 0, v144, vcc_lo
	global_load_b64 v[64:65], v[18:19], off
.LBB94_103:                             ;   in Loop: Header=BB94_72 Depth=1
	s_or_b32 exec_lo, exec_lo, s2
	s_branch .LBB94_105
.LBB94_104:                             ;   in Loop: Header=BB94_72 Depth=1
	v_add_co_u32 v18, vcc_lo, v139, v94
	v_add_co_ci_u32_e32 v19, vcc_lo, 0, v140, vcc_lo
	v_add_co_u32 v20, vcc_lo, v141, v94
	v_add_co_ci_u32_e32 v21, vcc_lo, 0, v142, vcc_lo
	;; [unrolled: 2-line block ×3, first 2 shown]
	global_load_b64 v[60:61], v[16:17], off
	global_load_b64 v[62:63], v[18:19], off
	;; [unrolled: 1-line block ×4, first 2 shown]
.LBB94_105:                             ;   in Loop: Header=BB94_72 Depth=1
	ds_load_b64 v[16:17], v99
	ds_load_b64 v[68:69], v106 offset:256
	v_cmp_ne_u32_e32 vcc_lo, 1, v76
	v_add_co_u32 v84, s2, v145, v94
	s_delay_alu instid0(VALU_DEP_1)
	v_add_co_ci_u32_e64 v85, s2, 0, v146, s2
	s_and_b32 vcc_lo, exec_lo, vcc_lo
	s_waitcnt vmcnt(0) lgkmcnt(1)
	v_mul_f64 v[18:19], v[60:61], v[16:17]
	v_mul_f64 v[20:21], v[62:63], v[16:17]
	;; [unrolled: 1-line block ×4, first 2 shown]
	ds_store_b64 v107, v[18:19]
	ds_load_b64 v[70:71], v106 offset:264
	ds_store_b64 v107, v[20:21] offset:536
	ds_load_b64 v[72:73], v106 offset:272
	ds_store_b64 v107, v[22:23] offset:1072
	;; [unrolled: 2-line block ×3, first 2 shown]
	s_waitcnt lgkmcnt(0)
	s_barrier
	buffer_gl0_inv
	ds_load_2addr_b64 v[20:23], v102 offset1:1
	ds_load_2addr_b64 v[16:19], v102 offset0:2 offset1:3
	s_waitcnt lgkmcnt(0)
	s_barrier
	buffer_gl0_inv
	s_cbranch_vccnz .LBB94_123
; %bb.106:                              ;   in Loop: Header=BB94_72 Depth=1
	v_mov_b32_e32 v78, 0
	v_mov_b32_e32 v79, 0
	s_delay_alu instid0(VALU_DEP_2) | instskip(SKIP_1) | instid1(VALU_DEP_2)
	v_mov_b32_e32 v76, v78
	s_mov_b32 s2, exec_lo
	v_mov_b32_e32 v77, v79
	v_cmpx_gt_i32_e64 s11, v116
	s_cbranch_execz .LBB94_108
; %bb.107:                              ;   in Loop: Header=BB94_72 Depth=1
	global_load_b64 v[76:77], v[84:85], off
.LBB94_108:                             ;   in Loop: Header=BB94_72 Depth=1
	s_or_b32 exec_lo, exec_lo, s2
	s_delay_alu instid0(SALU_CYCLE_1)
	s_mov_b32 s2, exec_lo
	v_cmpx_gt_i32_e64 s11, v117
	s_cbranch_execz .LBB94_110
; %bb.109:                              ;   in Loop: Header=BB94_72 Depth=1
	v_add_co_u32 v78, vcc_lo, v147, v94
	v_add_co_ci_u32_e32 v79, vcc_lo, 0, v148, vcc_lo
	global_load_b64 v[78:79], v[78:79], off
.LBB94_110:                             ;   in Loop: Header=BB94_72 Depth=1
	s_or_b32 exec_lo, exec_lo, s2
	v_mov_b32_e32 v80, 0
	v_mov_b32_e32 v81, 0
	s_mov_b32 s2, exec_lo
	s_delay_alu instid0(VALU_DEP_1)
	v_dual_mov_b32 v83, v81 :: v_dual_mov_b32 v82, v80
	v_cmpx_gt_i32_e64 s11, v118
	s_cbranch_execz .LBB94_112
; %bb.111:                              ;   in Loop: Header=BB94_72 Depth=1
	v_add_co_u32 v82, vcc_lo, v149, v94
	v_add_co_ci_u32_e32 v83, vcc_lo, 0, v150, vcc_lo
	global_load_b64 v[82:83], v[82:83], off
.LBB94_112:                             ;   in Loop: Header=BB94_72 Depth=1
	s_or_b32 exec_lo, exec_lo, s2
	s_delay_alu instid0(SALU_CYCLE_1)
	s_mov_b32 s2, exec_lo
	v_cmpx_gt_i32_e64 s11, v119
	s_cbranch_execz .LBB94_114
; %bb.113:                              ;   in Loop: Header=BB94_72 Depth=1
	v_add_co_u32 v80, vcc_lo, v151, v94
	v_add_co_ci_u32_e32 v81, vcc_lo, 0, v152, vcc_lo
	global_load_b64 v[80:81], v[80:81], off
.LBB94_114:                             ;   in Loop: Header=BB94_72 Depth=1
	s_or_b32 exec_lo, exec_lo, s2
	s_branch .LBB94_116
.LBB94_115:                             ;   in Loop: Header=BB94_72 Depth=1
	s_waitcnt vmcnt(0)
	v_add_co_u32 v78, vcc_lo, v147, v94
	v_add_co_ci_u32_e32 v79, vcc_lo, 0, v148, vcc_lo
	v_add_co_u32 v80, vcc_lo, v149, v94
	v_add_co_ci_u32_e32 v81, vcc_lo, 0, v150, vcc_lo
	;; [unrolled: 2-line block ×3, first 2 shown]
	global_load_b64 v[76:77], v[84:85], off
	global_load_b64 v[78:79], v[78:79], off
	global_load_b64 v[82:83], v[80:81], off
	global_load_b64 v[80:81], v[86:87], off
.LBB94_116:                             ;   in Loop: Header=BB94_72 Depth=1
	ds_load_b64 v[84:85], v99
	ds_load_b64 v[86:87], v106 offset:384
	v_add_f64 v[12:13], v[12:13], 0
	v_add_f64 v[4:5], v[4:5], 0
	v_add_f64 v[20:21], v[20:21], 0
	v_cmp_gt_i32_e32 vcc_lo, s11, v92
	s_or_b32 s2, s12, vcc_lo
	s_delay_alu instid0(SALU_CYCLE_1)
	s_and_b32 s11, s1, s2
	s_waitcnt vmcnt(0) lgkmcnt(1)
	v_mul_f64 v[88:89], v[76:77], v[84:85]
	v_mul_f64 v[90:91], v[78:79], v[84:85]
	;; [unrolled: 1-line block ×4, first 2 shown]
	v_add_f64 v[12:13], v[12:13], v[14:15]
	v_add_f64 v[4:5], v[4:5], v[6:7]
	;; [unrolled: 1-line block ×3, first 2 shown]
	ds_store_b64 v107, v[88:89]
	ds_load_b64 v[88:89], v106 offset:392
	ds_store_b64 v107, v[90:91] offset:536
	ds_load_b64 v[90:91], v106 offset:400
	ds_store_b64 v107, v[154:155] offset:1072
	;; [unrolled: 2-line block ×3, first 2 shown]
	s_waitcnt lgkmcnt(0)
	s_barrier
	buffer_gl0_inv
	ds_load_2addr_b64 v[154:157], v102 offset1:1
	ds_load_2addr_b64 v[158:161], v102 offset0:2 offset1:3
	s_waitcnt lgkmcnt(0)
	s_barrier
	buffer_gl0_inv
	v_add_f64 v[8:9], v[12:13], v[8:9]
	v_add_f64 v[0:1], v[4:5], v[0:1]
	;; [unrolled: 1-line block ×4, first 2 shown]
	s_delay_alu instid0(VALU_DEP_4) | instskip(NEXT) | instid1(VALU_DEP_4)
	v_add_f64 v[8:9], v[8:9], v[10:11]
	v_add_f64 v[0:1], v[0:1], v[2:3]
	s_delay_alu instid0(VALU_DEP_3) | instskip(NEXT) | instid1(VALU_DEP_1)
	v_add_f64 v[6:7], v[154:155], v[156:157]
	v_add_f64 v[4:5], v[6:7], v[158:159]
	;; [unrolled: 1-line block ×3, first 2 shown]
	s_delay_alu instid0(VALU_DEP_2)
	v_add_f64 v[2:3], v[4:5], v[160:161]
	ds_store_2addr_b64 v153, v[0:1], v[8:9] offset1:16
	ds_store_2addr_b64 v153, v[6:7], v[2:3] offset0:32 offset1:48
	s_waitcnt lgkmcnt(0)
	s_barrier
	buffer_gl0_inv
	s_and_saveexec_b32 s2, s11
	s_cbranch_execz .LBB94_118
; %bb.117:                              ;   in Loop: Header=BB94_72 Depth=1
	ds_load_2addr_b64 v[0:3], v100 offset1:1
	ds_load_2addr_b64 v[4:7], v100 offset0:2 offset1:3
	s_waitcnt lgkmcnt(1)
	v_add_f64 v[0:1], v[0:1], v[2:3]
	s_waitcnt lgkmcnt(0)
	s_delay_alu instid0(VALU_DEP_1) | instskip(NEXT) | instid1(VALU_DEP_1)
	v_add_f64 v[0:1], v[0:1], v[4:5]
	v_add_f64 v[8:9], v[0:1], v[6:7]
	ds_load_2addr_b64 v[0:3], v100 offset0:4 offset1:5
	ds_load_2addr_b64 v[4:7], v100 offset0:6 offset1:7
	s_waitcnt lgkmcnt(1)
	v_add_f64 v[0:1], v[8:9], v[0:1]
	s_delay_alu instid0(VALU_DEP_1) | instskip(SKIP_1) | instid1(VALU_DEP_1)
	v_add_f64 v[0:1], v[0:1], v[2:3]
	s_waitcnt lgkmcnt(0)
	v_add_f64 v[0:1], v[0:1], v[4:5]
	s_delay_alu instid0(VALU_DEP_1) | instskip(SKIP_4) | instid1(VALU_DEP_1)
	v_add_f64 v[8:9], v[0:1], v[6:7]
	ds_load_2addr_b64 v[0:3], v100 offset0:8 offset1:9
	ds_load_2addr_b64 v[4:7], v100 offset0:10 offset1:11
	s_waitcnt lgkmcnt(1)
	v_add_f64 v[0:1], v[8:9], v[0:1]
	v_add_f64 v[0:1], v[0:1], v[2:3]
	s_waitcnt lgkmcnt(0)
	s_delay_alu instid0(VALU_DEP_1) | instskip(NEXT) | instid1(VALU_DEP_1)
	v_add_f64 v[0:1], v[0:1], v[4:5]
	v_add_f64 v[4:5], v[0:1], v[6:7]
	ds_load_2addr_b64 v[0:3], v100 offset0:12 offset1:13
	ds_load_b64 v[6:7], v100 offset:112
	s_waitcnt lgkmcnt(1)
	v_add_f64 v[0:1], v[4:5], v[0:1]
	s_delay_alu instid0(VALU_DEP_1) | instskip(SKIP_4) | instid1(VALU_DEP_1)
	v_add_f64 v[0:1], v[0:1], v[2:3]
	ds_load_b64 v[2:3], v101
	s_waitcnt lgkmcnt(1)
	v_add_f64 v[0:1], v[0:1], v[6:7]
	s_waitcnt lgkmcnt(0)
	v_add_f64 v[0:1], v[0:1], v[2:3]
	v_add_nc_u32_e32 v2, s10, v120
	s_delay_alu instid0(VALU_DEP_1) | instskip(NEXT) | instid1(VALU_DEP_1)
	v_ashrrev_i32_e32 v3, 31, v2
	v_lshlrev_b64 v[2:3], 3, v[2:3]
	s_delay_alu instid0(VALU_DEP_1) | instskip(NEXT) | instid1(VALU_DEP_2)
	v_add_co_u32 v2, vcc_lo, s3, v2
	v_add_co_ci_u32_e32 v3, vcc_lo, s6, v3, vcc_lo
	global_store_b64 v[2:3], v[0:1], off
.LBB94_118:                             ;   in Loop: Header=BB94_72 Depth=1
	s_or_b32 exec_lo, exec_lo, s2
	v_fma_f64 v[0:1], v[28:29], v[36:37], v[26:27]
	v_add_co_u32 v121, vcc_lo, v121, s4
	v_add_co_ci_u32_e32 v122, vcc_lo, s5, v122, vcc_lo
	v_add_co_u32 v123, vcc_lo, v123, s4
	v_add_co_ci_u32_e32 v124, vcc_lo, s5, v124, vcc_lo
	;; [unrolled: 2-line block ×9, first 2 shown]
	v_add_co_u32 v139, vcc_lo, v139, s4
	v_fma_f64 v[0:1], v[30:31], v[38:39], v[0:1]
	v_add_co_ci_u32_e32 v140, vcc_lo, s5, v140, vcc_lo
	v_add_co_u32 v141, vcc_lo, v141, s4
	v_add_co_ci_u32_e32 v142, vcc_lo, s5, v142, vcc_lo
	v_add_co_u32 v143, vcc_lo, v143, s4
	;; [unrolled: 2-line block ×6, first 2 shown]
	v_add_co_ci_u32_e32 v152, vcc_lo, s5, v152, vcc_lo
	s_add_i32 s11, s14, 2
	s_add_i32 s2, s14, 1
	;; [unrolled: 1-line block ×3, first 2 shown]
	s_cmp_ge_u32 s11, s7
	s_waitcnt_vscnt null, 0x0
	s_barrier
	buffer_gl0_inv
	v_fma_f64 v[0:1], v[34:35], v[40:41], v[0:1]
	s_delay_alu instid0(VALU_DEP_1) | instskip(NEXT) | instid1(VALU_DEP_1)
	v_fma_f64 v[0:1], v[32:33], v[42:43], v[0:1]
	v_fma_f64 v[0:1], v[44:45], v[52:53], v[0:1]
	s_delay_alu instid0(VALU_DEP_1) | instskip(NEXT) | instid1(VALU_DEP_1)
	v_fma_f64 v[0:1], v[46:47], v[54:55], v[0:1]
	;; [unrolled: 3-line block ×6, first 2 shown]
	v_fma_f64 v[0:1], v[82:83], v[90:91], v[0:1]
	s_delay_alu instid0(VALU_DEP_1)
	v_fma_f64 v[26:27], v[80:81], v[84:85], v[0:1]
	s_cbranch_scc1 .LBB94_124
; %bb.119:                              ;   in Loop: Header=BB94_72 Depth=1
	s_mov_b32 s14, s2
	s_delay_alu instid0(SALU_CYCLE_1)
	s_cmp_eq_u32 s9, s14
	s_cselect_b32 s11, s18, 0
	s_and_saveexec_b32 s2, s0
	s_cbranch_execnz .LBB94_69
	s_branch .LBB94_72
.LBB94_120:                             ;   in Loop: Header=BB94_72 Depth=1
                                        ; implicit-def: $vgpr32_vgpr33
                                        ; implicit-def: $vgpr34_vgpr35
                                        ; implicit-def: $vgpr30_vgpr31
                                        ; implicit-def: $vgpr28_vgpr29
	s_cbranch_execnz .LBB94_82
	s_branch .LBB94_83
.LBB94_121:                             ;   in Loop: Header=BB94_72 Depth=1
                                        ; implicit-def: $vgpr48_vgpr49
                                        ; implicit-def: $vgpr50_vgpr51
                                        ; implicit-def: $vgpr46_vgpr47
                                        ; implicit-def: $vgpr44_vgpr45
	s_cbranch_execnz .LBB94_93
	s_branch .LBB94_94
.LBB94_122:                             ;   in Loop: Header=BB94_72 Depth=1
                                        ; implicit-def: $vgpr64_vgpr65
                                        ; implicit-def: $vgpr66_vgpr67
                                        ; implicit-def: $vgpr62_vgpr63
                                        ; implicit-def: $vgpr60_vgpr61
	s_cbranch_execnz .LBB94_104
	s_branch .LBB94_105
.LBB94_123:                             ;   in Loop: Header=BB94_72 Depth=1
                                        ; implicit-def: $vgpr80_vgpr81
                                        ; implicit-def: $vgpr82_vgpr83
                                        ; implicit-def: $vgpr78_vgpr79
                                        ; implicit-def: $vgpr76_vgpr77
	s_cbranch_execnz .LBB94_115
	s_branch .LBB94_116
.LBB94_124:
	v_cmp_gt_i32_e32 vcc_lo, s8, v92
	v_mad_u32_u24 v0, 0x218, v93, v94
	s_or_b32 s1, s19, vcc_lo
	ds_store_b64 v0, v[26:27]
	s_and_b32 s0, s0, s1
	s_waitcnt lgkmcnt(0)
	s_barrier
	buffer_gl0_inv
	s_and_saveexec_b32 s1, s0
	s_cbranch_execz .LBB94_126
; %bb.125:
	ds_load_2addr_b64 v[0:3], v94 offset1:67
	s_waitcnt lgkmcnt(0)
	v_add_f64 v[4:5], v[0:1], v[2:3]
	ds_load_2addr_b64 v[0:3], v94 offset0:134 offset1:201
	s_waitcnt lgkmcnt(0)
	v_add_f64 v[0:1], v[4:5], v[0:1]
	s_delay_alu instid0(VALU_DEP_1) | instskip(SKIP_1) | instid1(VALU_DEP_1)
	v_add_f64 v[0:1], v[0:1], v[2:3]
	v_lshlrev_b64 v[2:3], 3, v[24:25]
	v_add_co_u32 v2, vcc_lo, s3, v2
	s_delay_alu instid0(VALU_DEP_2)
	v_add_co_ci_u32_e32 v3, vcc_lo, s6, v3, vcc_lo
	global_store_b64 v[2:3], v[0:1], off
.LBB94_126:
	s_nop 0
	s_sendmsg sendmsg(MSG_DEALLOC_VGPRS)
	s_endpgm
	.section	.rodata,"a",@progbits
	.p2align	6, 0x0
	.amdhsa_kernel _ZL26rocblas_hemvn_kernel_upperILb0ELi64ELi4ELi33ELi32ELi16ElPKdS1_PdEviT6_lT7_lT5_lS4_lS5_lS3_lT8_i
		.amdhsa_group_segment_fixed_size 9600
		.amdhsa_private_segment_fixed_size 0
		.amdhsa_kernarg_size 376
		.amdhsa_user_sgpr_count 14
		.amdhsa_user_sgpr_dispatch_ptr 0
		.amdhsa_user_sgpr_queue_ptr 0
		.amdhsa_user_sgpr_kernarg_segment_ptr 1
		.amdhsa_user_sgpr_dispatch_id 0
		.amdhsa_user_sgpr_private_segment_size 0
		.amdhsa_wavefront_size32 1
		.amdhsa_uses_dynamic_stack 0
		.amdhsa_enable_private_segment 0
		.amdhsa_system_sgpr_workgroup_id_x 1
		.amdhsa_system_sgpr_workgroup_id_y 0
		.amdhsa_system_sgpr_workgroup_id_z 1
		.amdhsa_system_sgpr_workgroup_info 0
		.amdhsa_system_vgpr_workitem_id 1
		.amdhsa_next_free_vgpr 162
		.amdhsa_next_free_sgpr 44
		.amdhsa_reserve_vcc 1
		.amdhsa_float_round_mode_32 0
		.amdhsa_float_round_mode_16_64 0
		.amdhsa_float_denorm_mode_32 3
		.amdhsa_float_denorm_mode_16_64 3
		.amdhsa_dx10_clamp 1
		.amdhsa_ieee_mode 1
		.amdhsa_fp16_overflow 0
		.amdhsa_workgroup_processor_mode 1
		.amdhsa_memory_ordered 1
		.amdhsa_forward_progress 0
		.amdhsa_shared_vgpr_count 0
		.amdhsa_exception_fp_ieee_invalid_op 0
		.amdhsa_exception_fp_denorm_src 0
		.amdhsa_exception_fp_ieee_div_zero 0
		.amdhsa_exception_fp_ieee_overflow 0
		.amdhsa_exception_fp_ieee_underflow 0
		.amdhsa_exception_fp_ieee_inexact 0
		.amdhsa_exception_int_div_zero 0
	.end_amdhsa_kernel
	.section	.text._ZL26rocblas_hemvn_kernel_upperILb0ELi64ELi4ELi33ELi32ELi16ElPKdS1_PdEviT6_lT7_lT5_lS4_lS5_lS3_lT8_i,"axG",@progbits,_ZL26rocblas_hemvn_kernel_upperILb0ELi64ELi4ELi33ELi32ELi16ElPKdS1_PdEviT6_lT7_lT5_lS4_lS5_lS3_lT8_i,comdat
.Lfunc_end94:
	.size	_ZL26rocblas_hemvn_kernel_upperILb0ELi64ELi4ELi33ELi32ELi16ElPKdS1_PdEviT6_lT7_lT5_lS4_lS5_lS3_lT8_i, .Lfunc_end94-_ZL26rocblas_hemvn_kernel_upperILb0ELi64ELi4ELi33ELi32ELi16ElPKdS1_PdEviT6_lT7_lT5_lS4_lS5_lS3_lT8_i
                                        ; -- End function
	.section	.AMDGPU.csdata,"",@progbits
; Kernel info:
; codeLenInByte = 8664
; NumSgprs: 46
; NumVgprs: 162
; ScratchSize: 0
; MemoryBound: 0
; FloatMode: 240
; IeeeMode: 1
; LDSByteSize: 9600 bytes/workgroup (compile time only)
; SGPRBlocks: 5
; VGPRBlocks: 20
; NumSGPRsForWavesPerEU: 46
; NumVGPRsForWavesPerEU: 162
; Occupancy: 9
; WaveLimiterHint : 0
; COMPUTE_PGM_RSRC2:SCRATCH_EN: 0
; COMPUTE_PGM_RSRC2:USER_SGPR: 14
; COMPUTE_PGM_RSRC2:TRAP_HANDLER: 0
; COMPUTE_PGM_RSRC2:TGID_X_EN: 1
; COMPUTE_PGM_RSRC2:TGID_Y_EN: 0
; COMPUTE_PGM_RSRC2:TGID_Z_EN: 1
; COMPUTE_PGM_RSRC2:TIDIG_COMP_CNT: 1
	.section	.text._ZL36rocblas_hemvn_kernel_upper_block_sumILi64ElPKdPddEviT1_lS3_lT2_lT0_lPT3_i,"axG",@progbits,_ZL36rocblas_hemvn_kernel_upper_block_sumILi64ElPKdPddEviT1_lS3_lT2_lT0_lPT3_i,comdat
	.globl	_ZL36rocblas_hemvn_kernel_upper_block_sumILi64ElPKdPddEviT1_lS3_lT2_lT0_lPT3_i ; -- Begin function _ZL36rocblas_hemvn_kernel_upper_block_sumILi64ElPKdPddEviT1_lS3_lT2_lT0_lPT3_i
	.p2align	8
	.type	_ZL36rocblas_hemvn_kernel_upper_block_sumILi64ElPKdPddEviT1_lS3_lT2_lT0_lPT3_i,@function
_ZL36rocblas_hemvn_kernel_upper_block_sumILi64ElPKdPddEviT1_lS3_lT2_lT0_lPT3_i: ; @_ZL36rocblas_hemvn_kernel_upper_block_sumILi64ElPKdPddEviT1_lS3_lT2_lT0_lPT3_i
; %bb.0:
	s_load_b256 s[4:11], s[0:1], 0x8
	s_waitcnt lgkmcnt(0)
	s_mul_i32 s3, s15, s7
	s_mul_hi_u32 s7, s15, s6
	s_mul_i32 s2, s15, s6
	s_add_i32 s3, s7, s3
	s_mul_i32 s6, s15, s11
	s_lshl_b64 s[2:3], s[2:3], 3
	s_mul_hi_u32 s7, s15, s10
	s_add_u32 s2, s4, s2
	s_addc_u32 s3, s5, s3
	s_add_i32 s5, s7, s6
	s_mul_i32 s4, s15, s10
	s_delay_alu instid0(SALU_CYCLE_1) | instskip(NEXT) | instid1(SALU_CYCLE_1)
	s_lshl_b64 s[4:5], s[4:5], 3
	s_add_u32 s4, s8, s4
	s_addc_u32 s5, s9, s5
	s_load_b64 s[12:13], s[2:3], 0x0
	s_load_b64 s[16:17], s[4:5], 0x0
	s_waitcnt lgkmcnt(0)
	v_cmp_eq_f64_e64 s2, s[12:13], 0
	v_cmp_eq_f64_e64 s3, s[16:17], 1.0
	s_delay_alu instid0(VALU_DEP_1) | instskip(NEXT) | instid1(SALU_CYCLE_1)
	s_and_b32 s2, s2, s3
	s_and_b32 vcc_lo, exec_lo, s2
	s_cbranch_vccnz .LBB95_19
; %bb.1:
	v_cmp_neq_f64_e64 s19, s[12:13], 0
	s_clause 0x2
	s_load_b256 s[4:11], s[0:1], 0x30
	s_load_b64 s[2:3], s[0:1], 0x28
	s_load_b32 s18, s[0:1], 0x0
	v_lshl_or_b32 v0, s14, 6, v0
	s_waitcnt lgkmcnt(0)
	s_mul_i32 s9, s15, s9
	s_mul_hi_u32 s20, s15, s8
	s_mul_i32 s8, s15, s8
	s_add_i32 s9, s20, s9
	s_delay_alu instid0(SALU_CYCLE_1) | instskip(NEXT) | instid1(SALU_CYCLE_1)
	s_lshl_b64 s[8:9], s[8:9], 3
	s_add_u32 s2, s2, s8
	s_addc_u32 s8, s3, s9
	s_lshl_b64 s[4:5], s[4:5], 3
	s_delay_alu instid0(SALU_CYCLE_1) | instskip(SKIP_3) | instid1(VALU_DEP_3)
	s_add_u32 s3, s2, s4
	v_cmp_gt_i32_e64 s2, s18, v0
	s_addc_u32 s4, s8, s5
	s_mov_b32 s5, 0
	s_and_b32 vcc_lo, exec_lo, s19
	s_cbranch_vccnz .LBB95_6
; %bb.2:
	s_mov_b32 s8, 0
                                        ; implicit-def: $vgpr3_vgpr4
                                        ; implicit-def: $vgpr1_vgpr2
	s_and_saveexec_b32 s9, s2
	s_cbranch_execz .LBB95_7
; %bb.3:
	v_cmp_eq_f64_e64 s2, s[16:17], 0
	v_ashrrev_i32_e32 v1, 31, v0
	v_mul_lo_u32 v3, v0, s7
	s_delay_alu instid0(VALU_DEP_2) | instskip(SKIP_1) | instid1(VALU_DEP_1)
	v_mul_lo_u32 v4, v1, s6
	v_mad_u64_u32 v[1:2], null, v0, s6, 0
	v_add3_u32 v2, v2, v3, v4
	v_mov_b32_e32 v3, 0
	v_mov_b32_e32 v4, 0
	s_and_b32 vcc_lo, exec_lo, s2
	s_cbranch_vccnz .LBB95_5
; %bb.4:
	s_delay_alu instid0(VALU_DEP_4) | instskip(NEXT) | instid1(VALU_DEP_1)
	v_lshlrev_b64 v[3:4], 3, v[1:2]
	v_add_co_u32 v3, vcc_lo, s3, v3
	s_delay_alu instid0(VALU_DEP_2)
	v_add_co_ci_u32_e32 v4, vcc_lo, s4, v4, vcc_lo
	global_load_b64 v[3:4], v[3:4], off
	s_waitcnt vmcnt(0)
	v_mul_f64 v[3:4], s[16:17], v[3:4]
.LBB95_5:
	s_mov_b32 s5, exec_lo
	s_or_b32 exec_lo, exec_lo, s9
	s_delay_alu instid0(SALU_CYCLE_1)
	s_and_b32 vcc_lo, exec_lo, s8
	s_cbranch_vccnz .LBB95_8
	s_branch .LBB95_17
.LBB95_6:
                                        ; implicit-def: $vgpr3_vgpr4
                                        ; implicit-def: $vgpr1_vgpr2
	s_cbranch_execnz .LBB95_8
	s_branch .LBB95_17
.LBB95_7:
	s_or_b32 exec_lo, exec_lo, s9
	s_delay_alu instid0(SALU_CYCLE_1)
	s_and_b32 vcc_lo, exec_lo, s8
	s_cbranch_vccz .LBB95_17
.LBB95_8:
	s_mov_b32 s2, exec_lo
                                        ; implicit-def: $vgpr3_vgpr4
                                        ; implicit-def: $vgpr1_vgpr2
	v_cmpx_gt_i32_e64 s18, v0
	s_cbranch_execz .LBB95_16
; %bb.9:
	v_mov_b32_e32 v5, 0
	v_mov_b32_e32 v6, 0
	v_ashrrev_i32_e32 v1, 31, v0
	s_cmp_lt_i32 s14, 0
	s_cbranch_scc1 .LBB95_12
; %bb.10:
	s_load_b32 s0, s[0:1], 0x58
	s_ashr_i32 s19, s18, 31
	s_mul_hi_u32 s1, s18, s15
	s_mul_i32 s8, s19, s15
	v_lshlrev_b64 v[2:3], 3, v[0:1]
	s_add_i32 s1, s1, s8
	s_mul_i32 s8, s18, s15
	v_mov_b32_e32 v5, 0
	v_mov_b32_e32 v6, 0
	s_waitcnt lgkmcnt(0)
	s_mul_i32 s1, s1, s0
	s_mul_hi_u32 s9, s8, s0
	s_mul_i32 s0, s8, s0
	s_add_i32 s1, s9, s1
	s_delay_alu instid0(SALU_CYCLE_1) | instskip(NEXT) | instid1(SALU_CYCLE_1)
	s_lshl_b64 s[0:1], s[0:1], 3
	s_add_u32 s0, s10, s0
	s_addc_u32 s1, s11, s1
	v_add_co_u32 v2, vcc_lo, s0, v2
	v_add_co_ci_u32_e32 v3, vcc_lo, s1, v3, vcc_lo
	s_add_i32 s8, s14, 1
	s_lshl_b64 s[0:1], s[18:19], 3
.LBB95_11:                              ; =>This Inner Loop Header: Depth=1
	global_load_b64 v[7:8], v[2:3], off
	v_add_co_u32 v2, vcc_lo, v2, s0
	v_add_co_ci_u32_e32 v3, vcc_lo, s1, v3, vcc_lo
	s_add_i32 s8, s8, -1
	s_delay_alu instid0(SALU_CYCLE_1)
	s_cmp_eq_u32 s8, 0
	s_waitcnt vmcnt(0)
	v_add_f64 v[5:6], v[5:6], v[7:8]
	s_cbranch_scc0 .LBB95_11
.LBB95_12:
	v_cmp_eq_f64_e64 s0, s[16:17], 0
	s_delay_alu instid0(VALU_DEP_2) | instskip(SKIP_1) | instid1(VALU_DEP_3)
	v_mul_lo_u32 v7, v1, s6
	v_mul_lo_u32 v8, v0, s7
	s_and_b32 vcc_lo, exec_lo, s0
	s_cbranch_vccz .LBB95_20
; %bb.13:
	v_mad_u64_u32 v[1:2], null, v0, s6, 0
	v_mul_f64 v[3:4], s[12:13], v[5:6]
	s_delay_alu instid0(VALU_DEP_2)
	v_add3_u32 v2, v2, v8, v7
	s_cbranch_execnz .LBB95_15
.LBB95_14:
	v_mad_u64_u32 v[1:2], null, v0, s6, 0
	s_delay_alu instid0(VALU_DEP_1) | instskip(NEXT) | instid1(VALU_DEP_1)
	v_add3_u32 v2, v2, v8, v7
	v_lshlrev_b64 v[3:4], 3, v[1:2]
	s_delay_alu instid0(VALU_DEP_1) | instskip(NEXT) | instid1(VALU_DEP_2)
	v_add_co_u32 v3, vcc_lo, s3, v3
	v_add_co_ci_u32_e32 v4, vcc_lo, s4, v4, vcc_lo
	global_load_b64 v[3:4], v[3:4], off
	s_waitcnt vmcnt(0)
	v_mul_f64 v[3:4], s[16:17], v[3:4]
	s_delay_alu instid0(VALU_DEP_1)
	v_fma_f64 v[3:4], s[12:13], v[5:6], v[3:4]
.LBB95_15:
	s_or_b32 s5, s5, exec_lo
.LBB95_16:
	s_or_b32 exec_lo, exec_lo, s2
.LBB95_17:
	s_and_saveexec_b32 s0, s5
	s_cbranch_execz .LBB95_19
; %bb.18:
	v_lshlrev_b64 v[0:1], 3, v[1:2]
	s_delay_alu instid0(VALU_DEP_1) | instskip(NEXT) | instid1(VALU_DEP_2)
	v_add_co_u32 v0, vcc_lo, s3, v0
	v_add_co_ci_u32_e32 v1, vcc_lo, s4, v1, vcc_lo
	global_store_b64 v[0:1], v[3:4], off
.LBB95_19:
	s_nop 0
	s_sendmsg sendmsg(MSG_DEALLOC_VGPRS)
	s_endpgm
.LBB95_20:
                                        ; implicit-def: $vgpr3_vgpr4
                                        ; implicit-def: $vgpr1_vgpr2
	s_branch .LBB95_14
	.section	.rodata,"a",@progbits
	.p2align	6, 0x0
	.amdhsa_kernel _ZL36rocblas_hemvn_kernel_upper_block_sumILi64ElPKdPddEviT1_lS3_lT2_lT0_lPT3_i
		.amdhsa_group_segment_fixed_size 0
		.amdhsa_private_segment_fixed_size 0
		.amdhsa_kernarg_size 344
		.amdhsa_user_sgpr_count 14
		.amdhsa_user_sgpr_dispatch_ptr 0
		.amdhsa_user_sgpr_queue_ptr 0
		.amdhsa_user_sgpr_kernarg_segment_ptr 1
		.amdhsa_user_sgpr_dispatch_id 0
		.amdhsa_user_sgpr_private_segment_size 0
		.amdhsa_wavefront_size32 1
		.amdhsa_uses_dynamic_stack 0
		.amdhsa_enable_private_segment 0
		.amdhsa_system_sgpr_workgroup_id_x 1
		.amdhsa_system_sgpr_workgroup_id_y 0
		.amdhsa_system_sgpr_workgroup_id_z 1
		.amdhsa_system_sgpr_workgroup_info 0
		.amdhsa_system_vgpr_workitem_id 0
		.amdhsa_next_free_vgpr 9
		.amdhsa_next_free_sgpr 21
		.amdhsa_reserve_vcc 1
		.amdhsa_float_round_mode_32 0
		.amdhsa_float_round_mode_16_64 0
		.amdhsa_float_denorm_mode_32 3
		.amdhsa_float_denorm_mode_16_64 3
		.amdhsa_dx10_clamp 1
		.amdhsa_ieee_mode 1
		.amdhsa_fp16_overflow 0
		.amdhsa_workgroup_processor_mode 1
		.amdhsa_memory_ordered 1
		.amdhsa_forward_progress 0
		.amdhsa_shared_vgpr_count 0
		.amdhsa_exception_fp_ieee_invalid_op 0
		.amdhsa_exception_fp_denorm_src 0
		.amdhsa_exception_fp_ieee_div_zero 0
		.amdhsa_exception_fp_ieee_overflow 0
		.amdhsa_exception_fp_ieee_underflow 0
		.amdhsa_exception_fp_ieee_inexact 0
		.amdhsa_exception_int_div_zero 0
	.end_amdhsa_kernel
	.section	.text._ZL36rocblas_hemvn_kernel_upper_block_sumILi64ElPKdPddEviT1_lS3_lT2_lT0_lPT3_i,"axG",@progbits,_ZL36rocblas_hemvn_kernel_upper_block_sumILi64ElPKdPddEviT1_lS3_lT2_lT0_lPT3_i,comdat
.Lfunc_end95:
	.size	_ZL36rocblas_hemvn_kernel_upper_block_sumILi64ElPKdPddEviT1_lS3_lT2_lT0_lPT3_i, .Lfunc_end95-_ZL36rocblas_hemvn_kernel_upper_block_sumILi64ElPKdPddEviT1_lS3_lT2_lT0_lPT3_i
                                        ; -- End function
	.section	.AMDGPU.csdata,"",@progbits
; Kernel info:
; codeLenInByte = 804
; NumSgprs: 23
; NumVgprs: 9
; ScratchSize: 0
; MemoryBound: 0
; FloatMode: 240
; IeeeMode: 1
; LDSByteSize: 0 bytes/workgroup (compile time only)
; SGPRBlocks: 2
; VGPRBlocks: 1
; NumSGPRsForWavesPerEU: 23
; NumVGPRsForWavesPerEU: 9
; Occupancy: 16
; WaveLimiterHint : 0
; COMPUTE_PGM_RSRC2:SCRATCH_EN: 0
; COMPUTE_PGM_RSRC2:USER_SGPR: 14
; COMPUTE_PGM_RSRC2:TRAP_HANDLER: 0
; COMPUTE_PGM_RSRC2:TGID_X_EN: 1
; COMPUTE_PGM_RSRC2:TGID_Y_EN: 0
; COMPUTE_PGM_RSRC2:TGID_Z_EN: 1
; COMPUTE_PGM_RSRC2:TIDIG_COMP_CNT: 0
	.section	.text._ZL26rocblas_hemvn_kernel_upperILb0ELi64ELi4ELi33ELi32ELi16EiPKdS1_PdEviT6_lT7_lT5_lS4_lS5_lS3_lT8_i,"axG",@progbits,_ZL26rocblas_hemvn_kernel_upperILb0ELi64ELi4ELi33ELi32ELi16EiPKdS1_PdEviT6_lT7_lT5_lS4_lS5_lS3_lT8_i,comdat
	.globl	_ZL26rocblas_hemvn_kernel_upperILb0ELi64ELi4ELi33ELi32ELi16EiPKdS1_PdEviT6_lT7_lT5_lS4_lS5_lS3_lT8_i ; -- Begin function _ZL26rocblas_hemvn_kernel_upperILb0ELi64ELi4ELi33ELi32ELi16EiPKdS1_PdEviT6_lT7_lT5_lS4_lS5_lS3_lT8_i
	.p2align	8
	.type	_ZL26rocblas_hemvn_kernel_upperILb0ELi64ELi4ELi33ELi32ELi16EiPKdS1_PdEviT6_lT7_lT5_lS4_lS5_lS3_lT8_i,@function
_ZL26rocblas_hemvn_kernel_upperILb0ELi64ELi4ELi33ELi32ELi16EiPKdS1_PdEviT6_lT7_lT5_lS4_lS5_lS3_lT8_i: ; @_ZL26rocblas_hemvn_kernel_upperILb0ELi64ELi4ELi33ELi32ELi16EiPKdS1_PdEviT6_lT7_lT5_lS4_lS5_lS3_lT8_i
; %bb.0:
	s_load_b64 s[4:5], s[0:1], 0x84
	s_add_u32 s2, s0, 0x78
	s_addc_u32 s3, s1, 0
	s_waitcnt lgkmcnt(0)
	s_lshr_b32 s6, s4, 16
	s_and_b32 s4, s4, 0xffff
	s_and_b32 s5, s5, 0xffff
	s_mul_i32 s4, s6, s4
	s_delay_alu instid0(SALU_CYCLE_1) | instskip(NEXT) | instid1(SALU_CYCLE_1)
	s_mul_i32 s4, s4, s5
	s_cmpk_lg_i32 s4, 0x100
	s_cbranch_scc1 .LBB96_126
; %bb.1:
	s_clause 0x1
	s_load_b256 s[16:23], s[0:1], 0x8
	s_load_b256 s[4:11], s[0:1], 0x50
	s_waitcnt lgkmcnt(0)
	s_mul_i32 s13, s15, s19
	s_mul_hi_u32 s19, s15, s18
	s_mul_i32 s12, s15, s18
	s_add_i32 s13, s19, s13
	s_mul_i32 s9, s15, s9
	s_lshl_b64 s[12:13], s[12:13], 3
	s_mul_hi_u32 s18, s15, s8
	s_add_u32 s12, s16, s12
	s_addc_u32 s13, s17, s13
	s_add_i32 s9, s18, s9
	s_mul_i32 s8, s15, s8
	s_delay_alu instid0(SALU_CYCLE_1) | instskip(NEXT) | instid1(SALU_CYCLE_1)
	s_lshl_b64 s[8:9], s[8:9], 3
	s_add_u32 s6, s6, s8
	s_addc_u32 s7, s7, s9
	s_load_b64 s[8:9], s[12:13], 0x0
	s_load_b64 s[12:13], s[6:7], 0x0
	s_waitcnt lgkmcnt(0)
	v_cmp_eq_f64_e64 s6, s[8:9], 0
	v_cmp_eq_f64_e64 s7, s[12:13], 1.0
	s_delay_alu instid0(VALU_DEP_1) | instskip(NEXT) | instid1(SALU_CYCLE_1)
	s_and_b32 s7, s6, s7
	s_and_b32 vcc_lo, exec_lo, s7
	s_cbranch_vccnz .LBB96_126
; %bb.2:
	s_and_b32 vcc_lo, exec_lo, s6
	s_cbranch_vccnz .LBB96_126
; %bb.3:
	s_clause 0x2
	s_load_b128 s[16:19], s[0:1], 0x30
	s_load_b64 s[8:9], s[0:1], 0x40
	s_load_b32 s7, s[0:1], 0x48
	s_mul_i32 s5, s15, s5
	s_mul_hi_u32 s6, s15, s4
	s_mul_i32 s4, s15, s4
	s_add_i32 s5, s6, s5
	v_and_b32_e32 v25, 0x3ff, v0
	s_lshl_b64 s[4:5], s[4:5], 3
	s_load_b32 s24, s[0:1], 0x0
	s_load_b32 s28, s[2:3], 0x0
	v_bfe_u32 v94, v0, 10, 10
	s_waitcnt lgkmcnt(0)
	s_add_u32 s6, s18, s4
	s_addc_u32 s12, s19, s5
	s_lshl_b64 s[4:5], s[8:9], 3
	s_delay_alu instid0(SALU_CYCLE_1) | instskip(SKIP_2) | instid1(SALU_CYCLE_1)
	s_add_u32 s4, s6, s4
	s_addc_u32 s5, s12, s5
	s_lshl_b32 s18, s14, 6
	v_add_nc_u32_e32 v24, s18, v25
	s_ashr_i32 s25, s24, 31
	s_add_i32 s3, s28, -1
	s_lshr_b32 s2, s25, 26
	s_delay_alu instid0(VALU_DEP_1) | instskip(SKIP_1) | instid1(SALU_CYCLE_1)
	v_mul_lo_u32 v1, v24, s7
	s_add_i32 s2, s24, s2
	s_and_not1_b32 s2, s2, 63
	s_delay_alu instid0(SALU_CYCLE_1) | instskip(SKIP_2) | instid1(VALU_DEP_2)
	s_sub_i32 s29, s24, s2
	v_cmp_eq_u32_e64 s2, 0, v94
	s_cmp_eq_u32 s14, s3
	v_ashrrev_i32_e32 v2, 31, v1
	s_cselect_b32 s8, s29, 0
	s_delay_alu instid0(VALU_DEP_1) | instskip(NEXT) | instid1(VALU_DEP_1)
	v_lshlrev_b64 v[1:2], 3, v[1:2]
	v_add_co_u32 v12, vcc_lo, s4, v1
	s_delay_alu instid0(VALU_DEP_2)
	v_add_co_ci_u32_e32 v13, vcc_lo, s5, v2, vcc_lo
	s_and_saveexec_b32 s3, s2
	s_cbranch_execz .LBB96_7
; %bb.4:
	v_cmp_gt_i32_e32 vcc_lo, s8, v25
	s_cmp_eq_u32 s8, 0
	v_mov_b32_e32 v0, 0
	v_mov_b32_e32 v1, 0
	s_cselect_b32 s4, -1, 0
	s_delay_alu instid0(SALU_CYCLE_1) | instskip(NEXT) | instid1(SALU_CYCLE_1)
	s_or_b32 s5, s4, vcc_lo
	s_and_saveexec_b32 s4, s5
	s_cbranch_execz .LBB96_6
; %bb.5:
	global_load_b64 v[0:1], v[12:13], off
.LBB96_6:
	s_or_b32 exec_lo, exec_lo, s4
	v_lshlrev_b32_e32 v2, 3, v25
	s_waitcnt vmcnt(0)
	ds_store_b64 v2, v[0:1] offset:9088
.LBB96_7:
	s_or_b32 exec_lo, exec_lo, s3
	s_load_b32 s12, s[0:1], 0x28
	v_lshl_add_u32 v22, v94, 6, v25
	v_and_b32_e32 v0, 31, v25
	s_mul_i32 s1, s15, s17
	s_mul_hi_u32 s3, s15, s16
	s_mul_i32 s0, s15, s16
	v_lshrrev_b32_e32 v11, 5, v22
	s_add_i32 s1, s3, s1
	v_lshlrev_b32_e32 v18, 3, v0
	s_lshl_b64 s[0:1], s[0:1], 3
	s_delay_alu instid0(SALU_CYCLE_1) | instskip(SKIP_2) | instid1(SALU_CYCLE_1)
	s_add_u32 s3, s20, s0
	s_addc_u32 s4, s21, s1
	s_lshl_b64 s[0:1], s[22:23], 3
	s_add_u32 s3, s3, s0
	s_addc_u32 s4, s4, s1
	s_ashr_i32 s19, s18, 31
	s_delay_alu instid0(SALU_CYCLE_1)
	s_lshl_b64 s[0:1], s[18:19], 3
	s_waitcnt lgkmcnt(0)
	v_mad_u64_u32 v[1:2], null, v11, s12, v[0:1]
	s_add_u32 s3, s3, s0
	s_mul_i32 s0, s18, s12
	s_addc_u32 s4, s4, s1
	s_ashr_i32 s1, s0, 31
	s_delay_alu instid0(SALU_CYCLE_1) | instskip(NEXT) | instid1(VALU_DEP_1)
	s_lshl_b64 s[0:1], s[0:1], 3
	v_ashrrev_i32_e32 v2, 31, v1
	s_add_u32 s3, s0, s3
	s_addc_u32 s4, s1, s4
	s_cmp_eq_u32 s8, 0
	v_cmp_gt_i32_e64 s0, s8, v0
	v_lshlrev_b64 v[14:15], 3, v[1:2]
	s_cselect_b32 s30, -1, 0
	s_cmp_lg_u32 s8, 0
	s_cselect_b32 s19, -1, 0
	s_delay_alu instid0(SALU_CYCLE_1) | instskip(NEXT) | instid1(VALU_DEP_1)
	s_and_b32 vcc_lo, exec_lo, s19
	v_add_co_u32 v3, s1, s3, v14
	s_delay_alu instid0(VALU_DEP_1)
	v_add_co_ci_u32_e64 v4, s1, s4, v15, s1
	s_cbranch_vccz .LBB96_17
; %bb.8:
	s_delay_alu instid0(VALU_DEP_2) | instskip(SKIP_1) | instid1(VALU_DEP_2)
	v_sub_co_u32 v1, vcc_lo, v3, v18
	s_ashr_i32 s9, s8, 31
	v_subrev_co_ci_u32_e32 v2, vcc_lo, 0, v4, vcc_lo
	s_lshl_b64 s[4:5], s[8:9], 3
	v_mov_b32_e32 v7, 0
	v_add_co_u32 v1, vcc_lo, v1, s4
	s_delay_alu instid0(VALU_DEP_3) | instskip(SKIP_1) | instid1(VALU_DEP_3)
	v_add_co_ci_u32_e32 v2, vcc_lo, s5, v2, vcc_lo
	v_mov_b32_e32 v8, 0
	v_add_co_u32 v1, vcc_lo, v1, -8
	s_delay_alu instid0(VALU_DEP_3) | instskip(NEXT) | instid1(VALU_DEP_3)
	v_add_co_ci_u32_e32 v2, vcc_lo, -1, v2, vcc_lo
	v_dual_mov_b32 v5, v7 :: v_dual_mov_b32 v6, v8
	s_delay_alu instid0(VALU_DEP_3) | instskip(NEXT) | instid1(VALU_DEP_3)
	v_cndmask_b32_e64 v1, v1, v3, s0
	v_cndmask_b32_e64 v2, v2, v4, s0
	s_mov_b32 s1, exec_lo
	v_cmpx_gt_i32_e64 s8, v11
	s_cbranch_execz .LBB96_10
; %bb.9:
	global_load_b64 v[5:6], v[1:2], off
.LBB96_10:
	s_or_b32 exec_lo, exec_lo, s1
	v_mul_u32_u24_e32 v9, 33, v11
	v_add_nc_u32_e32 v10, 8, v11
	s_mov_b32 s1, exec_lo
	s_delay_alu instid0(VALU_DEP_2)
	v_add_lshl_u32 v16, v9, v0, 3
	s_waitcnt vmcnt(0)
	ds_store_b64 v16, v[5:6]
	v_cmpx_gt_i32_e64 s8, v10
	s_cbranch_execz .LBB96_12
; %bb.11:
	s_lshl_b32 s16, s12, 3
	s_delay_alu instid0(SALU_CYCLE_1) | instskip(NEXT) | instid1(SALU_CYCLE_1)
	s_ashr_i32 s17, s16, 31
	s_lshl_b64 s[16:17], s[16:17], 3
	s_delay_alu instid0(SALU_CYCLE_1)
	v_add_co_u32 v5, vcc_lo, v1, s16
	v_add_co_ci_u32_e32 v6, vcc_lo, s17, v2, vcc_lo
	global_load_b64 v[7:8], v[5:6], off
.LBB96_12:
	s_or_b32 exec_lo, exec_lo, s1
	v_mov_b32_e32 v5, 0
	v_dual_mov_b32 v6, 0 :: v_dual_add_nc_u32 v9, 16, v11
	s_waitcnt vmcnt(0)
	ds_store_b64 v16, v[7:8] offset:2112
	v_cmp_gt_i32_e32 vcc_lo, s8, v9
	v_dual_mov_b32 v10, v6 :: v_dual_mov_b32 v9, v5
	s_and_saveexec_b32 s1, vcc_lo
	s_cbranch_execz .LBB96_14
; %bb.13:
	s_lshl_b32 s16, s12, 4
	s_delay_alu instid0(SALU_CYCLE_1) | instskip(NEXT) | instid1(SALU_CYCLE_1)
	s_ashr_i32 s17, s16, 31
	s_lshl_b64 s[16:17], s[16:17], 3
	s_delay_alu instid0(SALU_CYCLE_1)
	v_add_co_u32 v7, vcc_lo, v1, s16
	v_add_co_ci_u32_e32 v8, vcc_lo, s17, v2, vcc_lo
	global_load_b64 v[9:10], v[7:8], off
.LBB96_14:
	s_or_b32 exec_lo, exec_lo, s1
	v_add_nc_u32_e32 v7, 24, v11
	s_mov_b32 s1, exec_lo
	s_waitcnt vmcnt(0)
	ds_store_b64 v16, v[9:10] offset:4224
	v_cmpx_gt_i32_e64 s8, v7
	s_cbranch_execz .LBB96_16
; %bb.15:
	s_mul_i32 s16, s12, 24
	s_delay_alu instid0(SALU_CYCLE_1) | instskip(NEXT) | instid1(SALU_CYCLE_1)
	s_ashr_i32 s17, s16, 31
	s_lshl_b64 s[16:17], s[16:17], 3
	s_delay_alu instid0(SALU_CYCLE_1)
	v_add_co_u32 v5, vcc_lo, v1, s16
	v_add_co_ci_u32_e32 v6, vcc_lo, s17, v2, vcc_lo
	global_load_b64 v[5:6], v[5:6], off
.LBB96_16:
	s_or_b32 exec_lo, exec_lo, s1
	v_add_co_u32 v1, vcc_lo, v1, v18
	v_add_co_ci_u32_e32 v2, vcc_lo, 0, v2, vcc_lo
	s_waitcnt vmcnt(0)
	ds_store_b64 v16, v[5:6] offset:6336
	v_sub_co_u32 v1, vcc_lo, v1, s4
	v_subrev_co_ci_u32_e32 v2, vcc_lo, s5, v2, vcc_lo
	s_delay_alu instid0(VALU_DEP_2) | instskip(NEXT) | instid1(VALU_DEP_2)
	v_add_co_u32 v1, vcc_lo, v1, 8
	v_add_co_ci_u32_e32 v2, vcc_lo, 0, v2, vcc_lo
	s_delay_alu instid0(VALU_DEP_2) | instskip(NEXT) | instid1(VALU_DEP_2)
	v_cndmask_b32_e64 v1, v1, v3, s0
	v_cndmask_b32_e64 v2, v2, v4, s0
	v_mul_u32_u24_e32 v19, 33, v11
	s_branch .LBB96_19
.LBB96_17:
                                        ; implicit-def: $vgpr1_vgpr2
	v_mul_u32_u24_e32 v19, 33, v11
	s_cbranch_execz .LBB96_19
; %bb.18:
	s_lshl_b32 s0, s12, 3
	s_ashr_i32 s13, s12, 31
	s_ashr_i32 s1, s0, 31
	v_add_lshl_u32 v20, v19, v0, 3
	s_lshl_b64 s[0:1], s[0:1], 3
	s_delay_alu instid0(SALU_CYCLE_1)
	v_add_co_u32 v1, vcc_lo, v3, s0
	v_add_co_ci_u32_e32 v2, vcc_lo, s1, v4, vcc_lo
	s_lshl_b64 s[0:1], s[12:13], 6
	s_delay_alu instid0(VALU_DEP_2) | instid1(SALU_CYCLE_1)
	v_add_co_u32 v5, vcc_lo, v1, s0
	s_delay_alu instid0(VALU_DEP_2) | instskip(NEXT) | instid1(VALU_DEP_2)
	v_add_co_ci_u32_e32 v6, vcc_lo, s1, v2, vcc_lo
	v_add_co_u32 v7, vcc_lo, v5, s0
	s_delay_alu instid0(VALU_DEP_2)
	v_add_co_ci_u32_e32 v8, vcc_lo, s1, v6, vcc_lo
	s_clause 0x1
	global_load_b64 v[9:10], v[3:4], off
	global_load_b64 v[16:17], v[1:2], off
	;; [unrolled: 1-line block ×4, first 2 shown]
	v_dual_mov_b32 v1, v3 :: v_dual_mov_b32 v2, v4
	s_waitcnt vmcnt(3)
	ds_store_b64 v20, v[9:10]
	s_waitcnt vmcnt(2)
	ds_store_b64 v20, v[16:17] offset:2112
	s_waitcnt vmcnt(1)
	ds_store_b64 v20, v[5:6] offset:4224
	;; [unrolled: 2-line block ×3, first 2 shown]
.LBB96_19:
	v_lshlrev_b32_e32 v3, 2, v11
	v_mul_u32_u24_e32 v20, 33, v0
	v_mul_u32_u24_e32 v4, 0x84, v11
	s_waitcnt lgkmcnt(0)
	s_barrier
	v_cmp_gt_u32_e64 s1, v3, v0
	v_add_lshl_u32 v31, v3, v20, 3
	buffer_gl0_inv
	s_and_saveexec_b32 s0, s1
	s_cbranch_execz .LBB96_21
; %bb.20:
	v_add_lshl_u32 v5, v4, v0, 3
	ds_load_b64 v[5:6], v5
	s_waitcnt lgkmcnt(0)
	ds_store_b64 v31, v[5:6]
.LBB96_21:
	s_or_b32 exec_lo, exec_lo, s0
	v_cmp_ge_u32_e64 s3, v3, v0
	s_delay_alu instid0(VALU_DEP_1)
	s_and_saveexec_b32 s0, s3
	s_cbranch_execz .LBB96_23
; %bb.22:
	v_or_b32_e32 v5, 1, v3
	s_delay_alu instid0(VALU_DEP_1) | instskip(NEXT) | instid1(VALU_DEP_1)
	v_mul_u32_u24_e32 v5, 33, v5
	v_add_lshl_u32 v5, v5, v0, 3
	ds_load_b64 v[5:6], v5
	s_waitcnt lgkmcnt(0)
	ds_store_b64 v31, v[5:6] offset:8
.LBB96_23:
	s_or_b32 exec_lo, exec_lo, s0
	v_or_b32_e32 v5, 2, v3
	s_delay_alu instid0(VALU_DEP_1) | instskip(NEXT) | instid1(VALU_DEP_1)
	v_cmp_gt_u32_e64 s4, v5, v0
	s_and_saveexec_b32 s0, s4
	s_cbranch_execz .LBB96_25
; %bb.24:
	v_mul_u32_u24_e32 v5, 33, v5
	s_delay_alu instid0(VALU_DEP_1)
	v_add_lshl_u32 v5, v5, v0, 3
	ds_load_b64 v[5:6], v5
	s_waitcnt lgkmcnt(0)
	ds_store_b64 v31, v[5:6] offset:16
.LBB96_25:
	s_or_b32 exec_lo, exec_lo, s0
	v_or_b32_e32 v5, 3, v3
	s_delay_alu instid0(VALU_DEP_1) | instskip(SKIP_1) | instid1(VALU_DEP_2)
	v_mad_u32_u24 v6, v5, 33, v0
	v_cmp_gt_u32_e64 s5, v5, v0
	v_lshlrev_b32_e32 v21, 3, v6
	s_delay_alu instid0(VALU_DEP_2)
	s_and_saveexec_b32 s0, s5
	s_cbranch_execz .LBB96_27
; %bb.26:
	ds_load_b64 v[5:6], v21
	s_waitcnt lgkmcnt(0)
	ds_store_b64 v31, v[5:6] offset:24
.LBB96_27:
	s_or_b32 exec_lo, exec_lo, s0
	v_add_lshl_u32 v29, v4, v0, 3
	v_lshlrev_b32_e32 v32, 3, v3
	v_dual_mov_b32 v26, 0 :: v_dual_lshlrev_b32 v23, 3, v20
	s_waitcnt lgkmcnt(0)
	s_barrier
	buffer_gl0_inv
	v_mov_b32_e32 v27, 0
	ds_load_b64 v[7:8], v29
	ds_load_b128 v[3:6], v32 offset:9088
	v_add_nc_u32_e32 v30, 0xfffffdf0, v21
	v_add_lshl_u32 v28, v11, v20, 3
	v_cmp_gt_u32_e64 s0, 32, v22
	s_waitcnt lgkmcnt(0)
	v_fma_f64 v[3:4], v[7:8], v[3:4], 0
	ds_load_2addr_b64 v[7:10], v30 offset1:33
	s_waitcnt lgkmcnt(0)
	v_fma_f64 v[7:8], v[7:8], v[5:6], v[3:4]
	ds_load_b128 v[3:6], v32 offset:9104
	ds_load_b64 v[16:17], v21
	s_waitcnt lgkmcnt(0)
	s_barrier
	buffer_gl0_inv
	v_fma_f64 v[3:4], v[9:10], v[3:4], v[7:8]
	s_delay_alu instid0(VALU_DEP_1)
	v_fma_f64 v[3:4], v[16:17], v[5:6], v[3:4]
	ds_store_b64 v28, v[3:4]
	s_waitcnt lgkmcnt(0)
	s_barrier
	buffer_gl0_inv
	s_and_saveexec_b32 s6, s0
	s_cbranch_execz .LBB96_29
; %bb.28:
	ds_load_2addr_b64 v[3:6], v23 offset1:1
	ds_load_2addr_b64 v[7:10], v23 offset0:2 offset1:3
	s_waitcnt lgkmcnt(1)
	v_add_f64 v[3:4], v[3:4], v[5:6]
	s_waitcnt lgkmcnt(0)
	s_delay_alu instid0(VALU_DEP_1) | instskip(NEXT) | instid1(VALU_DEP_1)
	v_add_f64 v[3:4], v[3:4], v[7:8]
	v_add_f64 v[16:17], v[3:4], v[9:10]
	ds_load_2addr_b64 v[3:6], v23 offset0:4 offset1:5
	ds_load_2addr_b64 v[7:10], v23 offset0:6 offset1:7
	s_waitcnt lgkmcnt(1)
	v_add_f64 v[3:4], v[16:17], v[3:4]
	s_delay_alu instid0(VALU_DEP_1) | instskip(SKIP_1) | instid1(VALU_DEP_1)
	v_add_f64 v[3:4], v[3:4], v[5:6]
	s_waitcnt lgkmcnt(0)
	v_add_f64 v[3:4], v[3:4], v[7:8]
	s_delay_alu instid0(VALU_DEP_1)
	v_add_f64 v[26:27], v[3:4], v[9:10]
.LBB96_29:
	s_or_b32 exec_lo, exec_lo, s6
	s_lshl_b32 s20, s12, 5
	s_delay_alu instid0(SALU_CYCLE_1)
	s_ashr_i32 s21, s20, 31
	s_barrier
	s_lshl_b64 s[16:17], s[20:21], 3
	buffer_gl0_inv
	v_add_co_u32 v5, vcc_lo, v1, s16
	v_add_co_ci_u32_e32 v6, vcc_lo, s17, v2, vcc_lo
	s_delay_alu instid0(VALU_DEP_2) | instskip(NEXT) | instid1(VALU_DEP_2)
	v_add_co_u32 v3, vcc_lo, 0x100, v5
	v_add_co_ci_u32_e32 v4, vcc_lo, 0, v6, vcc_lo
	s_and_b32 vcc_lo, exec_lo, s19
	s_cbranch_vccz .LBB96_39
; %bb.30:
	s_delay_alu instid0(VALU_DEP_2)
	v_sub_co_u32 v1, vcc_lo, v3, v18
	s_ashr_i32 s9, s8, 31
	v_subrev_co_ci_u32_e32 v2, vcc_lo, 0, v4, vcc_lo
	s_lshl_b64 s[22:23], s[8:9], 3
	v_or_b32_e32 v7, 32, v0
	v_add_co_u32 v1, vcc_lo, v1, s22
	s_delay_alu instid0(VALU_DEP_3) | instskip(SKIP_1) | instid1(VALU_DEP_2)
	v_add_co_ci_u32_e32 v2, vcc_lo, s23, v2, vcc_lo
	s_sub_i32 s9, s8, 32
	v_add_co_u32 v1, vcc_lo, 0xfffffef8, v1
	s_delay_alu instid0(VALU_DEP_2)
	v_add_co_ci_u32_e32 v2, vcc_lo, -1, v2, vcc_lo
	v_cmp_gt_i32_e32 vcc_lo, s8, v7
	v_mov_b32_e32 v9, 0
	v_mov_b32_e32 v10, 0
	s_mov_b32 s13, exec_lo
	v_dual_cndmask_b32 v1, v1, v3 :: v_dual_cndmask_b32 v2, v2, v4
	s_delay_alu instid0(VALU_DEP_2)
	v_dual_mov_b32 v7, v9 :: v_dual_mov_b32 v8, v10
	v_cmpx_gt_i32_e64 s9, v11
	s_cbranch_execz .LBB96_32
; %bb.31:
	global_load_b64 v[7:8], v[1:2], off
.LBB96_32:
	s_or_b32 exec_lo, exec_lo, s13
	v_add_nc_u32_e32 v16, 8, v11
	v_add_lshl_u32 v33, v19, v0, 3
	s_mov_b32 s13, exec_lo
	s_waitcnt vmcnt(0)
	ds_store_b64 v33, v[7:8]
	v_cmpx_gt_i32_e64 s9, v16
	s_cbranch_execz .LBB96_34
; %bb.33:
	s_lshl_b32 s26, s12, 3
	s_delay_alu instid0(SALU_CYCLE_1) | instskip(NEXT) | instid1(SALU_CYCLE_1)
	s_ashr_i32 s27, s26, 31
	s_lshl_b64 s[26:27], s[26:27], 3
	s_delay_alu instid0(SALU_CYCLE_1) | instskip(NEXT) | instid1(VALU_DEP_1)
	v_add_co_u32 v7, s6, v1, s26
	v_add_co_ci_u32_e64 v8, s6, s27, v2, s6
	global_load_b64 v[9:10], v[7:8], off
.LBB96_34:
	s_or_b32 exec_lo, exec_lo, s13
	v_dual_mov_b32 v7, 0 :: v_dual_add_nc_u32 v16, 16, v11
	v_mov_b32_e32 v8, 0
	s_waitcnt vmcnt(0)
	ds_store_b64 v33, v[9:10] offset:2112
	v_cmp_gt_i32_e64 s6, s9, v16
	v_dual_mov_b32 v17, v8 :: v_dual_mov_b32 v16, v7
	s_delay_alu instid0(VALU_DEP_2)
	s_and_saveexec_b32 s13, s6
	s_cbranch_execz .LBB96_36
; %bb.35:
	s_lshl_b32 s26, s12, 4
	s_delay_alu instid0(SALU_CYCLE_1) | instskip(NEXT) | instid1(SALU_CYCLE_1)
	s_ashr_i32 s27, s26, 31
	s_lshl_b64 s[26:27], s[26:27], 3
	s_delay_alu instid0(SALU_CYCLE_1) | instskip(NEXT) | instid1(VALU_DEP_1)
	v_add_co_u32 v9, s6, v1, s26
	v_add_co_ci_u32_e64 v10, s6, s27, v2, s6
	global_load_b64 v[16:17], v[9:10], off
.LBB96_36:
	s_or_b32 exec_lo, exec_lo, s13
	v_add_nc_u32_e32 v9, 24, v11
	s_waitcnt vmcnt(0)
	ds_store_b64 v33, v[16:17] offset:4224
	v_cmp_gt_i32_e64 s6, s9, v9
	s_delay_alu instid0(VALU_DEP_1)
	s_and_saveexec_b32 s9, s6
	s_cbranch_execz .LBB96_38
; %bb.37:
	s_mul_i32 s26, s12, 24
	s_delay_alu instid0(SALU_CYCLE_1) | instskip(NEXT) | instid1(SALU_CYCLE_1)
	s_ashr_i32 s27, s26, 31
	s_lshl_b64 s[26:27], s[26:27], 3
	s_delay_alu instid0(SALU_CYCLE_1) | instskip(NEXT) | instid1(VALU_DEP_1)
	v_add_co_u32 v7, s6, v1, s26
	v_add_co_ci_u32_e64 v8, s6, s27, v2, s6
	global_load_b64 v[7:8], v[7:8], off
.LBB96_38:
	s_or_b32 exec_lo, exec_lo, s9
	v_add_co_u32 v1, s6, v1, v18
	s_delay_alu instid0(VALU_DEP_1) | instskip(SKIP_3) | instid1(VALU_DEP_1)
	v_add_co_ci_u32_e64 v2, s6, 0, v2, s6
	s_waitcnt vmcnt(0)
	ds_store_b64 v33, v[7:8] offset:6336
	v_sub_co_u32 v1, s6, v1, s22
	v_subrev_co_ci_u32_e64 v2, s6, s23, v2, s6
	s_delay_alu instid0(VALU_DEP_2) | instskip(NEXT) | instid1(VALU_DEP_1)
	v_add_co_u32 v1, s6, 0x108, v1
	v_add_co_ci_u32_e64 v2, s6, 0, v2, s6
	s_delay_alu instid0(VALU_DEP_1)
	v_dual_cndmask_b32 v1, v1, v3 :: v_dual_cndmask_b32 v2, v2, v4
	s_branch .LBB96_41
.LBB96_39:
                                        ; implicit-def: $vgpr1_vgpr2
	s_cbranch_execz .LBB96_41
; %bb.40:
	s_lshl_b32 s22, s12, 3
	s_ashr_i32 s13, s12, 31
	s_ashr_i32 s23, s22, 31
	v_add_lshl_u32 v33, v19, v0, 3
	s_lshl_b64 s[22:23], s[22:23], 3
	s_delay_alu instid0(SALU_CYCLE_1)
	v_add_co_u32 v1, vcc_lo, v5, s22
	v_add_co_ci_u32_e32 v2, vcc_lo, s23, v6, vcc_lo
	s_lshl_b64 s[22:23], s[12:13], 6
	s_delay_alu instid0(VALU_DEP_2) | instid1(SALU_CYCLE_1)
	v_add_co_u32 v7, vcc_lo, v1, s22
	s_delay_alu instid0(VALU_DEP_2) | instskip(NEXT) | instid1(VALU_DEP_2)
	v_add_co_ci_u32_e32 v8, vcc_lo, s23, v2, vcc_lo
	v_add_co_u32 v9, vcc_lo, v7, s22
	s_delay_alu instid0(VALU_DEP_2)
	v_add_co_ci_u32_e32 v10, vcc_lo, s23, v8, vcc_lo
	s_clause 0x3
	global_load_b64 v[5:6], v[5:6], off offset:256
	global_load_b64 v[16:17], v[1:2], off offset:256
	;; [unrolled: 1-line block ×4, first 2 shown]
	v_dual_mov_b32 v1, v3 :: v_dual_mov_b32 v2, v4
	s_waitcnt vmcnt(3)
	ds_store_b64 v33, v[5:6]
	s_waitcnt vmcnt(2)
	ds_store_b64 v33, v[16:17] offset:2112
	s_waitcnt vmcnt(1)
	ds_store_b64 v33, v[7:8] offset:4224
	;; [unrolled: 2-line block ×3, first 2 shown]
.LBB96_41:
	s_waitcnt lgkmcnt(0)
	s_barrier
	buffer_gl0_inv
	s_and_saveexec_b32 s6, s1
	s_cbranch_execnz .LBB96_58
; %bb.42:
	s_or_b32 exec_lo, exec_lo, s6
	s_and_saveexec_b32 s1, s3
	s_cbranch_execnz .LBB96_59
.LBB96_43:
	s_or_b32 exec_lo, exec_lo, s1
	s_and_saveexec_b32 s1, s4
	s_cbranch_execnz .LBB96_60
.LBB96_44:
	s_or_b32 exec_lo, exec_lo, s1
	v_add_nc_u32_e32 v32, 0x2380, v32
	s_and_saveexec_b32 s1, s5
	s_cbranch_execz .LBB96_46
.LBB96_45:
	ds_load_b64 v[3:4], v21
	s_waitcnt lgkmcnt(0)
	ds_store_b64 v31, v[3:4] offset:24
.LBB96_46:
	s_or_b32 exec_lo, exec_lo, s1
	s_waitcnt lgkmcnt(0)
	s_barrier
	buffer_gl0_inv
	ds_load_b64 v[7:8], v29
	ds_load_b128 v[3:6], v32 offset:256
	v_cmp_eq_u32_e64 s1, 1, v11
	s_waitcnt lgkmcnt(0)
	v_fma_f64 v[3:4], v[7:8], v[3:4], 0
	ds_load_2addr_b64 v[7:10], v30 offset1:33
	s_waitcnt lgkmcnt(0)
	v_fma_f64 v[7:8], v[7:8], v[5:6], v[3:4]
	ds_load_b128 v[3:6], v32 offset:272
	ds_load_b64 v[16:17], v21
	s_waitcnt lgkmcnt(0)
	s_barrier
	buffer_gl0_inv
	v_fma_f64 v[3:4], v[9:10], v[3:4], v[7:8]
	s_delay_alu instid0(VALU_DEP_1)
	v_fma_f64 v[3:4], v[16:17], v[5:6], v[3:4]
	ds_store_b64 v28, v[3:4]
	s_waitcnt lgkmcnt(0)
	s_barrier
	buffer_gl0_inv
	s_and_saveexec_b32 s3, s1
	s_cbranch_execz .LBB96_48
; %bb.47:
	ds_load_2addr_b64 v[3:6], v23 offset1:1
	ds_load_2addr_b64 v[7:10], v23 offset0:2 offset1:3
	s_waitcnt lgkmcnt(1)
	v_add_f64 v[3:4], v[3:4], v[5:6]
	s_waitcnt lgkmcnt(0)
	s_delay_alu instid0(VALU_DEP_1) | instskip(NEXT) | instid1(VALU_DEP_1)
	v_add_f64 v[3:4], v[3:4], v[7:8]
	v_add_f64 v[16:17], v[3:4], v[9:10]
	ds_load_2addr_b64 v[3:6], v23 offset0:4 offset1:5
	ds_load_2addr_b64 v[7:10], v23 offset0:6 offset1:7
	s_waitcnt lgkmcnt(1)
	v_add_f64 v[3:4], v[16:17], v[3:4]
	s_delay_alu instid0(VALU_DEP_1) | instskip(SKIP_1) | instid1(VALU_DEP_1)
	v_add_f64 v[3:4], v[3:4], v[5:6]
	s_waitcnt lgkmcnt(0)
	v_add_f64 v[3:4], v[3:4], v[7:8]
	s_delay_alu instid0(VALU_DEP_1)
	v_add_f64 v[26:27], v[3:4], v[9:10]
.LBB96_48:
	s_or_b32 exec_lo, exec_lo, s3
	v_add_co_u32 v3, vcc_lo, 0xffffff00, v1
	v_add_co_ci_u32_e32 v4, vcc_lo, -1, v2, vcc_lo
	s_and_b32 vcc_lo, exec_lo, s19
	s_barrier
	buffer_gl0_inv
	s_cbranch_vccz .LBB96_61
; %bb.49:
	v_sub_co_u32 v5, vcc_lo, v1, v18
	s_ashr_i32 s9, s8, 31
	v_subrev_co_ci_u32_e32 v6, vcc_lo, 0, v2, vcc_lo
	s_lshl_b64 s[4:5], s[8:9], 3
	s_sub_i32 s6, s8, 32
	v_add_co_u32 v5, vcc_lo, v5, s4
	s_delay_alu instid0(VALU_DEP_2) | instskip(SKIP_1) | instid1(VALU_DEP_2)
	v_add_co_ci_u32_e32 v6, vcc_lo, s5, v6, vcc_lo
	s_mov_b32 s9, exec_lo
	v_add_co_u32 v5, vcc_lo, 0xfffffef8, v5
	s_delay_alu instid0(VALU_DEP_2) | instskip(SKIP_2) | instid1(VALU_DEP_4)
	v_add_co_ci_u32_e32 v6, vcc_lo, -1, v6, vcc_lo
	v_cmp_gt_i32_e32 vcc_lo, s8, v0
	v_mov_b32_e32 v9, 0
	v_dual_mov_b32 v10, 0 :: v_dual_cndmask_b32 v5, v5, v3
	s_delay_alu instid0(VALU_DEP_2) | instskip(NEXT) | instid1(VALU_DEP_2)
	v_dual_cndmask_b32 v6, v6, v4 :: v_dual_mov_b32 v7, v9
	v_mov_b32_e32 v8, v10
	v_cmpx_gt_i32_e64 s6, v11
	s_cbranch_execz .LBB96_51
; %bb.50:
	global_load_b64 v[7:8], v[5:6], off
.LBB96_51:
	s_or_b32 exec_lo, exec_lo, s9
	v_add_nc_u32_e32 v31, 8, v11
	v_add_lshl_u32 v34, v19, v0, 3
	s_mov_b32 s9, exec_lo
	s_waitcnt vmcnt(0)
	ds_store_b64 v34, v[7:8]
	v_cmpx_gt_i32_e64 s6, v31
	s_cbranch_execz .LBB96_53
; %bb.52:
	s_lshl_b32 s22, s12, 3
	s_delay_alu instid0(SALU_CYCLE_1) | instskip(NEXT) | instid1(SALU_CYCLE_1)
	s_ashr_i32 s23, s22, 31
	s_lshl_b64 s[22:23], s[22:23], 3
	s_delay_alu instid0(SALU_CYCLE_1) | instskip(NEXT) | instid1(VALU_DEP_1)
	v_add_co_u32 v7, s3, v5, s22
	v_add_co_ci_u32_e64 v8, s3, s23, v6, s3
	global_load_b64 v[9:10], v[7:8], off
.LBB96_53:
	s_or_b32 exec_lo, exec_lo, s9
	v_mov_b32_e32 v7, 0
	v_dual_mov_b32 v8, 0 :: v_dual_add_nc_u32 v33, 16, v11
	s_mov_b32 s9, exec_lo
	s_waitcnt vmcnt(0)
	ds_store_b64 v34, v[9:10] offset:2112
	v_dual_mov_b32 v17, v8 :: v_dual_mov_b32 v16, v7
	v_cmpx_gt_i32_e64 s6, v33
	s_cbranch_execz .LBB96_55
; %bb.54:
	s_lshl_b32 s22, s12, 4
	s_delay_alu instid0(SALU_CYCLE_1) | instskip(NEXT) | instid1(SALU_CYCLE_1)
	s_ashr_i32 s23, s22, 31
	s_lshl_b64 s[22:23], s[22:23], 3
	s_delay_alu instid0(SALU_CYCLE_1) | instskip(NEXT) | instid1(VALU_DEP_1)
	v_add_co_u32 v9, s3, v5, s22
	v_add_co_ci_u32_e64 v10, s3, s23, v6, s3
	global_load_b64 v[16:17], v[9:10], off
.LBB96_55:
	s_or_b32 exec_lo, exec_lo, s9
	v_add_nc_u32_e32 v9, 24, v11
	s_waitcnt vmcnt(0)
	ds_store_b64 v34, v[16:17] offset:4224
	v_cmp_gt_i32_e64 s3, s6, v9
	s_delay_alu instid0(VALU_DEP_1)
	s_and_saveexec_b32 s6, s3
	s_cbranch_execz .LBB96_57
; %bb.56:
	s_mul_i32 s22, s12, 24
	s_delay_alu instid0(SALU_CYCLE_1) | instskip(NEXT) | instid1(SALU_CYCLE_1)
	s_ashr_i32 s23, s22, 31
	s_lshl_b64 s[22:23], s[22:23], 3
	s_delay_alu instid0(SALU_CYCLE_1) | instskip(NEXT) | instid1(VALU_DEP_1)
	v_add_co_u32 v7, s3, v5, s22
	v_add_co_ci_u32_e64 v8, s3, s23, v6, s3
	global_load_b64 v[7:8], v[7:8], off
.LBB96_57:
	s_or_b32 exec_lo, exec_lo, s6
	v_add_co_u32 v5, s3, v5, v18
	s_delay_alu instid0(VALU_DEP_1) | instskip(SKIP_3) | instid1(VALU_DEP_1)
	v_add_co_ci_u32_e64 v6, s3, 0, v6, s3
	s_waitcnt vmcnt(0)
	ds_store_b64 v34, v[7:8] offset:6336
	v_sub_co_u32 v5, s3, v5, s4
	v_subrev_co_ci_u32_e64 v6, s3, s5, v6, s3
	s_delay_alu instid0(VALU_DEP_2) | instskip(NEXT) | instid1(VALU_DEP_1)
	v_add_co_u32 v5, s3, v5, 8
	v_add_co_ci_u32_e64 v6, s3, 0, v6, s3
	s_delay_alu instid0(VALU_DEP_1)
	v_dual_cndmask_b32 v16, v5, v3 :: v_dual_cndmask_b32 v17, v6, v4
	s_branch .LBB96_63
.LBB96_58:
	ds_load_b64 v[3:4], v29
	s_waitcnt lgkmcnt(0)
	ds_store_b64 v31, v[3:4]
	s_or_b32 exec_lo, exec_lo, s6
	s_and_saveexec_b32 s1, s3
	s_cbranch_execz .LBB96_43
.LBB96_59:
	ds_load_b64 v[3:4], v30
	s_waitcnt lgkmcnt(0)
	ds_store_b64 v31, v[3:4] offset:8
	s_or_b32 exec_lo, exec_lo, s1
	s_and_saveexec_b32 s1, s4
	s_cbranch_execz .LBB96_44
.LBB96_60:
	ds_load_b64 v[3:4], v30 offset:264
	s_waitcnt lgkmcnt(0)
	ds_store_b64 v31, v[3:4] offset:16
	s_or_b32 exec_lo, exec_lo, s1
	v_add_nc_u32_e32 v32, 0x2380, v32
	s_and_saveexec_b32 s1, s5
	s_cbranch_execnz .LBB96_45
	s_branch .LBB96_46
.LBB96_61:
                                        ; implicit-def: $vgpr16_vgpr17
                                        ; implicit-def: $vgpr31
                                        ; implicit-def: $vgpr33
                                        ; implicit-def: $vgpr9
	s_cbranch_execz .LBB96_63
; %bb.62:
	s_lshl_b32 s4, s12, 3
	s_ashr_i32 s13, s12, 31
	s_ashr_i32 s5, s4, 31
	v_mov_b32_e32 v17, v4
	s_lshl_b64 s[4:5], s[4:5], 3
	v_add_lshl_u32 v0, v19, v0, 3
	v_add_co_u32 v5, vcc_lo, v1, s4
	v_add_co_ci_u32_e32 v6, vcc_lo, s5, v2, vcc_lo
	s_lshl_b64 s[4:5], s[12:13], 6
	v_dual_mov_b32 v16, v3 :: v_dual_add_nc_u32 v31, 8, v11
	s_delay_alu instid0(VALU_DEP_3) | instskip(NEXT) | instid1(VALU_DEP_3)
	v_add_co_u32 v7, vcc_lo, v5, s4
	v_add_co_ci_u32_e32 v8, vcc_lo, s5, v6, vcc_lo
	v_add_nc_u32_e32 v33, 16, v11
	s_delay_alu instid0(VALU_DEP_3) | instskip(NEXT) | instid1(VALU_DEP_3)
	v_add_co_u32 v9, vcc_lo, v7, s4
	v_add_co_ci_u32_e32 v10, vcc_lo, s5, v8, vcc_lo
	s_clause 0x3
	global_load_b64 v[1:2], v[1:2], off offset:-256
	global_load_b64 v[5:6], v[5:6], off offset:-256
	;; [unrolled: 1-line block ×4, first 2 shown]
	v_add_nc_u32_e32 v9, 24, v11
	s_waitcnt vmcnt(3)
	ds_store_b64 v0, v[1:2]
	s_waitcnt vmcnt(2)
	ds_store_b64 v0, v[5:6] offset:2112
	s_waitcnt vmcnt(1)
	ds_store_b64 v0, v[7:8] offset:4224
	;; [unrolled: 2-line block ×3, first 2 shown]
.LBB96_63:
	v_lshlrev_b32_e32 v0, 3, v11
	s_waitcnt lgkmcnt(0)
	s_barrier
	buffer_gl0_inv
	v_add_lshl_u32 v8, v31, v20, 3
	ds_load_b64 v[4:5], v0 offset:9088
	ds_load_b64 v[6:7], v28
	v_lshlrev_b32_e32 v18, 3, v31
	v_add_lshl_u32 v31, v33, v20, 3
	ds_load_b128 v[0:3], v32 offset:272
	ds_load_b64 v[10:11], v8
	ds_load_b64 v[18:19], v18 offset:9088
	ds_load_b64 v[34:35], v31
	v_add_lshl_u32 v8, v9, v20, 3
	s_waitcnt lgkmcnt(4)
	v_fma_f64 v[4:5], v[6:7], v[4:5], 0
	v_lshlrev_b32_e32 v6, 3, v33
	ds_load_b64 v[6:7], v6 offset:9088
	s_waitcnt lgkmcnt(2)
	v_fma_f64 v[4:5], v[10:11], v[18:19], v[4:5]
	v_lshlrev_b32_e32 v10, 3, v9
	ds_load_b64 v[8:9], v8
	ds_load_b64 v[10:11], v10 offset:9088
	ds_load_b64 v[18:19], v21
	s_waitcnt lgkmcnt(3)
	v_fma_f64 v[4:5], v[34:35], v[6:7], v[4:5]
	s_waitcnt lgkmcnt(1)
	s_delay_alu instid0(VALU_DEP_1)
	v_fma_f64 v[33:34], v[8:9], v[10:11], v[4:5]
	ds_load_b64 v[20:21], v29
	ds_load_b128 v[8:11], v32 offset:256
	ds_load_2addr_b64 v[4:7], v30 offset1:33
	s_waitcnt lgkmcnt(0)
	s_barrier
	buffer_gl0_inv
	ds_store_b64 v28, v[33:34]
	s_waitcnt lgkmcnt(0)
	s_barrier
	buffer_gl0_inv
	s_and_saveexec_b32 s3, s1
	s_cbranch_execz .LBB96_65
; %bb.64:
	ds_load_2addr_b64 v[29:32], v23 offset1:1
	ds_load_2addr_b64 v[33:36], v23 offset0:2 offset1:3
	s_waitcnt lgkmcnt(1)
	v_add_f64 v[26:27], v[26:27], v[29:30]
	s_delay_alu instid0(VALU_DEP_1) | instskip(SKIP_1) | instid1(VALU_DEP_1)
	v_add_f64 v[26:27], v[26:27], v[31:32]
	s_waitcnt lgkmcnt(0)
	v_add_f64 v[26:27], v[26:27], v[33:34]
	s_delay_alu instid0(VALU_DEP_1) | instskip(SKIP_4) | instid1(VALU_DEP_1)
	v_add_f64 v[26:27], v[26:27], v[35:36]
	ds_load_2addr_b64 v[29:32], v23 offset0:4 offset1:5
	ds_load_2addr_b64 v[33:36], v23 offset0:6 offset1:7
	s_waitcnt lgkmcnt(1)
	v_add_f64 v[26:27], v[26:27], v[29:30]
	v_add_f64 v[26:27], v[26:27], v[31:32]
	s_waitcnt lgkmcnt(0)
	s_delay_alu instid0(VALU_DEP_1) | instskip(NEXT) | instid1(VALU_DEP_1)
	v_add_f64 v[26:27], v[26:27], v[33:34]
	v_add_f64 v[26:27], v[26:27], v[35:36]
.LBB96_65:
	s_or_b32 exec_lo, exec_lo, s3
	v_fma_f64 v[8:9], v[20:21], v[8:9], 0
	s_barrier
	buffer_gl0_inv
	v_fma_f64 v[4:5], v[4:5], v[10:11], v[8:9]
	s_delay_alu instid0(VALU_DEP_1) | instskip(NEXT) | instid1(VALU_DEP_1)
	v_fma_f64 v[0:1], v[6:7], v[0:1], v[4:5]
	v_fma_f64 v[0:1], v[18:19], v[2:3], v[0:1]
	ds_store_b64 v28, v[0:1]
	s_waitcnt lgkmcnt(0)
	s_barrier
	buffer_gl0_inv
	s_and_saveexec_b32 s1, s0
	s_cbranch_execz .LBB96_67
; %bb.66:
	ds_load_2addr_b64 v[0:3], v23 offset1:1
	ds_load_2addr_b64 v[4:7], v23 offset0:2 offset1:3
	s_waitcnt lgkmcnt(1)
	v_add_f64 v[0:1], v[26:27], v[0:1]
	s_delay_alu instid0(VALU_DEP_1) | instskip(SKIP_1) | instid1(VALU_DEP_1)
	v_add_f64 v[0:1], v[0:1], v[2:3]
	s_waitcnt lgkmcnt(0)
	v_add_f64 v[0:1], v[0:1], v[4:5]
	s_delay_alu instid0(VALU_DEP_1) | instskip(SKIP_4) | instid1(VALU_DEP_1)
	v_add_f64 v[8:9], v[0:1], v[6:7]
	ds_load_2addr_b64 v[0:3], v23 offset0:4 offset1:5
	ds_load_2addr_b64 v[4:7], v23 offset0:6 offset1:7
	s_waitcnt lgkmcnt(1)
	v_add_f64 v[0:1], v[8:9], v[0:1]
	v_add_f64 v[0:1], v[0:1], v[2:3]
	s_waitcnt lgkmcnt(0)
	s_delay_alu instid0(VALU_DEP_1) | instskip(NEXT) | instid1(VALU_DEP_1)
	v_add_f64 v[0:1], v[0:1], v[4:5]
	v_add_f64 v[26:27], v[0:1], v[6:7]
.LBB96_67:
	s_or_b32 exec_lo, exec_lo, s1
	s_mul_hi_u32 s0, s24, s15
	s_mul_i32 s25, s25, s15
	s_mul_i32 s1, s24, s15
	s_add_i32 s0, s0, s25
	s_mul_hi_u32 s4, s1, s28
	s_mul_i32 s3, s0, s28
	s_mul_i32 s0, s1, s28
	s_add_i32 s1, s4, s3
	s_mul_hi_i32 s5, s24, s14
	s_lshl_b64 s[0:1], s[0:1], 3
	s_mul_i32 s4, s24, s14
	s_add_u32 s3, s10, s0
	s_addc_u32 s6, s11, s1
	s_lshl_b64 s[0:1], s[4:5], 3
	v_lshlrev_b32_e32 v95, 3, v25
	s_add_u32 s3, s3, s0
	s_addc_u32 s9, s6, s1
	s_add_i32 s1, s14, 1
	s_delay_alu instid0(SALU_CYCLE_1)
	s_cmp_ge_u32 s1, s28
	s_barrier
	buffer_gl0_inv
	s_cbranch_scc1 .LBB96_124
; %bb.68:
	v_lshlrev_b32_e32 v96, 2, v94
	s_mul_i32 s4, s18, s7
	v_lshrrev_b32_e32 v3, 4, v22
	s_ashr_i32 s5, s4, 31
	v_and_b32_e32 v4, 48, v25
	v_mad_u64_u32 v[0:1], null, v96, s12, v[25:26]
	s_lshl_b64 s[4:5], s[4:5], 3
	v_and_b32_e32 v2, 15, v25
	v_sub_co_u32 v97, vcc_lo, v12, s4
	v_subrev_co_ci_u32_e32 v98, vcc_lo, s5, v13, vcc_lo
	v_add_co_u32 v99, vcc_lo, v16, s16
	v_ashrrev_i32_e32 v1, 31, v0
	v_lshlrev_b32_e32 v5, 3, v4
	v_or_b32_e32 v6, 0x78, v95
	v_lshlrev_b32_e32 v7, 5, v3
	v_add_nc_u32_e32 v4, s18, v4
	v_add_co_ci_u32_e32 v100, vcc_lo, s17, v17, vcc_lo
	v_sub_co_u32 v123, vcc_lo, 0, v14
	v_mad_u32_u24 v103, 0x218, v2, v5
	v_mad_u32_u24 v104, 0x218, v2, v6
	;; [unrolled: 1-line block ×3, first 2 shown]
	v_mul_i32_i24_e32 v6, 0xffffffe8, v3
	v_add3_u32 v28, v4, v2, 64
	v_lshlrev_b64 v[2:3], 3, v[0:1]
	v_sub_co_ci_u32_e32 v124, vcc_lo, 0, v15, vcc_lo
	v_add_co_u32 v4, vcc_lo, s20, v0
	v_add_co_ci_u32_e32 v5, vcc_lo, s21, v1, vcc_lo
	s_delay_alu instid0(VALU_DEP_4) | instskip(SKIP_1) | instid1(VALU_DEP_3)
	v_sub_co_u32 v125, vcc_lo, v2, v14
	v_sub_co_ci_u32_e32 v126, vcc_lo, v3, v15, vcc_lo
	v_lshlrev_b64 v[2:3], 3, v[4:5]
	s_lshl_b32 s10, s12, 4
	s_ashr_i32 s13, s12, 31
	s_lshl_b32 s31, s7, 6
	s_ashr_i32 s11, s10, 31
	s_lshl_b32 s24, s12, 1
	s_mul_i32 s34, s12, 3
	s_mul_i32 s7, s7, s1
	;; [unrolled: 1-line block ×3, first 2 shown]
	s_lshl_b64 s[22:23], s[12:13], 4
	s_add_i32 s15, s28, -2
	s_ashr_i32 s25, s24, 31
	s_ashr_i32 s35, s34, 31
	s_lshl_b64 s[18:19], s[12:13], 3
	s_lshl_b32 s4, s7, 6
	s_lshl_b64 s[6:7], s[10:11], 5
	s_mul_hi_i32 s33, s12, 24
	v_add_co_u32 v4, vcc_lo, s36, v2
	s_add_u32 s1, s22, s16
	v_add_co_ci_u32_e32 v5, vcc_lo, s33, v3, vcc_lo
	s_addc_u32 s5, s23, s17
	v_add_co_u32 v127, vcc_lo, v16, s1
	v_add_co_ci_u32_e32 v128, vcc_lo, s5, v17, vcc_lo
	v_add_co_u32 v129, vcc_lo, v16, v4
	s_add_u32 s37, s18, s16
	v_add_co_ci_u32_e32 v130, vcc_lo, v17, v5, vcc_lo
	s_addc_u32 s38, s19, s17
	s_lshl_b64 s[26:27], s[24:25], 3
	v_add_co_u32 v131, vcc_lo, v16, s37
	s_add_u32 s39, s16, s26
	v_add_co_ci_u32_e32 v132, vcc_lo, s38, v17, vcc_lo
	s_addc_u32 s40, s17, s27
	s_lshl_b64 s[24:25], s[34:35], 3
	;; [unrolled: 5-line block ×3, first 2 shown]
	v_add_co_u32 v135, vcc_lo, v16, s39
	s_add_u32 s39, s16, s34
	v_add_co_ci_u32_e32 v136, vcc_lo, s40, v17, vcc_lo
	s_addc_u32 s40, s17, s35
	v_add_co_u32 v137, vcc_lo, v16, s39
	s_add_u32 s37, s37, s34
	v_add_co_ci_u32_e32 v138, vcc_lo, s40, v17, vcc_lo
	s_addc_u32 s38, s38, s35
	;; [unrolled: 4-line block ×4, first 2 shown]
	s_add_u32 s34, s1, s34
	s_addc_u32 s35, s5, s35
	s_add_u32 s20, s20, s10
	s_addc_u32 s21, s21, s11
	v_add_co_u32 v0, vcc_lo, s20, v0
	v_add_co_ci_u32_e32 v1, vcc_lo, s21, v1, vcc_lo
	v_add_co_u32 v143, vcc_lo, v16, s37
	v_add_co_ci_u32_e32 v144, vcc_lo, s38, v17, vcc_lo
	s_delay_alu instid0(VALU_DEP_3) | instskip(SKIP_3) | instid1(VALU_DEP_3)
	v_lshlrev_b64 v[0:1], 3, v[0:1]
	v_add_co_u32 v145, vcc_lo, v16, s34
	v_add_co_ci_u32_e32 v146, vcc_lo, s35, v17, vcc_lo
	s_lshl_b64 s[20:21], s[10:11], 4
	v_add_co_u32 v0, vcc_lo, s36, v0
	s_delay_alu instid0(VALU_DEP_4) | instskip(SKIP_1) | instid1(VALU_DEP_2)
	v_add_co_ci_u32_e32 v1, vcc_lo, s33, v1, vcc_lo
	s_add_u32 s16, s20, s16
	v_add_co_u32 v147, vcc_lo, v16, v0
	s_delay_alu instid0(VALU_DEP_2)
	v_add_co_ci_u32_e32 v148, vcc_lo, v17, v1, vcc_lo
	s_addc_u32 s17, s21, s17
	v_add_co_u32 v149, vcc_lo, v16, s16
	s_add_u32 s34, s16, s18
	v_add_co_ci_u32_e32 v150, vcc_lo, s17, v17, vcc_lo
	s_addc_u32 s35, s17, s19
	v_add_co_u32 v151, vcc_lo, v16, s34
	s_add_u32 s34, s16, s26
	v_add_co_ci_u32_e32 v152, vcc_lo, s35, v17, vcc_lo
	s_addc_u32 s35, s17, s27
	v_add_co_u32 v153, vcc_lo, v16, s34
	s_add_u32 s16, s16, s24
	v_add_co_ci_u32_e32 v154, vcc_lo, s35, v17, vcc_lo
	s_addc_u32 s17, s17, s25
	v_add_co_u32 v155, vcc_lo, v16, s16
	s_add_u32 s1, s1, s20
	v_add_co_ci_u32_e32 v156, vcc_lo, s17, v17, vcc_lo
	s_addc_u32 s5, s5, s21
	v_add_co_u32 v157, vcc_lo, v16, s1
	s_add_u32 s1, s36, s20
	v_add_co_ci_u32_e32 v158, vcc_lo, s5, v17, vcc_lo
	s_addc_u32 s5, s33, s21
	v_add_co_u32 v4, vcc_lo, s1, v2
	v_mad_i64_i32 v[0:1], null, s10, 24, v[2:3]
	v_add_co_ci_u32_e32 v5, vcc_lo, s5, v3, vcc_lo
	s_delay_alu instid0(VALU_DEP_3) | instskip(SKIP_1) | instid1(VALU_DEP_2)
	v_add_co_u32 v159, vcc_lo, v16, v4
	s_mul_i32 s1, s12, 0x180
	v_add_co_ci_u32_e32 v160, vcc_lo, v17, v5, vcc_lo
	s_delay_alu instid0(VALU_DEP_4)
	v_add_co_u32 v161, vcc_lo, v16, v0
	v_add_co_ci_u32_e32 v162, vcc_lo, v17, v1, vcc_lo
	v_add_co_u32 v7, vcc_lo, v0, s18
	v_add_co_ci_u32_e32 v8, vcc_lo, s19, v1, vcc_lo
	;; [unrolled: 2-line block ×3, first 2 shown]
	s_mul_hi_i32 s5, s10, 24
	v_add_co_u32 v163, vcc_lo, v16, v7
	s_add_u32 s1, s1, s22
	s_addc_u32 s5, s5, s23
	v_add_co_ci_u32_e32 v164, vcc_lo, v17, v8, vcc_lo
	s_add_u32 s10, s12, s10
	v_add_co_u32 v165, vcc_lo, v16, v9
	v_mad_u64_u32 v[4:5], null, s10, 24, v[2:3]
	v_add_co_ci_u32_e32 v166, vcc_lo, v17, v10, vcc_lo
	v_add_co_u32 v7, vcc_lo, v0, s24
	v_add_co_ci_u32_e32 v8, vcc_lo, s25, v1, vcc_lo
	s_addc_u32 s10, s13, s11
	s_delay_alu instid0(VALU_DEP_2) | instskip(SKIP_1) | instid1(VALU_DEP_3)
	v_add_co_u32 v167, vcc_lo, v16, v7
	v_mad_u64_u32 v[0:1], null, s10, 24, v[5:6]
	v_add_co_ci_u32_e32 v168, vcc_lo, v17, v8, vcc_lo
	v_add_co_u32 v1, vcc_lo, s1, v2
	v_add_co_ci_u32_e32 v2, vcc_lo, s5, v3, vcc_lo
	v_add_nc_u32_e32 v101, 0x2180, v95
	s_delay_alu instid0(VALU_DEP_3) | instskip(NEXT) | instid1(VALU_DEP_3)
	v_add_co_u32 v169, vcc_lo, v16, v1
	v_add_co_ci_u32_e32 v170, vcc_lo, v17, v2, vcc_lo
	v_add_co_u32 v171, vcc_lo, v16, v4
	v_add_nc_u32_e32 v102, 0x2380, v95
	v_cmp_gt_u32_e64 s0, 64, v22
	v_or_b32_e32 v106, 1, v96
	v_or_b32_e32 v107, 2, v96
	;; [unrolled: 1-line block ×3, first 2 shown]
	v_lshl_add_u32 v109, v94, 5, 0x2180
	v_mad_u32_u24 v110, 0x860, v94, v95
	v_add_nc_u32_e32 v111, 16, v96
	v_add_nc_u32_e32 v112, 17, v96
	;; [unrolled: 1-line block ×12, first 2 shown]
	v_add_co_ci_u32_e32 v172, vcc_lo, v17, v0, vcc_lo
	v_add_nc_u32_e32 v173, v105, v6
	s_cmp_eq_u32 s15, s14
	s_cselect_b32 s10, s29, 0
	s_and_saveexec_b32 s1, s2
	s_cbranch_execz .LBB96_72
.LBB96_69:
	v_cmp_gt_i32_e32 vcc_lo, s10, v25
	s_cmp_eq_u32 s10, 0
	v_mov_b32_e32 v0, 0
	v_mov_b32_e32 v1, 0
	s_cselect_b32 s5, -1, 0
	s_delay_alu instid0(SALU_CYCLE_1) | instskip(NEXT) | instid1(SALU_CYCLE_1)
	s_or_b32 s5, s5, vcc_lo
	s_and_saveexec_b32 s11, s5
	s_cbranch_execz .LBB96_71
; %bb.70:
	s_ashr_i32 s5, s4, 31
	s_delay_alu instid0(SALU_CYCLE_1) | instskip(NEXT) | instid1(SALU_CYCLE_1)
	s_lshl_b64 s[12:13], s[4:5], 3
	v_add_co_u32 v0, vcc_lo, v97, s12
	v_add_co_ci_u32_e32 v1, vcc_lo, s13, v98, vcc_lo
	global_load_b64 v[0:1], v[0:1], off
.LBB96_71:
	s_or_b32 exec_lo, exec_lo, s11
	s_waitcnt vmcnt(0)
	ds_store_b64 v101, v[0:1]
.LBB96_72:                              ; =>This Inner Loop Header: Depth=1
	s_or_b32 exec_lo, exec_lo, s1
	s_cmp_eq_u32 s10, 0
	v_add_co_u32 v0, vcc_lo, v99, v125
	s_cselect_b32 s5, -1, 0
	s_cmp_lg_u32 s10, 0
	v_add_co_ci_u32_e32 v1, vcc_lo, v100, v126, vcc_lo
	s_cselect_b32 s1, -1, 0
	s_waitcnt lgkmcnt(0)
	s_and_b32 vcc_lo, exec_lo, s1
	s_barrier
	buffer_gl0_inv
	s_cbranch_vccz .LBB96_120
; %bb.73:                               ;   in Loop: Header=BB96_72 Depth=1
	v_mov_b32_e32 v32, 0
	v_mov_b32_e32 v33, 0
	s_delay_alu instid0(VALU_DEP_2) | instskip(SKIP_1) | instid1(VALU_DEP_2)
	v_mov_b32_e32 v30, v32
	s_mov_b32 s11, exec_lo
	v_mov_b32_e32 v31, v33
	v_cmpx_gt_i32_e64 s10, v96
	s_cbranch_execz .LBB96_75
; %bb.74:                               ;   in Loop: Header=BB96_72 Depth=1
	global_load_b64 v[30:31], v[0:1], off
.LBB96_75:                              ;   in Loop: Header=BB96_72 Depth=1
	s_or_b32 exec_lo, exec_lo, s11
	s_delay_alu instid0(SALU_CYCLE_1)
	s_mov_b32 s11, exec_lo
	v_cmpx_gt_i32_e64 s10, v106
	s_cbranch_execz .LBB96_77
; %bb.76:                               ;   in Loop: Header=BB96_72 Depth=1
	v_add_co_u32 v2, vcc_lo, v131, v125
	v_add_co_ci_u32_e32 v3, vcc_lo, v132, v126, vcc_lo
	global_load_b64 v[32:33], v[2:3], off
.LBB96_77:                              ;   in Loop: Header=BB96_72 Depth=1
	s_or_b32 exec_lo, exec_lo, s11
	v_mov_b32_e32 v34, 0
	v_mov_b32_e32 v35, 0
	s_mov_b32 s11, exec_lo
	s_delay_alu instid0(VALU_DEP_1)
	v_dual_mov_b32 v37, v35 :: v_dual_mov_b32 v36, v34
	v_cmpx_gt_i32_e64 s10, v107
	s_cbranch_execz .LBB96_79
; %bb.78:                               ;   in Loop: Header=BB96_72 Depth=1
	v_add_co_u32 v2, vcc_lo, v133, v125
	v_add_co_ci_u32_e32 v3, vcc_lo, v134, v126, vcc_lo
	global_load_b64 v[36:37], v[2:3], off
.LBB96_79:                              ;   in Loop: Header=BB96_72 Depth=1
	s_or_b32 exec_lo, exec_lo, s11
	s_delay_alu instid0(SALU_CYCLE_1)
	s_mov_b32 s11, exec_lo
	v_cmpx_gt_i32_e64 s10, v108
	s_cbranch_execz .LBB96_81
; %bb.80:                               ;   in Loop: Header=BB96_72 Depth=1
	v_add_co_u32 v2, vcc_lo, v135, v125
	v_add_co_ci_u32_e32 v3, vcc_lo, v136, v126, vcc_lo
	global_load_b64 v[34:35], v[2:3], off
.LBB96_81:                              ;   in Loop: Header=BB96_72 Depth=1
	s_or_b32 exec_lo, exec_lo, s11
	s_branch .LBB96_83
.LBB96_82:                              ;   in Loop: Header=BB96_72 Depth=1
	v_add_co_u32 v2, vcc_lo, v131, v125
	v_add_co_ci_u32_e32 v3, vcc_lo, v132, v126, vcc_lo
	v_add_co_u32 v4, vcc_lo, v127, v125
	v_add_co_ci_u32_e32 v5, vcc_lo, v128, v126, vcc_lo
	;; [unrolled: 2-line block ×3, first 2 shown]
	global_load_b64 v[30:31], v[0:1], off
	global_load_b64 v[32:33], v[2:3], off
	;; [unrolled: 1-line block ×4, first 2 shown]
.LBB96_83:                              ;   in Loop: Header=BB96_72 Depth=1
	ds_load_b64 v[0:1], v102
	ds_load_b64 v[38:39], v109
	v_add_co_u32 v8, vcc_lo, v137, v125
	v_cndmask_b32_e64 v29, 0, 1, s1
	v_add_co_ci_u32_e32 v9, vcc_lo, v138, v126, vcc_lo
	s_and_not1_b32 vcc_lo, exec_lo, s1
	s_waitcnt vmcnt(0) lgkmcnt(1)
	v_mul_f64 v[2:3], v[30:31], v[0:1]
	v_mul_f64 v[4:5], v[32:33], v[0:1]
	;; [unrolled: 1-line block ×4, first 2 shown]
	ds_store_b64 v110, v[2:3]
	ds_load_b64 v[40:41], v109 offset:8
	ds_store_b64 v110, v[4:5] offset:536
	ds_load_b64 v[42:43], v109 offset:16
	ds_store_b64 v110, v[6:7] offset:1072
	;; [unrolled: 2-line block ×3, first 2 shown]
	s_waitcnt lgkmcnt(0)
	s_barrier
	buffer_gl0_inv
	ds_load_2addr_b64 v[4:7], v105 offset1:1
	ds_load_2addr_b64 v[0:3], v105 offset0:2 offset1:3
	s_waitcnt lgkmcnt(0)
	s_barrier
	buffer_gl0_inv
	s_cbranch_vccnz .LBB96_121
; %bb.84:                               ;   in Loop: Header=BB96_72 Depth=1
	v_mov_b32_e32 v48, 0
	v_mov_b32_e32 v49, 0
	s_delay_alu instid0(VALU_DEP_2) | instskip(SKIP_1) | instid1(VALU_DEP_2)
	v_mov_b32_e32 v46, v48
	s_mov_b32 s1, exec_lo
	v_mov_b32_e32 v47, v49
	v_cmpx_gt_i32_e64 s10, v111
	s_cbranch_execz .LBB96_86
; %bb.85:                               ;   in Loop: Header=BB96_72 Depth=1
	global_load_b64 v[46:47], v[8:9], off
.LBB96_86:                              ;   in Loop: Header=BB96_72 Depth=1
	s_or_b32 exec_lo, exec_lo, s1
	s_delay_alu instid0(SALU_CYCLE_1)
	s_mov_b32 s1, exec_lo
	v_cmpx_gt_i32_e64 s10, v112
	s_cbranch_execz .LBB96_88
; %bb.87:                               ;   in Loop: Header=BB96_72 Depth=1
	v_add_co_u32 v10, vcc_lo, v139, v125
	v_add_co_ci_u32_e32 v11, vcc_lo, v140, v126, vcc_lo
	global_load_b64 v[48:49], v[10:11], off
.LBB96_88:                              ;   in Loop: Header=BB96_72 Depth=1
	s_or_b32 exec_lo, exec_lo, s1
	v_mov_b32_e32 v50, 0
	v_mov_b32_e32 v51, 0
	s_mov_b32 s1, exec_lo
	s_delay_alu instid0(VALU_DEP_1)
	v_dual_mov_b32 v53, v51 :: v_dual_mov_b32 v52, v50
	v_cmpx_gt_i32_e64 s10, v113
	s_cbranch_execz .LBB96_90
; %bb.89:                               ;   in Loop: Header=BB96_72 Depth=1
	v_add_co_u32 v10, vcc_lo, v141, v125
	v_add_co_ci_u32_e32 v11, vcc_lo, v142, v126, vcc_lo
	global_load_b64 v[52:53], v[10:11], off
.LBB96_90:                              ;   in Loop: Header=BB96_72 Depth=1
	s_or_b32 exec_lo, exec_lo, s1
	s_delay_alu instid0(SALU_CYCLE_1)
	s_mov_b32 s1, exec_lo
	v_cmpx_gt_i32_e64 s10, v114
	s_cbranch_execz .LBB96_92
; %bb.91:                               ;   in Loop: Header=BB96_72 Depth=1
	v_add_co_u32 v10, vcc_lo, v143, v125
	v_add_co_ci_u32_e32 v11, vcc_lo, v144, v126, vcc_lo
	global_load_b64 v[50:51], v[10:11], off
.LBB96_92:                              ;   in Loop: Header=BB96_72 Depth=1
	s_or_b32 exec_lo, exec_lo, s1
	s_branch .LBB96_94
.LBB96_93:                              ;   in Loop: Header=BB96_72 Depth=1
	v_add_co_u32 v10, vcc_lo, v139, v125
	v_add_co_ci_u32_e32 v11, vcc_lo, v140, v126, vcc_lo
	v_add_co_u32 v12, vcc_lo, v145, v125
	v_add_co_ci_u32_e32 v13, vcc_lo, v146, v126, vcc_lo
	;; [unrolled: 2-line block ×3, first 2 shown]
	global_load_b64 v[46:47], v[8:9], off
	global_load_b64 v[48:49], v[10:11], off
	;; [unrolled: 1-line block ×4, first 2 shown]
.LBB96_94:                              ;   in Loop: Header=BB96_72 Depth=1
	ds_load_b64 v[8:9], v102
	ds_load_b64 v[54:55], v109 offset:128
	v_cmp_ne_u32_e32 vcc_lo, 1, v29
	v_add_co_u32 v16, s1, v149, v125
	s_delay_alu instid0(VALU_DEP_1)
	v_add_co_ci_u32_e64 v17, s1, v150, v126, s1
	s_and_b32 vcc_lo, exec_lo, vcc_lo
	s_waitcnt vmcnt(0) lgkmcnt(1)
	v_mul_f64 v[10:11], v[46:47], v[8:9]
	v_mul_f64 v[12:13], v[48:49], v[8:9]
	;; [unrolled: 1-line block ×4, first 2 shown]
	ds_store_b64 v110, v[10:11]
	ds_load_b64 v[56:57], v109 offset:136
	ds_store_b64 v110, v[12:13] offset:536
	ds_load_b64 v[58:59], v109 offset:144
	ds_store_b64 v110, v[14:15] offset:1072
	;; [unrolled: 2-line block ×3, first 2 shown]
	s_waitcnt lgkmcnt(0)
	s_barrier
	buffer_gl0_inv
	ds_load_2addr_b64 v[12:15], v105 offset1:1
	ds_load_2addr_b64 v[8:11], v105 offset0:2 offset1:3
	s_waitcnt lgkmcnt(0)
	s_barrier
	buffer_gl0_inv
	s_cbranch_vccnz .LBB96_122
; %bb.95:                               ;   in Loop: Header=BB96_72 Depth=1
	v_mov_b32_e32 v64, 0
	v_mov_b32_e32 v65, 0
	s_delay_alu instid0(VALU_DEP_2) | instskip(SKIP_1) | instid1(VALU_DEP_2)
	v_mov_b32_e32 v62, v64
	s_mov_b32 s1, exec_lo
	v_mov_b32_e32 v63, v65
	v_cmpx_gt_i32_e64 s10, v115
	s_cbranch_execz .LBB96_97
; %bb.96:                               ;   in Loop: Header=BB96_72 Depth=1
	global_load_b64 v[62:63], v[16:17], off
.LBB96_97:                              ;   in Loop: Header=BB96_72 Depth=1
	s_or_b32 exec_lo, exec_lo, s1
	s_delay_alu instid0(SALU_CYCLE_1)
	s_mov_b32 s1, exec_lo
	v_cmpx_gt_i32_e64 s10, v116
	s_cbranch_execz .LBB96_99
; %bb.98:                               ;   in Loop: Header=BB96_72 Depth=1
	v_add_co_u32 v18, vcc_lo, v151, v125
	v_add_co_ci_u32_e32 v19, vcc_lo, v152, v126, vcc_lo
	global_load_b64 v[64:65], v[18:19], off
.LBB96_99:                              ;   in Loop: Header=BB96_72 Depth=1
	s_or_b32 exec_lo, exec_lo, s1
	v_mov_b32_e32 v66, 0
	v_mov_b32_e32 v67, 0
	s_mov_b32 s1, exec_lo
	s_delay_alu instid0(VALU_DEP_1)
	v_dual_mov_b32 v69, v67 :: v_dual_mov_b32 v68, v66
	v_cmpx_gt_i32_e64 s10, v117
	s_cbranch_execz .LBB96_101
; %bb.100:                              ;   in Loop: Header=BB96_72 Depth=1
	v_add_co_u32 v18, vcc_lo, v153, v125
	v_add_co_ci_u32_e32 v19, vcc_lo, v154, v126, vcc_lo
	global_load_b64 v[68:69], v[18:19], off
.LBB96_101:                             ;   in Loop: Header=BB96_72 Depth=1
	s_or_b32 exec_lo, exec_lo, s1
	s_delay_alu instid0(SALU_CYCLE_1)
	s_mov_b32 s1, exec_lo
	v_cmpx_gt_i32_e64 s10, v118
	s_cbranch_execz .LBB96_103
; %bb.102:                              ;   in Loop: Header=BB96_72 Depth=1
	v_add_co_u32 v18, vcc_lo, v155, v125
	v_add_co_ci_u32_e32 v19, vcc_lo, v156, v126, vcc_lo
	global_load_b64 v[66:67], v[18:19], off
.LBB96_103:                             ;   in Loop: Header=BB96_72 Depth=1
	s_or_b32 exec_lo, exec_lo, s1
	s_branch .LBB96_105
.LBB96_104:                             ;   in Loop: Header=BB96_72 Depth=1
	v_add_co_u32 v18, vcc_lo, v151, v125
	v_add_co_ci_u32_e32 v19, vcc_lo, v152, v126, vcc_lo
	v_add_co_u32 v20, vcc_lo, v157, v125
	v_add_co_ci_u32_e32 v21, vcc_lo, v158, v126, vcc_lo
	;; [unrolled: 2-line block ×3, first 2 shown]
	global_load_b64 v[62:63], v[16:17], off
	global_load_b64 v[64:65], v[18:19], off
	;; [unrolled: 1-line block ×4, first 2 shown]
.LBB96_105:                             ;   in Loop: Header=BB96_72 Depth=1
	ds_load_b64 v[16:17], v102
	ds_load_b64 v[70:71], v109 offset:256
	v_cmp_ne_u32_e32 vcc_lo, 1, v29
	v_add_co_u32 v86, s1, v161, v123
	s_delay_alu instid0(VALU_DEP_1)
	v_add_co_ci_u32_e64 v87, s1, v162, v124, s1
	s_and_b32 vcc_lo, exec_lo, vcc_lo
	s_waitcnt vmcnt(0) lgkmcnt(1)
	v_mul_f64 v[18:19], v[62:63], v[16:17]
	v_mul_f64 v[20:21], v[64:65], v[16:17]
	v_mul_f64 v[22:23], v[68:69], v[16:17]
	v_mul_f64 v[16:17], v[66:67], v[16:17]
	ds_store_b64 v110, v[18:19]
	ds_load_b64 v[72:73], v109 offset:264
	ds_store_b64 v110, v[20:21] offset:536
	ds_load_b64 v[74:75], v109 offset:272
	ds_store_b64 v110, v[22:23] offset:1072
	;; [unrolled: 2-line block ×3, first 2 shown]
	s_waitcnt lgkmcnt(0)
	s_barrier
	buffer_gl0_inv
	ds_load_2addr_b64 v[20:23], v105 offset1:1
	ds_load_2addr_b64 v[16:19], v105 offset0:2 offset1:3
	s_waitcnt lgkmcnt(0)
	s_barrier
	buffer_gl0_inv
	s_cbranch_vccnz .LBB96_123
; %bb.106:                              ;   in Loop: Header=BB96_72 Depth=1
	v_mov_b32_e32 v82, 0
	v_mov_b32_e32 v83, 0
	s_delay_alu instid0(VALU_DEP_2) | instskip(SKIP_1) | instid1(VALU_DEP_2)
	v_mov_b32_e32 v80, v82
	s_mov_b32 s1, exec_lo
	v_mov_b32_e32 v81, v83
	v_cmpx_gt_i32_e64 s10, v119
	s_cbranch_execz .LBB96_108
; %bb.107:                              ;   in Loop: Header=BB96_72 Depth=1
	global_load_b64 v[80:81], v[86:87], off
.LBB96_108:                             ;   in Loop: Header=BB96_72 Depth=1
	s_or_b32 exec_lo, exec_lo, s1
	s_delay_alu instid0(SALU_CYCLE_1)
	s_mov_b32 s1, exec_lo
	v_cmpx_gt_i32_e64 s10, v120
	s_cbranch_execz .LBB96_110
; %bb.109:                              ;   in Loop: Header=BB96_72 Depth=1
	v_add_co_u32 v78, vcc_lo, v163, v123
	v_add_co_ci_u32_e32 v79, vcc_lo, v164, v124, vcc_lo
	global_load_b64 v[82:83], v[78:79], off
.LBB96_110:                             ;   in Loop: Header=BB96_72 Depth=1
	s_or_b32 exec_lo, exec_lo, s1
	v_mov_b32_e32 v78, 0
	v_mov_b32_e32 v79, 0
	s_mov_b32 s1, exec_lo
	s_delay_alu instid0(VALU_DEP_1)
	v_dual_mov_b32 v85, v79 :: v_dual_mov_b32 v84, v78
	v_cmpx_gt_i32_e64 s10, v121
	s_cbranch_execz .LBB96_112
; %bb.111:                              ;   in Loop: Header=BB96_72 Depth=1
	v_add_co_u32 v84, vcc_lo, v165, v123
	v_add_co_ci_u32_e32 v85, vcc_lo, v166, v124, vcc_lo
	global_load_b64 v[84:85], v[84:85], off
.LBB96_112:                             ;   in Loop: Header=BB96_72 Depth=1
	s_or_b32 exec_lo, exec_lo, s1
	s_delay_alu instid0(SALU_CYCLE_1)
	s_mov_b32 s1, exec_lo
	v_cmpx_gt_i32_e64 s10, v122
	s_cbranch_execz .LBB96_114
; %bb.113:                              ;   in Loop: Header=BB96_72 Depth=1
	v_add_co_u32 v78, vcc_lo, v167, v123
	v_add_co_ci_u32_e32 v79, vcc_lo, v168, v124, vcc_lo
	global_load_b64 v[78:79], v[78:79], off
.LBB96_114:                             ;   in Loop: Header=BB96_72 Depth=1
	s_or_b32 exec_lo, exec_lo, s1
	s_branch .LBB96_116
.LBB96_115:                             ;   in Loop: Header=BB96_72 Depth=1
	s_waitcnt vmcnt(0)
	v_add_co_u32 v78, vcc_lo, v163, v123
	v_add_co_ci_u32_e32 v79, vcc_lo, v164, v124, vcc_lo
	v_add_co_u32 v84, vcc_lo, v169, v123
	v_add_co_ci_u32_e32 v85, vcc_lo, v170, v124, vcc_lo
	;; [unrolled: 2-line block ×3, first 2 shown]
	global_load_b64 v[80:81], v[86:87], off
	global_load_b64 v[82:83], v[78:79], off
	;; [unrolled: 1-line block ×4, first 2 shown]
.LBB96_116:                             ;   in Loop: Header=BB96_72 Depth=1
	ds_load_b64 v[86:87], v102
	ds_load_b64 v[90:91], v109 offset:384
	v_add_f64 v[12:13], v[12:13], 0
	v_add_f64 v[4:5], v[4:5], 0
	;; [unrolled: 1-line block ×3, first 2 shown]
	v_cmp_gt_i32_e32 vcc_lo, s10, v25
	s_or_b32 s1, s5, vcc_lo
	s_delay_alu instid0(SALU_CYCLE_1)
	s_and_b32 s5, s0, s1
	s_waitcnt vmcnt(0) lgkmcnt(1)
	v_mul_f64 v[88:89], v[80:81], v[86:87]
	v_mul_f64 v[174:175], v[82:83], v[86:87]
	;; [unrolled: 1-line block ×4, first 2 shown]
	v_add_f64 v[12:13], v[12:13], v[14:15]
	v_add_f64 v[4:5], v[4:5], v[6:7]
	;; [unrolled: 1-line block ×3, first 2 shown]
	ds_store_b64 v110, v[88:89]
	ds_load_b64 v[92:93], v109 offset:392
	ds_store_b64 v110, v[174:175] offset:536
	ds_load_b64 v[88:89], v109 offset:400
	ds_store_b64 v110, v[176:177] offset:1072
	ds_load_b64 v[86:87], v109 offset:408
	ds_store_b64 v110, v[178:179] offset:1608
	s_waitcnt lgkmcnt(0)
	s_barrier
	buffer_gl0_inv
	ds_load_2addr_b64 v[174:177], v105 offset1:1
	ds_load_2addr_b64 v[178:181], v105 offset0:2 offset1:3
	s_waitcnt lgkmcnt(0)
	s_barrier
	buffer_gl0_inv
	v_add_f64 v[8:9], v[12:13], v[8:9]
	v_add_f64 v[0:1], v[4:5], v[0:1]
	;; [unrolled: 1-line block ×4, first 2 shown]
	s_delay_alu instid0(VALU_DEP_4) | instskip(NEXT) | instid1(VALU_DEP_4)
	v_add_f64 v[8:9], v[8:9], v[10:11]
	v_add_f64 v[0:1], v[0:1], v[2:3]
	s_delay_alu instid0(VALU_DEP_3) | instskip(NEXT) | instid1(VALU_DEP_1)
	v_add_f64 v[6:7], v[174:175], v[176:177]
	v_add_f64 v[4:5], v[6:7], v[178:179]
	v_add_f64 v[6:7], v[14:15], v[18:19]
	s_delay_alu instid0(VALU_DEP_2)
	v_add_f64 v[2:3], v[4:5], v[180:181]
	ds_store_2addr_b64 v173, v[0:1], v[8:9] offset1:16
	ds_store_2addr_b64 v173, v[6:7], v[2:3] offset0:32 offset1:48
	s_waitcnt lgkmcnt(0)
	s_barrier
	buffer_gl0_inv
	s_and_saveexec_b32 s1, s5
	s_cbranch_execz .LBB96_118
; %bb.117:                              ;   in Loop: Header=BB96_72 Depth=1
	ds_load_2addr_b64 v[0:3], v103 offset1:1
	ds_load_2addr_b64 v[4:7], v103 offset0:2 offset1:3
	v_ashrrev_i32_e32 v29, 31, v28
	s_waitcnt lgkmcnt(1)
	v_add_f64 v[0:1], v[0:1], v[2:3]
	s_waitcnt lgkmcnt(0)
	s_delay_alu instid0(VALU_DEP_1) | instskip(NEXT) | instid1(VALU_DEP_1)
	v_add_f64 v[0:1], v[0:1], v[4:5]
	v_add_f64 v[8:9], v[0:1], v[6:7]
	ds_load_2addr_b64 v[0:3], v103 offset0:4 offset1:5
	ds_load_2addr_b64 v[4:7], v103 offset0:6 offset1:7
	s_waitcnt lgkmcnt(1)
	v_add_f64 v[0:1], v[8:9], v[0:1]
	s_delay_alu instid0(VALU_DEP_1) | instskip(SKIP_1) | instid1(VALU_DEP_1)
	v_add_f64 v[0:1], v[0:1], v[2:3]
	s_waitcnt lgkmcnt(0)
	v_add_f64 v[0:1], v[0:1], v[4:5]
	s_delay_alu instid0(VALU_DEP_1) | instskip(SKIP_4) | instid1(VALU_DEP_1)
	v_add_f64 v[8:9], v[0:1], v[6:7]
	ds_load_2addr_b64 v[0:3], v103 offset0:8 offset1:9
	ds_load_2addr_b64 v[4:7], v103 offset0:10 offset1:11
	s_waitcnt lgkmcnt(1)
	v_add_f64 v[0:1], v[8:9], v[0:1]
	v_add_f64 v[0:1], v[0:1], v[2:3]
	s_waitcnt lgkmcnt(0)
	s_delay_alu instid0(VALU_DEP_1) | instskip(NEXT) | instid1(VALU_DEP_1)
	v_add_f64 v[0:1], v[0:1], v[4:5]
	v_add_f64 v[4:5], v[0:1], v[6:7]
	ds_load_2addr_b64 v[0:3], v103 offset0:12 offset1:13
	ds_load_b64 v[6:7], v103 offset:112
	s_waitcnt lgkmcnt(1)
	v_add_f64 v[0:1], v[4:5], v[0:1]
	s_delay_alu instid0(VALU_DEP_1) | instskip(SKIP_4) | instid1(VALU_DEP_1)
	v_add_f64 v[0:1], v[0:1], v[2:3]
	ds_load_b64 v[2:3], v104
	s_waitcnt lgkmcnt(1)
	v_add_f64 v[0:1], v[0:1], v[6:7]
	s_waitcnt lgkmcnt(0)
	v_add_f64 v[0:1], v[0:1], v[2:3]
	v_lshlrev_b64 v[2:3], 3, v[28:29]
	s_delay_alu instid0(VALU_DEP_1) | instskip(NEXT) | instid1(VALU_DEP_2)
	v_add_co_u32 v2, vcc_lo, s3, v2
	v_add_co_ci_u32_e32 v3, vcc_lo, s9, v3, vcc_lo
	global_store_b64 v[2:3], v[0:1], off
.LBB96_118:                             ;   in Loop: Header=BB96_72 Depth=1
	s_or_b32 exec_lo, exec_lo, s1
	v_fma_f64 v[0:1], v[30:31], v[38:39], v[26:27]
	v_add_co_u32 v99, vcc_lo, v99, s6
	v_add_co_ci_u32_e32 v100, vcc_lo, s7, v100, vcc_lo
	v_add_co_u32 v127, vcc_lo, v127, s6
	v_add_co_ci_u32_e32 v128, vcc_lo, s7, v128, vcc_lo
	;; [unrolled: 2-line block ×9, first 2 shown]
	v_add_co_u32 v143, vcc_lo, v143, s6
	v_fma_f64 v[0:1], v[32:33], v[40:41], v[0:1]
	v_add_co_ci_u32_e32 v144, vcc_lo, s7, v144, vcc_lo
	v_add_co_u32 v145, vcc_lo, v145, s6
	v_add_co_ci_u32_e32 v146, vcc_lo, s7, v146, vcc_lo
	v_add_co_u32 v147, vcc_lo, v147, s6
	;; [unrolled: 2-line block ×9, first 2 shown]
	v_add_co_ci_u32_e32 v162, vcc_lo, s7, v162, vcc_lo
	v_fma_f64 v[0:1], v[36:37], v[42:43], v[0:1]
	v_add_co_u32 v163, vcc_lo, v163, s6
	v_add_co_ci_u32_e32 v164, vcc_lo, s7, v164, vcc_lo
	v_add_co_u32 v165, vcc_lo, v165, s6
	v_add_co_ci_u32_e32 v166, vcc_lo, s7, v166, vcc_lo
	;; [unrolled: 2-line block ×4, first 2 shown]
	v_add_co_u32 v171, vcc_lo, v171, s6
	v_add_nc_u32_e32 v28, 64, v28
	v_add_co_ci_u32_e32 v172, vcc_lo, s7, v172, vcc_lo
	s_add_i32 s5, s14, 2
	s_add_i32 s1, s14, 1
	;; [unrolled: 1-line block ×3, first 2 shown]
	s_cmp_ge_u32 s5, s28
	s_waitcnt_vscnt null, 0x0
	s_barrier
	buffer_gl0_inv
	v_fma_f64 v[0:1], v[34:35], v[44:45], v[0:1]
	s_delay_alu instid0(VALU_DEP_1) | instskip(NEXT) | instid1(VALU_DEP_1)
	v_fma_f64 v[0:1], v[46:47], v[54:55], v[0:1]
	v_fma_f64 v[0:1], v[48:49], v[56:57], v[0:1]
	s_delay_alu instid0(VALU_DEP_1) | instskip(NEXT) | instid1(VALU_DEP_1)
	v_fma_f64 v[0:1], v[52:53], v[58:59], v[0:1]
	v_fma_f64 v[0:1], v[50:51], v[60:61], v[0:1]
	s_delay_alu instid0(VALU_DEP_1) | instskip(NEXT) | instid1(VALU_DEP_1)
	v_fma_f64 v[0:1], v[62:63], v[70:71], v[0:1]
	v_fma_f64 v[0:1], v[64:65], v[72:73], v[0:1]
	s_delay_alu instid0(VALU_DEP_1) | instskip(NEXT) | instid1(VALU_DEP_1)
	v_fma_f64 v[0:1], v[68:69], v[74:75], v[0:1]
	v_fma_f64 v[0:1], v[66:67], v[76:77], v[0:1]
	s_delay_alu instid0(VALU_DEP_1) | instskip(NEXT) | instid1(VALU_DEP_1)
	v_fma_f64 v[0:1], v[80:81], v[90:91], v[0:1]
	v_fma_f64 v[0:1], v[82:83], v[92:93], v[0:1]
	s_delay_alu instid0(VALU_DEP_1) | instskip(NEXT) | instid1(VALU_DEP_1)
	v_fma_f64 v[0:1], v[84:85], v[88:89], v[0:1]
	v_fma_f64 v[26:27], v[78:79], v[86:87], v[0:1]
	s_cbranch_scc1 .LBB96_124
; %bb.119:                              ;   in Loop: Header=BB96_72 Depth=1
	s_mov_b32 s14, s1
	s_delay_alu instid0(SALU_CYCLE_1)
	s_cmp_eq_u32 s15, s14
	s_cselect_b32 s10, s29, 0
	s_and_saveexec_b32 s1, s2
	s_cbranch_execnz .LBB96_69
	s_branch .LBB96_72
.LBB96_120:                             ;   in Loop: Header=BB96_72 Depth=1
                                        ; implicit-def: $vgpr34_vgpr35
                                        ; implicit-def: $vgpr36_vgpr37
                                        ; implicit-def: $vgpr32_vgpr33
                                        ; implicit-def: $vgpr30_vgpr31
	s_cbranch_execnz .LBB96_82
	s_branch .LBB96_83
.LBB96_121:                             ;   in Loop: Header=BB96_72 Depth=1
                                        ; implicit-def: $vgpr50_vgpr51
                                        ; implicit-def: $vgpr52_vgpr53
                                        ; implicit-def: $vgpr48_vgpr49
                                        ; implicit-def: $vgpr46_vgpr47
	s_cbranch_execnz .LBB96_93
	s_branch .LBB96_94
.LBB96_122:                             ;   in Loop: Header=BB96_72 Depth=1
                                        ; implicit-def: $vgpr66_vgpr67
                                        ; implicit-def: $vgpr68_vgpr69
                                        ; implicit-def: $vgpr64_vgpr65
                                        ; implicit-def: $vgpr62_vgpr63
	s_cbranch_execnz .LBB96_104
	s_branch .LBB96_105
.LBB96_123:                             ;   in Loop: Header=BB96_72 Depth=1
                                        ; implicit-def: $vgpr78_vgpr79
                                        ; implicit-def: $vgpr84_vgpr85
                                        ; implicit-def: $vgpr82_vgpr83
                                        ; implicit-def: $vgpr80_vgpr81
	s_cbranch_execnz .LBB96_115
	s_branch .LBB96_116
.LBB96_124:
	v_cmp_gt_i32_e32 vcc_lo, s8, v25
	v_mad_u32_u24 v0, 0x218, v94, v95
	s_or_b32 s0, s30, vcc_lo
	ds_store_b64 v0, v[26:27]
	s_and_b32 s0, s2, s0
	s_waitcnt lgkmcnt(0)
	s_barrier
	buffer_gl0_inv
	s_and_saveexec_b32 s1, s0
	s_cbranch_execz .LBB96_126
; %bb.125:
	ds_load_2addr_b64 v[0:3], v95 offset1:67
	v_ashrrev_i32_e32 v25, 31, v24
	s_waitcnt lgkmcnt(0)
	v_add_f64 v[4:5], v[0:1], v[2:3]
	ds_load_2addr_b64 v[0:3], v95 offset0:134 offset1:201
	s_waitcnt lgkmcnt(0)
	v_add_f64 v[0:1], v[4:5], v[0:1]
	s_delay_alu instid0(VALU_DEP_1) | instskip(SKIP_1) | instid1(VALU_DEP_1)
	v_add_f64 v[0:1], v[0:1], v[2:3]
	v_lshlrev_b64 v[2:3], 3, v[24:25]
	v_add_co_u32 v2, vcc_lo, s3, v2
	s_delay_alu instid0(VALU_DEP_2)
	v_add_co_ci_u32_e32 v3, vcc_lo, s9, v3, vcc_lo
	global_store_b64 v[2:3], v[0:1], off
.LBB96_126:
	s_nop 0
	s_sendmsg sendmsg(MSG_DEALLOC_VGPRS)
	s_endpgm
	.section	.rodata,"a",@progbits
	.p2align	6, 0x0
	.amdhsa_kernel _ZL26rocblas_hemvn_kernel_upperILb0ELi64ELi4ELi33ELi32ELi16EiPKdS1_PdEviT6_lT7_lT5_lS4_lS5_lS3_lT8_i
		.amdhsa_group_segment_fixed_size 9600
		.amdhsa_private_segment_fixed_size 0
		.amdhsa_kernarg_size 376
		.amdhsa_user_sgpr_count 14
		.amdhsa_user_sgpr_dispatch_ptr 0
		.amdhsa_user_sgpr_queue_ptr 0
		.amdhsa_user_sgpr_kernarg_segment_ptr 1
		.amdhsa_user_sgpr_dispatch_id 0
		.amdhsa_user_sgpr_private_segment_size 0
		.amdhsa_wavefront_size32 1
		.amdhsa_uses_dynamic_stack 0
		.amdhsa_enable_private_segment 0
		.amdhsa_system_sgpr_workgroup_id_x 1
		.amdhsa_system_sgpr_workgroup_id_y 0
		.amdhsa_system_sgpr_workgroup_id_z 1
		.amdhsa_system_sgpr_workgroup_info 0
		.amdhsa_system_vgpr_workitem_id 1
		.amdhsa_next_free_vgpr 182
		.amdhsa_next_free_sgpr 41
		.amdhsa_reserve_vcc 1
		.amdhsa_float_round_mode_32 0
		.amdhsa_float_round_mode_16_64 0
		.amdhsa_float_denorm_mode_32 3
		.amdhsa_float_denorm_mode_16_64 3
		.amdhsa_dx10_clamp 1
		.amdhsa_ieee_mode 1
		.amdhsa_fp16_overflow 0
		.amdhsa_workgroup_processor_mode 1
		.amdhsa_memory_ordered 1
		.amdhsa_forward_progress 0
		.amdhsa_shared_vgpr_count 0
		.amdhsa_exception_fp_ieee_invalid_op 0
		.amdhsa_exception_fp_denorm_src 0
		.amdhsa_exception_fp_ieee_div_zero 0
		.amdhsa_exception_fp_ieee_overflow 0
		.amdhsa_exception_fp_ieee_underflow 0
		.amdhsa_exception_fp_ieee_inexact 0
		.amdhsa_exception_int_div_zero 0
	.end_amdhsa_kernel
	.section	.text._ZL26rocblas_hemvn_kernel_upperILb0ELi64ELi4ELi33ELi32ELi16EiPKdS1_PdEviT6_lT7_lT5_lS4_lS5_lS3_lT8_i,"axG",@progbits,_ZL26rocblas_hemvn_kernel_upperILb0ELi64ELi4ELi33ELi32ELi16EiPKdS1_PdEviT6_lT7_lT5_lS4_lS5_lS3_lT8_i,comdat
.Lfunc_end96:
	.size	_ZL26rocblas_hemvn_kernel_upperILb0ELi64ELi4ELi33ELi32ELi16EiPKdS1_PdEviT6_lT7_lT5_lS4_lS5_lS3_lT8_i, .Lfunc_end96-_ZL26rocblas_hemvn_kernel_upperILb0ELi64ELi4ELi33ELi32ELi16EiPKdS1_PdEviT6_lT7_lT5_lS4_lS5_lS3_lT8_i
                                        ; -- End function
	.section	.AMDGPU.csdata,"",@progbits
; Kernel info:
; codeLenInByte = 8604
; NumSgprs: 43
; NumVgprs: 182
; ScratchSize: 0
; MemoryBound: 0
; FloatMode: 240
; IeeeMode: 1
; LDSByteSize: 9600 bytes/workgroup (compile time only)
; SGPRBlocks: 5
; VGPRBlocks: 22
; NumSGPRsForWavesPerEU: 43
; NumVGPRsForWavesPerEU: 182
; Occupancy: 8
; WaveLimiterHint : 1
; COMPUTE_PGM_RSRC2:SCRATCH_EN: 0
; COMPUTE_PGM_RSRC2:USER_SGPR: 14
; COMPUTE_PGM_RSRC2:TRAP_HANDLER: 0
; COMPUTE_PGM_RSRC2:TGID_X_EN: 1
; COMPUTE_PGM_RSRC2:TGID_Y_EN: 0
; COMPUTE_PGM_RSRC2:TGID_Z_EN: 1
; COMPUTE_PGM_RSRC2:TIDIG_COMP_CNT: 1
	.section	.text._ZL36rocblas_hemvn_kernel_upper_block_sumILi64EiPKdPddEviT1_lS3_lT2_lT0_lPT3_i,"axG",@progbits,_ZL36rocblas_hemvn_kernel_upper_block_sumILi64EiPKdPddEviT1_lS3_lT2_lT0_lPT3_i,comdat
	.globl	_ZL36rocblas_hemvn_kernel_upper_block_sumILi64EiPKdPddEviT1_lS3_lT2_lT0_lPT3_i ; -- Begin function _ZL36rocblas_hemvn_kernel_upper_block_sumILi64EiPKdPddEviT1_lS3_lT2_lT0_lPT3_i
	.p2align	8
	.type	_ZL36rocblas_hemvn_kernel_upper_block_sumILi64EiPKdPddEviT1_lS3_lT2_lT0_lPT3_i,@function
_ZL36rocblas_hemvn_kernel_upper_block_sumILi64EiPKdPddEviT1_lS3_lT2_lT0_lPT3_i: ; @_ZL36rocblas_hemvn_kernel_upper_block_sumILi64EiPKdPddEviT1_lS3_lT2_lT0_lPT3_i
; %bb.0:
	s_load_b256 s[4:11], s[0:1], 0x8
	s_waitcnt lgkmcnt(0)
	s_mul_i32 s3, s15, s7
	s_mul_hi_u32 s7, s15, s6
	s_mul_i32 s2, s15, s6
	s_add_i32 s3, s7, s3
	s_mul_i32 s6, s15, s11
	s_lshl_b64 s[2:3], s[2:3], 3
	s_mul_hi_u32 s7, s15, s10
	s_add_u32 s2, s4, s2
	s_addc_u32 s3, s5, s3
	s_add_i32 s5, s7, s6
	s_mul_i32 s4, s15, s10
	s_delay_alu instid0(SALU_CYCLE_1) | instskip(NEXT) | instid1(SALU_CYCLE_1)
	s_lshl_b64 s[4:5], s[4:5], 3
	s_add_u32 s4, s8, s4
	s_addc_u32 s5, s9, s5
	s_load_b64 s[8:9], s[2:3], 0x0
	s_load_b64 s[10:11], s[4:5], 0x0
	s_waitcnt lgkmcnt(0)
	v_cmp_eq_f64_e64 s2, s[8:9], 0
	v_cmp_eq_f64_e64 s3, s[10:11], 1.0
	s_delay_alu instid0(VALU_DEP_1) | instskip(NEXT) | instid1(SALU_CYCLE_1)
	s_and_b32 s2, s2, s3
	s_and_b32 vcc_lo, exec_lo, s2
	s_cbranch_vccnz .LBB97_19
; %bb.1:
	v_cmp_neq_f64_e64 s13, s[8:9], 0
	s_clause 0x3
	s_load_b128 s[4:7], s[0:1], 0x40
	s_load_b128 s[20:23], s[0:1], 0x28
	s_load_b32 s16, s[0:1], 0x38
	s_load_b32 s12, s[0:1], 0x0
	v_lshl_or_b32 v0, s14, 6, v0
	s_waitcnt lgkmcnt(0)
	s_mul_i32 s3, s15, s5
	s_mul_hi_u32 s5, s15, s4
	s_mul_i32 s2, s15, s4
	s_add_i32 s3, s5, s3
	s_delay_alu instid0(SALU_CYCLE_1) | instskip(NEXT) | instid1(SALU_CYCLE_1)
	s_lshl_b64 s[2:3], s[2:3], 3
	s_add_u32 s2, s20, s2
	s_addc_u32 s17, s21, s3
	s_lshl_b64 s[4:5], s[22:23], 3
	s_delay_alu instid0(SALU_CYCLE_1) | instskip(SKIP_3) | instid1(VALU_DEP_3)
	s_add_u32 s3, s2, s4
	v_cmp_gt_i32_e64 s2, s12, v0
	s_addc_u32 s4, s17, s5
	s_mov_b32 s5, 0
	s_and_b32 vcc_lo, exec_lo, s13
	s_cbranch_vccnz .LBB97_6
; %bb.2:
	s_mov_b32 s13, 0
                                        ; implicit-def: $vgpr3_vgpr4
                                        ; implicit-def: $vgpr1_vgpr2
	s_and_saveexec_b32 s17, s2
	s_cbranch_execz .LBB97_7
; %bb.3:
	v_cmp_eq_f64_e64 s2, s[10:11], 0
	v_mul_lo_u32 v1, v0, s16
	v_mov_b32_e32 v3, 0
	v_mov_b32_e32 v4, 0
	s_delay_alu instid0(VALU_DEP_3)
	v_ashrrev_i32_e32 v2, 31, v1
	s_and_b32 vcc_lo, exec_lo, s2
	s_cbranch_vccnz .LBB97_5
; %bb.4:
	s_delay_alu instid0(VALU_DEP_1) | instskip(NEXT) | instid1(VALU_DEP_1)
	v_lshlrev_b64 v[3:4], 3, v[1:2]
	v_add_co_u32 v3, vcc_lo, s3, v3
	s_delay_alu instid0(VALU_DEP_2)
	v_add_co_ci_u32_e32 v4, vcc_lo, s4, v4, vcc_lo
	global_load_b64 v[3:4], v[3:4], off
	s_waitcnt vmcnt(0)
	v_mul_f64 v[3:4], s[10:11], v[3:4]
.LBB97_5:
	s_mov_b32 s5, exec_lo
	s_or_b32 exec_lo, exec_lo, s17
	s_delay_alu instid0(SALU_CYCLE_1)
	s_and_b32 vcc_lo, exec_lo, s13
	s_cbranch_vccnz .LBB97_8
	s_branch .LBB97_17
.LBB97_6:
                                        ; implicit-def: $vgpr3_vgpr4
                                        ; implicit-def: $vgpr1_vgpr2
	s_cbranch_execnz .LBB97_8
	s_branch .LBB97_17
.LBB97_7:
	s_or_b32 exec_lo, exec_lo, s17
	s_delay_alu instid0(SALU_CYCLE_1)
	s_and_b32 vcc_lo, exec_lo, s13
	s_cbranch_vccz .LBB97_17
.LBB97_8:
	s_mov_b32 s2, exec_lo
                                        ; implicit-def: $vgpr3_vgpr4
                                        ; implicit-def: $vgpr1_vgpr2
	v_cmpx_gt_i32_e64 s12, v0
	s_cbranch_execz .LBB97_16
; %bb.9:
	v_mov_b32_e32 v5, 0
	v_mov_b32_e32 v6, 0
	s_cmp_lt_i32 s14, 0
	s_cbranch_scc1 .LBB97_12
; %bb.10:
	s_load_b32 s0, s[0:1], 0x58
	s_ashr_i32 s13, s12, 31
	s_mul_hi_u32 s1, s12, s15
	s_mul_i32 s17, s13, s15
	v_mov_b32_e32 v1, 0
	s_mul_i32 s15, s12, s15
	s_add_i32 s1, s1, s17
	v_mov_b32_e32 v5, 0
	v_mov_b32_e32 v6, 0
	v_lshlrev_b64 v[1:2], 3, v[0:1]
	s_waitcnt lgkmcnt(0)
	s_mul_i32 s1, s1, s0
	s_mul_hi_u32 s17, s15, s0
	s_mul_i32 s0, s15, s0
	s_add_i32 s1, s17, s1
	s_delay_alu instid0(SALU_CYCLE_1) | instskip(NEXT) | instid1(SALU_CYCLE_1)
	s_lshl_b64 s[0:1], s[0:1], 3
	s_add_u32 s0, s6, s0
	s_addc_u32 s1, s7, s1
	v_add_co_u32 v1, vcc_lo, s0, v1
	v_add_co_ci_u32_e32 v2, vcc_lo, s1, v2, vcc_lo
	s_add_i32 s6, s14, 1
	s_lshl_b64 s[0:1], s[12:13], 3
.LBB97_11:                              ; =>This Inner Loop Header: Depth=1
	global_load_b64 v[3:4], v[1:2], off
	v_add_co_u32 v1, vcc_lo, v1, s0
	v_add_co_ci_u32_e32 v2, vcc_lo, s1, v2, vcc_lo
	s_add_i32 s6, s6, -1
	s_delay_alu instid0(SALU_CYCLE_1)
	s_cmp_eq_u32 s6, 0
	s_waitcnt vmcnt(0)
	v_add_f64 v[5:6], v[5:6], v[3:4]
	s_cbranch_scc0 .LBB97_11
.LBB97_12:
	v_cmp_eq_f64_e64 s0, s[10:11], 0
	v_mul_lo_u32 v1, v0, s16
	s_delay_alu instid0(VALU_DEP_1) | instskip(NEXT) | instid1(VALU_DEP_3)
	v_ashrrev_i32_e32 v2, 31, v1
	s_and_b32 vcc_lo, exec_lo, s0
	s_cbranch_vccz .LBB97_20
; %bb.13:
	s_delay_alu instid0(VALU_DEP_4)
	v_mul_f64 v[3:4], s[8:9], v[5:6]
	s_cbranch_execnz .LBB97_15
.LBB97_14:
	s_delay_alu instid0(VALU_DEP_1) | instskip(NEXT) | instid1(VALU_DEP_1)
	v_lshlrev_b64 v[3:4], 3, v[1:2]
	v_add_co_u32 v3, vcc_lo, s3, v3
	s_delay_alu instid0(VALU_DEP_2) | instskip(SKIP_3) | instid1(VALU_DEP_1)
	v_add_co_ci_u32_e32 v4, vcc_lo, s4, v4, vcc_lo
	global_load_b64 v[3:4], v[3:4], off
	s_waitcnt vmcnt(0)
	v_mul_f64 v[3:4], s[10:11], v[3:4]
	v_fma_f64 v[3:4], s[8:9], v[5:6], v[3:4]
.LBB97_15:
	s_or_b32 s5, s5, exec_lo
.LBB97_16:
	s_or_b32 exec_lo, exec_lo, s2
.LBB97_17:
	s_and_saveexec_b32 s0, s5
	s_cbranch_execz .LBB97_19
; %bb.18:
	v_lshlrev_b64 v[0:1], 3, v[1:2]
	s_delay_alu instid0(VALU_DEP_1) | instskip(NEXT) | instid1(VALU_DEP_2)
	v_add_co_u32 v0, vcc_lo, s3, v0
	v_add_co_ci_u32_e32 v1, vcc_lo, s4, v1, vcc_lo
	global_store_b64 v[0:1], v[3:4], off
.LBB97_19:
	s_nop 0
	s_sendmsg sendmsg(MSG_DEALLOC_VGPRS)
	s_endpgm
.LBB97_20:
                                        ; implicit-def: $vgpr3_vgpr4
	s_branch .LBB97_14
	.section	.rodata,"a",@progbits
	.p2align	6, 0x0
	.amdhsa_kernel _ZL36rocblas_hemvn_kernel_upper_block_sumILi64EiPKdPddEviT1_lS3_lT2_lT0_lPT3_i
		.amdhsa_group_segment_fixed_size 0
		.amdhsa_private_segment_fixed_size 0
		.amdhsa_kernarg_size 344
		.amdhsa_user_sgpr_count 14
		.amdhsa_user_sgpr_dispatch_ptr 0
		.amdhsa_user_sgpr_queue_ptr 0
		.amdhsa_user_sgpr_kernarg_segment_ptr 1
		.amdhsa_user_sgpr_dispatch_id 0
		.amdhsa_user_sgpr_private_segment_size 0
		.amdhsa_wavefront_size32 1
		.amdhsa_uses_dynamic_stack 0
		.amdhsa_enable_private_segment 0
		.amdhsa_system_sgpr_workgroup_id_x 1
		.amdhsa_system_sgpr_workgroup_id_y 0
		.amdhsa_system_sgpr_workgroup_id_z 1
		.amdhsa_system_sgpr_workgroup_info 0
		.amdhsa_system_vgpr_workitem_id 0
		.amdhsa_next_free_vgpr 7
		.amdhsa_next_free_sgpr 24
		.amdhsa_reserve_vcc 1
		.amdhsa_float_round_mode_32 0
		.amdhsa_float_round_mode_16_64 0
		.amdhsa_float_denorm_mode_32 3
		.amdhsa_float_denorm_mode_16_64 3
		.amdhsa_dx10_clamp 1
		.amdhsa_ieee_mode 1
		.amdhsa_fp16_overflow 0
		.amdhsa_workgroup_processor_mode 1
		.amdhsa_memory_ordered 1
		.amdhsa_forward_progress 0
		.amdhsa_shared_vgpr_count 0
		.amdhsa_exception_fp_ieee_invalid_op 0
		.amdhsa_exception_fp_denorm_src 0
		.amdhsa_exception_fp_ieee_div_zero 0
		.amdhsa_exception_fp_ieee_overflow 0
		.amdhsa_exception_fp_ieee_underflow 0
		.amdhsa_exception_fp_ieee_inexact 0
		.amdhsa_exception_int_div_zero 0
	.end_amdhsa_kernel
	.section	.text._ZL36rocblas_hemvn_kernel_upper_block_sumILi64EiPKdPddEviT1_lS3_lT2_lT0_lPT3_i,"axG",@progbits,_ZL36rocblas_hemvn_kernel_upper_block_sumILi64EiPKdPddEviT1_lS3_lT2_lT0_lPT3_i,comdat
.Lfunc_end97:
	.size	_ZL36rocblas_hemvn_kernel_upper_block_sumILi64EiPKdPddEviT1_lS3_lT2_lT0_lPT3_i, .Lfunc_end97-_ZL36rocblas_hemvn_kernel_upper_block_sumILi64EiPKdPddEviT1_lS3_lT2_lT0_lPT3_i
                                        ; -- End function
	.section	.AMDGPU.csdata,"",@progbits
; Kernel info:
; codeLenInByte = 748
; NumSgprs: 26
; NumVgprs: 7
; ScratchSize: 0
; MemoryBound: 0
; FloatMode: 240
; IeeeMode: 1
; LDSByteSize: 0 bytes/workgroup (compile time only)
; SGPRBlocks: 3
; VGPRBlocks: 0
; NumSGPRsForWavesPerEU: 26
; NumVGPRsForWavesPerEU: 7
; Occupancy: 16
; WaveLimiterHint : 0
; COMPUTE_PGM_RSRC2:SCRATCH_EN: 0
; COMPUTE_PGM_RSRC2:USER_SGPR: 14
; COMPUTE_PGM_RSRC2:TRAP_HANDLER: 0
; COMPUTE_PGM_RSRC2:TGID_X_EN: 1
; COMPUTE_PGM_RSRC2:TGID_Y_EN: 0
; COMPUTE_PGM_RSRC2:TGID_Z_EN: 1
; COMPUTE_PGM_RSRC2:TIDIG_COMP_CNT: 0
	.section	.text._ZL26rocblas_hemvn_kernel_upperILb0ELi64ELi4ELi33ELi32ELi16EldPKdPdEviT6_lT7_lT5_lS4_lS5_lS3_lT8_i,"axG",@progbits,_ZL26rocblas_hemvn_kernel_upperILb0ELi64ELi4ELi33ELi32ELi16EldPKdPdEviT6_lT7_lT5_lS4_lS5_lS3_lT8_i,comdat
	.globl	_ZL26rocblas_hemvn_kernel_upperILb0ELi64ELi4ELi33ELi32ELi16EldPKdPdEviT6_lT7_lT5_lS4_lS5_lS3_lT8_i ; -- Begin function _ZL26rocblas_hemvn_kernel_upperILb0ELi64ELi4ELi33ELi32ELi16EldPKdPdEviT6_lT7_lT5_lS4_lS5_lS3_lT8_i
	.p2align	8
	.type	_ZL26rocblas_hemvn_kernel_upperILb0ELi64ELi4ELi33ELi32ELi16EldPKdPdEviT6_lT7_lT5_lS4_lS5_lS3_lT8_i,@function
_ZL26rocblas_hemvn_kernel_upperILb0ELi64ELi4ELi33ELi32ELi16EldPKdPdEviT6_lT7_lT5_lS4_lS5_lS3_lT8_i: ; @_ZL26rocblas_hemvn_kernel_upperILb0ELi64ELi4ELi33ELi32ELi16EldPKdPdEviT6_lT7_lT5_lS4_lS5_lS3_lT8_i
; %bb.0:
	s_load_b64 s[4:5], s[0:1], 0x84
	s_add_u32 s2, s0, 0x78
	s_addc_u32 s3, s1, 0
	s_waitcnt lgkmcnt(0)
	s_lshr_b32 s6, s4, 16
	s_and_b32 s4, s4, 0xffff
	s_and_b32 s5, s5, 0xffff
	s_mul_i32 s4, s6, s4
	s_delay_alu instid0(SALU_CYCLE_1) | instskip(NEXT) | instid1(SALU_CYCLE_1)
	s_mul_i32 s4, s4, s5
	s_cmpk_lg_i32 s4, 0x100
	s_cbranch_scc1 .LBB98_126
; %bb.1:
	s_clause 0x1
	s_load_b64 s[4:5], s[0:1], 0x8
	s_load_b64 s[6:7], s[0:1], 0x58
	s_waitcnt lgkmcnt(0)
	v_cmp_eq_f64_e64 s4, s[4:5], 0
	v_cmp_eq_f64_e64 s5, s[6:7], 1.0
	s_delay_alu instid0(VALU_DEP_1) | instskip(NEXT) | instid1(SALU_CYCLE_1)
	s_and_b32 s5, s4, s5
	s_and_b32 vcc_lo, exec_lo, s5
	s_cbranch_vccnz .LBB98_126
; %bb.2:
	s_and_b32 vcc_lo, exec_lo, s4
	s_cbranch_vccnz .LBB98_126
; %bb.3:
	s_load_b512 s[16:31], s[0:1], 0x18
	v_and_b32_e32 v92, 0x3ff, v0
	s_load_b32 s9, s[2:3], 0x0
	v_bfe_u32 v93, v0, 10, 10
	s_waitcnt lgkmcnt(0)
	s_mul_i32 s5, s15, s31
	s_mul_hi_u32 s6, s15, s30
	s_mul_i32 s4, s15, s30
	s_add_i32 s5, s6, s5
	s_load_b32 s30, s[0:1], 0x0
	s_lshl_b64 s[4:5], s[4:5], 3
	s_delay_alu instid0(SALU_CYCLE_1) | instskip(SKIP_2) | instid1(SALU_CYCLE_1)
	s_add_u32 s6, s24, s4
	s_addc_u32 s7, s25, s5
	s_lshl_b64 s[4:5], s[26:27], 3
	s_add_u32 s4, s6, s4
	s_addc_u32 s5, s7, s5
	s_lshl_b32 s12, s14, 6
	s_add_i32 s3, s9, -1
	v_add_nc_u32_e32 v24, s12, v92
	s_delay_alu instid0(VALU_DEP_1)
	v_ashrrev_i32_e32 v25, 31, v24
	v_mul_lo_u32 v3, v24, s29
	v_mad_u64_u32 v[1:2], null, v24, s28, 0
	s_waitcnt lgkmcnt(0)
	s_ashr_i32 s25, s30, 31
	v_mul_lo_u32 v4, v25, s28
	s_lshr_b32 s2, s25, 26
	s_delay_alu instid0(SALU_CYCLE_1) | instskip(NEXT) | instid1(SALU_CYCLE_1)
	s_add_i32 s2, s30, s2
	s_and_not1_b32 s2, s2, 63
	s_delay_alu instid0(SALU_CYCLE_1) | instskip(NEXT) | instid1(VALU_DEP_1)
	s_sub_i32 s24, s30, s2
	v_add3_u32 v2, v2, v3, v4
	v_cmp_eq_u32_e64 s2, 0, v93
	s_cmp_eq_u32 s14, s3
	s_cselect_b32 s10, s24, 0
	s_delay_alu instid0(VALU_DEP_2) | instskip(NEXT) | instid1(VALU_DEP_1)
	v_lshlrev_b64 v[1:2], 3, v[1:2]
	v_add_co_u32 v14, vcc_lo, s4, v1
	s_delay_alu instid0(VALU_DEP_2)
	v_add_co_ci_u32_e32 v15, vcc_lo, s5, v2, vcc_lo
	s_and_saveexec_b32 s3, s2
	s_cbranch_execz .LBB98_7
; %bb.4:
	v_cmp_gt_i32_e32 vcc_lo, s10, v92
	s_cmp_eq_u32 s10, 0
	v_mov_b32_e32 v0, 0
	v_mov_b32_e32 v1, 0
	s_cselect_b32 s4, -1, 0
	s_delay_alu instid0(SALU_CYCLE_1) | instskip(NEXT) | instid1(SALU_CYCLE_1)
	s_or_b32 s5, s4, vcc_lo
	s_and_saveexec_b32 s4, s5
	s_cbranch_execz .LBB98_6
; %bb.5:
	global_load_b64 v[0:1], v[14:15], off
.LBB98_6:
	s_or_b32 exec_lo, exec_lo, s4
	v_lshlrev_b32_e32 v2, 3, v92
	s_waitcnt vmcnt(0)
	ds_store_b64 v2, v[0:1] offset:9088
.LBB98_7:
	s_or_b32 exec_lo, exec_lo, s3
	v_lshl_add_u32 v22, v93, 6, v92
	v_dual_mov_b32 v1, 0 :: v_dual_and_b32 v0, 31, v92
	s_mul_i32 s3, s15, s23
	s_mul_hi_u32 s4, s15, s22
	s_delay_alu instid0(VALU_DEP_2)
	v_lshrrev_b32_e32 v11, 5, v22
	s_add_i32 s5, s4, s3
	s_mul_i32 s4, s15, s22
	v_lshlrev_b32_e32 v18, 3, v0
	s_lshl_b64 s[4:5], s[4:5], 3
	v_mad_u64_u32 v[2:3], null, v11, s20, v[0:1]
	s_add_u32 s3, s16, s4
	s_addc_u32 s6, s17, s5
	s_lshl_b64 s[4:5], s[18:19], 3
	s_delay_alu instid0(SALU_CYCLE_1) | instskip(SKIP_1) | instid1(VALU_DEP_1)
	s_add_u32 s3, s3, s4
	s_addc_u32 s6, s6, s5
	v_mov_b32_e32 v1, v3
	s_ashr_i32 s13, s12, 31
	s_delay_alu instid0(SALU_CYCLE_1) | instskip(NEXT) | instid1(SALU_CYCLE_1)
	s_lshl_b64 s[4:5], s[12:13], 3
	s_add_u32 s3, s3, s4
	s_delay_alu instid0(VALU_DEP_1) | instskip(SKIP_3) | instid1(SALU_CYCLE_1)
	v_mad_u64_u32 v[3:4], null, v11, s21, v[1:2]
	s_addc_u32 s6, s6, s5
	s_mul_i32 s4, s12, s21
	s_mul_hi_u32 s5, s12, s20
	s_add_i32 s4, s5, s4
	s_mul_i32 s5, s13, s20
	s_delay_alu instid0(VALU_DEP_1) | instskip(SKIP_2) | instid1(SALU_CYCLE_1)
	v_lshlrev_b64 v[12:13], 3, v[2:3]
	s_add_i32 s5, s4, s5
	s_mul_i32 s4, s12, s20
	s_lshl_b64 s[4:5], s[4:5], 3
	s_delay_alu instid0(SALU_CYCLE_1)
	s_add_u32 s3, s4, s3
	s_addc_u32 s4, s5, s6
	s_cmp_eq_u32 s10, 0
	v_add_co_u32 v3, s3, s3, v12
	s_cselect_b32 s18, -1, 0
	s_cmp_lg_u32 s10, 0
	v_add_co_ci_u32_e64 v4, s3, s4, v13, s3
	v_cmp_gt_i32_e64 s3, s10, v0
	s_cselect_b32 s19, -1, 0
	s_delay_alu instid0(SALU_CYCLE_1)
	s_and_b32 vcc_lo, exec_lo, s19
	s_cbranch_vccz .LBB98_17
; %bb.8:
	v_sub_co_u32 v1, vcc_lo, v3, v18
	s_ashr_i32 s11, s10, 31
	v_subrev_co_ci_u32_e32 v2, vcc_lo, 0, v4, vcc_lo
	s_lshl_b64 s[4:5], s[10:11], 3
	v_mov_b32_e32 v7, 0
	v_add_co_u32 v1, vcc_lo, v1, s4
	s_delay_alu instid0(VALU_DEP_3) | instskip(SKIP_1) | instid1(VALU_DEP_3)
	v_add_co_ci_u32_e32 v2, vcc_lo, s5, v2, vcc_lo
	v_mov_b32_e32 v8, 0
	v_add_co_u32 v1, vcc_lo, v1, -8
	s_delay_alu instid0(VALU_DEP_3) | instskip(NEXT) | instid1(VALU_DEP_3)
	v_add_co_ci_u32_e32 v2, vcc_lo, -1, v2, vcc_lo
	v_dual_mov_b32 v5, v7 :: v_dual_mov_b32 v6, v8
	s_delay_alu instid0(VALU_DEP_3) | instskip(NEXT) | instid1(VALU_DEP_3)
	v_cndmask_b32_e64 v1, v1, v3, s3
	v_cndmask_b32_e64 v2, v2, v4, s3
	s_mov_b32 s6, exec_lo
	v_cmpx_gt_i32_e64 s10, v11
	s_cbranch_execz .LBB98_10
; %bb.9:
	global_load_b64 v[5:6], v[1:2], off
.LBB98_10:
	s_or_b32 exec_lo, exec_lo, s6
	v_mul_u32_u24_e32 v9, 33, v11
	v_add_nc_u32_e32 v10, 8, v11
	s_mov_b32 s6, exec_lo
	s_delay_alu instid0(VALU_DEP_2)
	v_add_lshl_u32 v16, v9, v0, 3
	s_waitcnt vmcnt(0)
	ds_store_b64 v16, v[5:6]
	v_cmpx_gt_i32_e64 s10, v10
	s_cbranch_execz .LBB98_12
; %bb.11:
	s_lshl_b64 s[16:17], s[20:21], 6
	s_delay_alu instid0(SALU_CYCLE_1)
	v_add_co_u32 v5, vcc_lo, v1, s16
	v_add_co_ci_u32_e32 v6, vcc_lo, s17, v2, vcc_lo
	global_load_b64 v[7:8], v[5:6], off
.LBB98_12:
	s_or_b32 exec_lo, exec_lo, s6
	v_mov_b32_e32 v5, 0
	v_dual_mov_b32 v6, 0 :: v_dual_add_nc_u32 v9, 16, v11
	s_waitcnt vmcnt(0)
	ds_store_b64 v16, v[7:8] offset:2112
	v_cmp_gt_i32_e32 vcc_lo, s10, v9
	v_dual_mov_b32 v10, v6 :: v_dual_mov_b32 v9, v5
	s_and_saveexec_b32 s6, vcc_lo
	s_cbranch_execz .LBB98_14
; %bb.13:
	s_lshl_b64 s[16:17], s[20:21], 7
	s_delay_alu instid0(SALU_CYCLE_1)
	v_add_co_u32 v7, vcc_lo, v1, s16
	v_add_co_ci_u32_e32 v8, vcc_lo, s17, v2, vcc_lo
	global_load_b64 v[9:10], v[7:8], off
.LBB98_14:
	s_or_b32 exec_lo, exec_lo, s6
	v_add_nc_u32_e32 v7, 24, v11
	s_mov_b32 s6, exec_lo
	s_waitcnt vmcnt(0)
	ds_store_b64 v16, v[9:10] offset:4224
	v_cmpx_gt_i32_e64 s10, v7
	s_cbranch_execz .LBB98_16
; %bb.15:
	v_mad_u64_u32 v[5:6], null, 0xc0, s20, v[1:2]
	s_delay_alu instid0(VALU_DEP_1) | instskip(NEXT) | instid1(VALU_DEP_1)
	v_mad_u64_u32 v[7:8], null, 0xc0, s21, v[6:7]
	v_mov_b32_e32 v6, v7
	global_load_b64 v[5:6], v[5:6], off
.LBB98_16:
	s_or_b32 exec_lo, exec_lo, s6
	v_add_co_u32 v1, vcc_lo, v1, v18
	v_add_co_ci_u32_e32 v2, vcc_lo, 0, v2, vcc_lo
	s_waitcnt vmcnt(0)
	ds_store_b64 v16, v[5:6] offset:6336
	v_sub_co_u32 v1, vcc_lo, v1, s4
	v_subrev_co_ci_u32_e32 v2, vcc_lo, s5, v2, vcc_lo
	s_delay_alu instid0(VALU_DEP_2) | instskip(NEXT) | instid1(VALU_DEP_2)
	v_add_co_u32 v1, vcc_lo, v1, 8
	v_add_co_ci_u32_e32 v2, vcc_lo, 0, v2, vcc_lo
	s_delay_alu instid0(VALU_DEP_2) | instskip(NEXT) | instid1(VALU_DEP_2)
	v_cndmask_b32_e64 v1, v1, v3, s3
	v_cndmask_b32_e64 v2, v2, v4, s3
	v_mul_u32_u24_e32 v20, 33, v11
	s_branch .LBB98_19
.LBB98_17:
                                        ; implicit-def: $vgpr1_vgpr2
	v_mul_u32_u24_e32 v20, 33, v11
	s_cbranch_execz .LBB98_19
; %bb.18:
	v_mad_u64_u32 v[1:2], null, 0xc0, s20, v[3:4]
	s_lshl_b64 s[4:5], s[20:21], 6
	s_delay_alu instid0(VALU_DEP_2) | instskip(NEXT) | instid1(VALU_DEP_2)
	v_add_lshl_u32 v19, v20, v0, 3
	v_mad_u64_u32 v[5:6], null, 0xc0, s21, v[2:3]
	v_add_co_u32 v6, vcc_lo, v3, s4
	v_add_co_ci_u32_e32 v7, vcc_lo, s5, v4, vcc_lo
	s_delay_alu instid0(VALU_DEP_2) | instskip(NEXT) | instid1(VALU_DEP_2)
	v_add_co_u32 v8, vcc_lo, v6, s4
	v_add_co_ci_u32_e32 v9, vcc_lo, s5, v7, vcc_lo
	v_mov_b32_e32 v2, v5
	s_clause 0x1
	global_load_b64 v[16:17], v[3:4], off
	global_load_b64 v[5:6], v[6:7], off
	;; [unrolled: 1-line block ×4, first 2 shown]
	v_dual_mov_b32 v1, v3 :: v_dual_mov_b32 v2, v4
	s_waitcnt vmcnt(3)
	ds_store_b64 v19, v[16:17]
	s_waitcnt vmcnt(2)
	ds_store_b64 v19, v[5:6] offset:2112
	s_waitcnt vmcnt(1)
	ds_store_b64 v19, v[7:8] offset:4224
	;; [unrolled: 2-line block ×3, first 2 shown]
.LBB98_19:
	v_lshlrev_b32_e32 v3, 2, v11
	v_mul_u32_u24_e32 v19, 33, v0
	v_mul_u32_u24_e32 v4, 0x84, v11
	s_waitcnt lgkmcnt(0)
	s_barrier
	v_cmp_gt_u32_e64 s4, v3, v0
	v_add_lshl_u32 v31, v3, v19, 3
	buffer_gl0_inv
	s_and_saveexec_b32 s3, s4
	s_cbranch_execz .LBB98_21
; %bb.20:
	v_add_lshl_u32 v5, v4, v0, 3
	ds_load_b64 v[5:6], v5
	s_waitcnt lgkmcnt(0)
	ds_store_b64 v31, v[5:6]
.LBB98_21:
	s_or_b32 exec_lo, exec_lo, s3
	v_cmp_ge_u32_e64 s5, v3, v0
	s_delay_alu instid0(VALU_DEP_1)
	s_and_saveexec_b32 s3, s5
	s_cbranch_execz .LBB98_23
; %bb.22:
	v_or_b32_e32 v5, 1, v3
	s_delay_alu instid0(VALU_DEP_1) | instskip(NEXT) | instid1(VALU_DEP_1)
	v_mul_u32_u24_e32 v5, 33, v5
	v_add_lshl_u32 v5, v5, v0, 3
	ds_load_b64 v[5:6], v5
	s_waitcnt lgkmcnt(0)
	ds_store_b64 v31, v[5:6] offset:8
.LBB98_23:
	s_or_b32 exec_lo, exec_lo, s3
	v_or_b32_e32 v5, 2, v3
	s_delay_alu instid0(VALU_DEP_1) | instskip(NEXT) | instid1(VALU_DEP_1)
	v_cmp_gt_u32_e64 s6, v5, v0
	s_and_saveexec_b32 s3, s6
	s_cbranch_execz .LBB98_25
; %bb.24:
	v_mul_u32_u24_e32 v5, 33, v5
	s_delay_alu instid0(VALU_DEP_1)
	v_add_lshl_u32 v5, v5, v0, 3
	ds_load_b64 v[5:6], v5
	s_waitcnt lgkmcnt(0)
	ds_store_b64 v31, v[5:6] offset:16
.LBB98_25:
	s_or_b32 exec_lo, exec_lo, s3
	v_or_b32_e32 v5, 3, v3
	s_delay_alu instid0(VALU_DEP_1) | instskip(SKIP_1) | instid1(VALU_DEP_2)
	v_mad_u32_u24 v6, v5, 33, v0
	v_cmp_gt_u32_e64 s7, v5, v0
	v_lshlrev_b32_e32 v21, 3, v6
	s_delay_alu instid0(VALU_DEP_2)
	s_and_saveexec_b32 s3, s7
	s_cbranch_execz .LBB98_27
; %bb.26:
	ds_load_b64 v[5:6], v21
	s_waitcnt lgkmcnt(0)
	ds_store_b64 v31, v[5:6] offset:24
.LBB98_27:
	s_or_b32 exec_lo, exec_lo, s3
	v_add_lshl_u32 v29, v4, v0, 3
	v_lshlrev_b32_e32 v32, 3, v3
	v_dual_mov_b32 v26, 0 :: v_dual_lshlrev_b32 v23, 3, v19
	s_waitcnt lgkmcnt(0)
	s_barrier
	buffer_gl0_inv
	v_mov_b32_e32 v27, 0
	ds_load_b64 v[7:8], v29
	ds_load_b128 v[3:6], v32 offset:9088
	v_add_nc_u32_e32 v30, 0xfffffdf0, v21
	v_add_lshl_u32 v28, v11, v19, 3
	v_cmp_gt_u32_e64 s3, 32, v22
	s_waitcnt lgkmcnt(0)
	v_fma_f64 v[3:4], v[7:8], v[3:4], 0
	ds_load_2addr_b64 v[7:10], v30 offset1:33
	s_waitcnt lgkmcnt(0)
	v_fma_f64 v[7:8], v[7:8], v[5:6], v[3:4]
	ds_load_b128 v[3:6], v32 offset:9104
	ds_load_b64 v[16:17], v21
	s_waitcnt lgkmcnt(0)
	s_barrier
	buffer_gl0_inv
	v_fma_f64 v[3:4], v[9:10], v[3:4], v[7:8]
	s_delay_alu instid0(VALU_DEP_1)
	v_fma_f64 v[3:4], v[16:17], v[5:6], v[3:4]
	ds_store_b64 v28, v[3:4]
	s_waitcnt lgkmcnt(0)
	s_barrier
	buffer_gl0_inv
	s_and_saveexec_b32 s8, s3
	s_cbranch_execz .LBB98_29
; %bb.28:
	ds_load_2addr_b64 v[3:6], v23 offset1:1
	ds_load_2addr_b64 v[7:10], v23 offset0:2 offset1:3
	s_waitcnt lgkmcnt(1)
	v_add_f64 v[3:4], v[3:4], v[5:6]
	s_waitcnt lgkmcnt(0)
	s_delay_alu instid0(VALU_DEP_1) | instskip(NEXT) | instid1(VALU_DEP_1)
	v_add_f64 v[3:4], v[3:4], v[7:8]
	v_add_f64 v[16:17], v[3:4], v[9:10]
	ds_load_2addr_b64 v[3:6], v23 offset0:4 offset1:5
	ds_load_2addr_b64 v[7:10], v23 offset0:6 offset1:7
	s_waitcnt lgkmcnt(1)
	v_add_f64 v[3:4], v[16:17], v[3:4]
	s_delay_alu instid0(VALU_DEP_1) | instskip(SKIP_1) | instid1(VALU_DEP_1)
	v_add_f64 v[3:4], v[3:4], v[5:6]
	s_waitcnt lgkmcnt(0)
	v_add_f64 v[3:4], v[3:4], v[7:8]
	s_delay_alu instid0(VALU_DEP_1)
	v_add_f64 v[26:27], v[3:4], v[9:10]
.LBB98_29:
	s_or_b32 exec_lo, exec_lo, s8
	s_lshl_b64 s[16:17], s[20:21], 8
	s_delay_alu instid0(SALU_CYCLE_1) | instskip(SKIP_2) | instid1(VALU_DEP_2)
	v_add_co_u32 v5, vcc_lo, v1, s16
	v_add_co_ci_u32_e32 v6, vcc_lo, s17, v2, vcc_lo
	s_barrier
	v_add_co_u32 v3, vcc_lo, 0x100, v5
	s_delay_alu instid0(VALU_DEP_2)
	v_add_co_ci_u32_e32 v4, vcc_lo, 0, v6, vcc_lo
	s_and_b32 vcc_lo, exec_lo, s19
	buffer_gl0_inv
	s_cbranch_vccz .LBB98_39
; %bb.30:
	v_sub_co_u32 v1, vcc_lo, v3, v18
	s_ashr_i32 s11, s10, 31
	v_subrev_co_ci_u32_e32 v2, vcc_lo, 0, v4, vcc_lo
	s_lshl_b64 s[16:17], s[10:11], 3
	v_or_b32_e32 v7, 32, v0
	v_add_co_u32 v1, vcc_lo, v1, s16
	s_delay_alu instid0(VALU_DEP_3) | instskip(SKIP_1) | instid1(VALU_DEP_2)
	v_add_co_ci_u32_e32 v2, vcc_lo, s17, v2, vcc_lo
	s_sub_i32 s11, s10, 32
	v_add_co_u32 v1, vcc_lo, 0xfffffef8, v1
	s_delay_alu instid0(VALU_DEP_2)
	v_add_co_ci_u32_e32 v2, vcc_lo, -1, v2, vcc_lo
	v_cmp_gt_i32_e32 vcc_lo, s10, v7
	v_mov_b32_e32 v9, 0
	v_mov_b32_e32 v10, 0
	s_mov_b32 s22, exec_lo
	v_dual_cndmask_b32 v1, v1, v3 :: v_dual_cndmask_b32 v2, v2, v4
	s_delay_alu instid0(VALU_DEP_2)
	v_dual_mov_b32 v7, v9 :: v_dual_mov_b32 v8, v10
	v_cmpx_gt_i32_e64 s11, v11
	s_cbranch_execz .LBB98_32
; %bb.31:
	global_load_b64 v[7:8], v[1:2], off
.LBB98_32:
	s_or_b32 exec_lo, exec_lo, s22
	v_add_nc_u32_e32 v16, 8, v11
	v_add_lshl_u32 v33, v20, v0, 3
	s_mov_b32 s22, exec_lo
	s_waitcnt vmcnt(0)
	ds_store_b64 v33, v[7:8]
	v_cmpx_gt_i32_e64 s11, v16
	s_cbranch_execz .LBB98_34
; %bb.33:
	s_lshl_b64 s[26:27], s[20:21], 6
	s_delay_alu instid0(SALU_CYCLE_1) | instskip(NEXT) | instid1(VALU_DEP_1)
	v_add_co_u32 v7, s8, v1, s26
	v_add_co_ci_u32_e64 v8, s8, s27, v2, s8
	global_load_b64 v[9:10], v[7:8], off
.LBB98_34:
	s_or_b32 exec_lo, exec_lo, s22
	v_dual_mov_b32 v7, 0 :: v_dual_add_nc_u32 v16, 16, v11
	v_mov_b32_e32 v8, 0
	s_waitcnt vmcnt(0)
	ds_store_b64 v33, v[9:10] offset:2112
	v_cmp_gt_i32_e64 s8, s11, v16
	v_dual_mov_b32 v17, v8 :: v_dual_mov_b32 v16, v7
	s_delay_alu instid0(VALU_DEP_2)
	s_and_saveexec_b32 s22, s8
	s_cbranch_execz .LBB98_36
; %bb.35:
	s_lshl_b64 s[26:27], s[20:21], 7
	s_delay_alu instid0(SALU_CYCLE_1) | instskip(NEXT) | instid1(VALU_DEP_1)
	v_add_co_u32 v9, s8, v1, s26
	v_add_co_ci_u32_e64 v10, s8, s27, v2, s8
	global_load_b64 v[16:17], v[9:10], off
.LBB98_36:
	s_or_b32 exec_lo, exec_lo, s22
	v_add_nc_u32_e32 v9, 24, v11
	s_waitcnt vmcnt(0)
	ds_store_b64 v33, v[16:17] offset:4224
	v_cmp_gt_i32_e64 s8, s11, v9
	s_delay_alu instid0(VALU_DEP_1)
	s_and_saveexec_b32 s11, s8
	s_cbranch_execz .LBB98_38
; %bb.37:
	v_mad_u64_u32 v[7:8], null, 0xc0, s20, v[1:2]
	s_delay_alu instid0(VALU_DEP_1) | instskip(NEXT) | instid1(VALU_DEP_1)
	v_mad_u64_u32 v[9:10], null, 0xc0, s21, v[8:9]
	v_mov_b32_e32 v8, v9
	global_load_b64 v[7:8], v[7:8], off
.LBB98_38:
	s_or_b32 exec_lo, exec_lo, s11
	v_add_co_u32 v1, s8, v1, v18
	s_delay_alu instid0(VALU_DEP_1) | instskip(SKIP_3) | instid1(VALU_DEP_1)
	v_add_co_ci_u32_e64 v2, s8, 0, v2, s8
	s_waitcnt vmcnt(0)
	ds_store_b64 v33, v[7:8] offset:6336
	v_sub_co_u32 v1, s8, v1, s16
	v_subrev_co_ci_u32_e64 v2, s8, s17, v2, s8
	s_delay_alu instid0(VALU_DEP_2) | instskip(NEXT) | instid1(VALU_DEP_1)
	v_add_co_u32 v1, s8, 0x108, v1
	v_add_co_ci_u32_e64 v2, s8, 0, v2, s8
	s_delay_alu instid0(VALU_DEP_1)
	v_dual_cndmask_b32 v1, v1, v3 :: v_dual_cndmask_b32 v2, v2, v4
	s_branch .LBB98_41
.LBB98_39:
                                        ; implicit-def: $vgpr1_vgpr2
	s_cbranch_execz .LBB98_41
; %bb.40:
	v_mad_u64_u32 v[1:2], null, 0xc0, s20, v[5:6]
	s_lshl_b64 s[16:17], s[20:21], 6
	v_add_lshl_u32 v33, v20, v0, 3
	s_delay_alu instid0(VALU_DEP_2) | instskip(SKIP_2) | instid1(VALU_DEP_2)
	v_mad_u64_u32 v[7:8], null, 0xc0, s21, v[2:3]
	v_add_co_u32 v8, vcc_lo, v5, s16
	v_add_co_ci_u32_e32 v9, vcc_lo, s17, v6, vcc_lo
	v_add_co_u32 v16, vcc_lo, v8, s16
	s_delay_alu instid0(VALU_DEP_2)
	v_add_co_ci_u32_e32 v17, vcc_lo, s17, v9, vcc_lo
	v_mov_b32_e32 v2, v7
	s_clause 0x3
	global_load_b64 v[5:6], v[5:6], off offset:256
	global_load_b64 v[7:8], v[8:9], off offset:256
	;; [unrolled: 1-line block ×4, first 2 shown]
	v_dual_mov_b32 v1, v3 :: v_dual_mov_b32 v2, v4
	s_waitcnt vmcnt(3)
	ds_store_b64 v33, v[5:6]
	s_waitcnt vmcnt(2)
	ds_store_b64 v33, v[7:8] offset:2112
	s_waitcnt vmcnt(1)
	ds_store_b64 v33, v[9:10] offset:4224
	;; [unrolled: 2-line block ×3, first 2 shown]
.LBB98_41:
	s_waitcnt lgkmcnt(0)
	s_barrier
	buffer_gl0_inv
	s_and_saveexec_b32 s8, s4
	s_cbranch_execnz .LBB98_58
; %bb.42:
	s_or_b32 exec_lo, exec_lo, s8
	s_and_saveexec_b32 s4, s5
	s_cbranch_execnz .LBB98_59
.LBB98_43:
	s_or_b32 exec_lo, exec_lo, s4
	s_and_saveexec_b32 s4, s6
	s_cbranch_execnz .LBB98_60
.LBB98_44:
	s_or_b32 exec_lo, exec_lo, s4
	v_add_nc_u32_e32 v32, 0x2380, v32
	s_and_saveexec_b32 s4, s7
	s_cbranch_execz .LBB98_46
.LBB98_45:
	ds_load_b64 v[3:4], v21
	s_waitcnt lgkmcnt(0)
	ds_store_b64 v31, v[3:4] offset:24
.LBB98_46:
	s_or_b32 exec_lo, exec_lo, s4
	s_waitcnt lgkmcnt(0)
	s_barrier
	buffer_gl0_inv
	ds_load_b64 v[7:8], v29
	ds_load_b128 v[3:6], v32 offset:256
	v_cmp_eq_u32_e64 s4, 1, v11
	s_waitcnt lgkmcnt(0)
	v_fma_f64 v[3:4], v[7:8], v[3:4], 0
	ds_load_2addr_b64 v[7:10], v30 offset1:33
	s_waitcnt lgkmcnt(0)
	v_fma_f64 v[7:8], v[7:8], v[5:6], v[3:4]
	ds_load_b128 v[3:6], v32 offset:272
	ds_load_b64 v[16:17], v21
	s_waitcnt lgkmcnt(0)
	s_barrier
	buffer_gl0_inv
	v_fma_f64 v[3:4], v[9:10], v[3:4], v[7:8]
	s_delay_alu instid0(VALU_DEP_1)
	v_fma_f64 v[3:4], v[16:17], v[5:6], v[3:4]
	ds_store_b64 v28, v[3:4]
	s_waitcnt lgkmcnt(0)
	s_barrier
	buffer_gl0_inv
	s_and_saveexec_b32 s5, s4
	s_cbranch_execz .LBB98_48
; %bb.47:
	ds_load_2addr_b64 v[3:6], v23 offset1:1
	ds_load_2addr_b64 v[7:10], v23 offset0:2 offset1:3
	s_waitcnt lgkmcnt(1)
	v_add_f64 v[3:4], v[3:4], v[5:6]
	s_waitcnt lgkmcnt(0)
	s_delay_alu instid0(VALU_DEP_1) | instskip(NEXT) | instid1(VALU_DEP_1)
	v_add_f64 v[3:4], v[3:4], v[7:8]
	v_add_f64 v[16:17], v[3:4], v[9:10]
	ds_load_2addr_b64 v[3:6], v23 offset0:4 offset1:5
	ds_load_2addr_b64 v[7:10], v23 offset0:6 offset1:7
	s_waitcnt lgkmcnt(1)
	v_add_f64 v[3:4], v[16:17], v[3:4]
	s_delay_alu instid0(VALU_DEP_1) | instskip(SKIP_1) | instid1(VALU_DEP_1)
	v_add_f64 v[3:4], v[3:4], v[5:6]
	s_waitcnt lgkmcnt(0)
	v_add_f64 v[3:4], v[3:4], v[7:8]
	s_delay_alu instid0(VALU_DEP_1)
	v_add_f64 v[26:27], v[3:4], v[9:10]
.LBB98_48:
	s_or_b32 exec_lo, exec_lo, s5
	v_add_co_u32 v3, vcc_lo, 0xffffff00, v1
	v_add_co_ci_u32_e32 v4, vcc_lo, -1, v2, vcc_lo
	s_and_b32 vcc_lo, exec_lo, s19
	s_barrier
	buffer_gl0_inv
	s_cbranch_vccz .LBB98_61
; %bb.49:
	v_sub_co_u32 v5, vcc_lo, v1, v18
	s_ashr_i32 s11, s10, 31
	v_subrev_co_ci_u32_e32 v6, vcc_lo, 0, v2, vcc_lo
	s_lshl_b64 s[6:7], s[10:11], 3
	s_sub_i32 s8, s10, 32
	v_add_co_u32 v5, vcc_lo, v5, s6
	s_delay_alu instid0(VALU_DEP_2) | instskip(SKIP_1) | instid1(VALU_DEP_2)
	v_add_co_ci_u32_e32 v6, vcc_lo, s7, v6, vcc_lo
	s_mov_b32 s11, exec_lo
	v_add_co_u32 v5, vcc_lo, 0xfffffef8, v5
	s_delay_alu instid0(VALU_DEP_2) | instskip(SKIP_2) | instid1(VALU_DEP_4)
	v_add_co_ci_u32_e32 v6, vcc_lo, -1, v6, vcc_lo
	v_cmp_gt_i32_e32 vcc_lo, s10, v0
	v_mov_b32_e32 v9, 0
	v_dual_mov_b32 v10, 0 :: v_dual_cndmask_b32 v5, v5, v3
	s_delay_alu instid0(VALU_DEP_2) | instskip(NEXT) | instid1(VALU_DEP_2)
	v_dual_cndmask_b32 v6, v6, v4 :: v_dual_mov_b32 v7, v9
	v_mov_b32_e32 v8, v10
	v_cmpx_gt_i32_e64 s8, v11
	s_cbranch_execz .LBB98_51
; %bb.50:
	global_load_b64 v[7:8], v[5:6], off
.LBB98_51:
	s_or_b32 exec_lo, exec_lo, s11
	v_add_nc_u32_e32 v31, 8, v11
	v_add_lshl_u32 v34, v20, v0, 3
	s_mov_b32 s11, exec_lo
	s_waitcnt vmcnt(0)
	ds_store_b64 v34, v[7:8]
	v_cmpx_gt_i32_e64 s8, v31
	s_cbranch_execz .LBB98_53
; %bb.52:
	s_lshl_b64 s[16:17], s[20:21], 6
	s_delay_alu instid0(SALU_CYCLE_1) | instskip(NEXT) | instid1(VALU_DEP_1)
	v_add_co_u32 v7, s5, v5, s16
	v_add_co_ci_u32_e64 v8, s5, s17, v6, s5
	global_load_b64 v[9:10], v[7:8], off
.LBB98_53:
	s_or_b32 exec_lo, exec_lo, s11
	v_mov_b32_e32 v7, 0
	v_dual_mov_b32 v8, 0 :: v_dual_add_nc_u32 v33, 16, v11
	s_mov_b32 s11, exec_lo
	s_waitcnt vmcnt(0)
	ds_store_b64 v34, v[9:10] offset:2112
	v_dual_mov_b32 v17, v8 :: v_dual_mov_b32 v16, v7
	v_cmpx_gt_i32_e64 s8, v33
	s_cbranch_execz .LBB98_55
; %bb.54:
	s_lshl_b64 s[16:17], s[20:21], 7
	s_delay_alu instid0(SALU_CYCLE_1) | instskip(NEXT) | instid1(VALU_DEP_1)
	v_add_co_u32 v9, s5, v5, s16
	v_add_co_ci_u32_e64 v10, s5, s17, v6, s5
	global_load_b64 v[16:17], v[9:10], off
.LBB98_55:
	s_or_b32 exec_lo, exec_lo, s11
	v_add_nc_u32_e32 v9, 24, v11
	s_waitcnt vmcnt(0)
	ds_store_b64 v34, v[16:17] offset:4224
	v_cmp_gt_i32_e64 s5, s8, v9
	s_delay_alu instid0(VALU_DEP_1)
	s_and_saveexec_b32 s8, s5
	s_cbranch_execz .LBB98_57
; %bb.56:
	v_mad_u64_u32 v[7:8], null, 0xc0, s20, v[5:6]
	s_delay_alu instid0(VALU_DEP_1) | instskip(NEXT) | instid1(VALU_DEP_1)
	v_mad_u64_u32 v[16:17], null, 0xc0, s21, v[8:9]
	v_mov_b32_e32 v8, v16
	global_load_b64 v[7:8], v[7:8], off
.LBB98_57:
	s_or_b32 exec_lo, exec_lo, s8
	v_add_co_u32 v5, s5, v5, v18
	s_delay_alu instid0(VALU_DEP_1) | instskip(SKIP_3) | instid1(VALU_DEP_1)
	v_add_co_ci_u32_e64 v6, s5, 0, v6, s5
	s_waitcnt vmcnt(0)
	ds_store_b64 v34, v[7:8] offset:6336
	v_sub_co_u32 v5, s5, v5, s6
	v_subrev_co_ci_u32_e64 v6, s5, s7, v6, s5
	s_delay_alu instid0(VALU_DEP_2) | instskip(NEXT) | instid1(VALU_DEP_1)
	v_add_co_u32 v5, s5, v5, 8
	v_add_co_ci_u32_e64 v6, s5, 0, v6, s5
	s_delay_alu instid0(VALU_DEP_1)
	v_dual_cndmask_b32 v16, v5, v3 :: v_dual_cndmask_b32 v17, v6, v4
	s_branch .LBB98_63
.LBB98_58:
	ds_load_b64 v[3:4], v29
	s_waitcnt lgkmcnt(0)
	ds_store_b64 v31, v[3:4]
	s_or_b32 exec_lo, exec_lo, s8
	s_and_saveexec_b32 s4, s5
	s_cbranch_execz .LBB98_43
.LBB98_59:
	ds_load_b64 v[3:4], v30
	s_waitcnt lgkmcnt(0)
	ds_store_b64 v31, v[3:4] offset:8
	s_or_b32 exec_lo, exec_lo, s4
	s_and_saveexec_b32 s4, s6
	s_cbranch_execz .LBB98_44
.LBB98_60:
	ds_load_b64 v[3:4], v30 offset:264
	s_waitcnt lgkmcnt(0)
	ds_store_b64 v31, v[3:4] offset:16
	s_or_b32 exec_lo, exec_lo, s4
	v_add_nc_u32_e32 v32, 0x2380, v32
	s_and_saveexec_b32 s4, s7
	s_cbranch_execnz .LBB98_45
	s_branch .LBB98_46
.LBB98_61:
                                        ; implicit-def: $vgpr16_vgpr17
                                        ; implicit-def: $vgpr31
                                        ; implicit-def: $vgpr33
                                        ; implicit-def: $vgpr9
	s_cbranch_execz .LBB98_63
; %bb.62:
	v_mad_u64_u32 v[5:6], null, 0xc0, s20, v[1:2]
	s_lshl_b64 s[6:7], s[20:21], 6
	v_add_lshl_u32 v0, v20, v0, 3
	v_add_nc_u32_e32 v33, 16, v11
	v_add_nc_u32_e32 v31, 8, v11
	s_delay_alu instid0(VALU_DEP_4) | instskip(SKIP_2) | instid1(VALU_DEP_2)
	v_mad_u64_u32 v[7:8], null, 0xc0, s21, v[6:7]
	v_add_co_u32 v8, vcc_lo, v1, s6
	v_add_co_ci_u32_e32 v9, vcc_lo, s7, v2, vcc_lo
	v_add_co_u32 v16, vcc_lo, v8, s6
	s_delay_alu instid0(VALU_DEP_2)
	v_add_co_ci_u32_e32 v17, vcc_lo, s7, v9, vcc_lo
	v_mov_b32_e32 v6, v7
	s_clause 0x3
	global_load_b64 v[1:2], v[1:2], off offset:-256
	global_load_b64 v[7:8], v[8:9], off offset:-256
	;; [unrolled: 1-line block ×4, first 2 shown]
	v_mov_b32_e32 v17, v4
	v_dual_mov_b32 v16, v3 :: v_dual_add_nc_u32 v9, 24, v11
	s_waitcnt vmcnt(3)
	ds_store_b64 v0, v[1:2]
	s_waitcnt vmcnt(2)
	ds_store_b64 v0, v[7:8] offset:2112
	s_waitcnt vmcnt(1)
	ds_store_b64 v0, v[34:35] offset:4224
	s_waitcnt vmcnt(0)
	ds_store_b64 v0, v[5:6] offset:6336
.LBB98_63:
	v_lshlrev_b32_e32 v0, 3, v11
	s_waitcnt lgkmcnt(0)
	s_barrier
	buffer_gl0_inv
	v_add_lshl_u32 v8, v31, v19, 3
	ds_load_b64 v[4:5], v0 offset:9088
	ds_load_b64 v[6:7], v28
	v_lshlrev_b32_e32 v18, 3, v31
	v_add_lshl_u32 v20, v33, v19, 3
	ds_load_b128 v[0:3], v32 offset:272
	ds_load_b64 v[10:11], v8
	ds_load_b64 v[34:35], v18 offset:9088
	ds_load_b64 v[36:37], v20
	v_add_lshl_u32 v8, v9, v19, 3
	s_waitcnt lgkmcnt(4)
	v_fma_f64 v[4:5], v[6:7], v[4:5], 0
	v_lshlrev_b32_e32 v6, 3, v33
	ds_load_b64 v[6:7], v6 offset:9088
	s_waitcnt lgkmcnt(2)
	v_fma_f64 v[4:5], v[10:11], v[34:35], v[4:5]
	v_lshlrev_b32_e32 v10, 3, v9
	ds_load_b64 v[8:9], v8
	ds_load_b64 v[10:11], v10 offset:9088
	ds_load_b64 v[18:19], v21
	s_waitcnt lgkmcnt(3)
	v_fma_f64 v[4:5], v[36:37], v[6:7], v[4:5]
	s_waitcnt lgkmcnt(1)
	s_delay_alu instid0(VALU_DEP_1)
	v_fma_f64 v[33:34], v[8:9], v[10:11], v[4:5]
	ds_load_b64 v[20:21], v29
	ds_load_b128 v[8:11], v32 offset:256
	ds_load_2addr_b64 v[4:7], v30 offset1:33
	s_waitcnt lgkmcnt(0)
	s_barrier
	buffer_gl0_inv
	ds_store_b64 v28, v[33:34]
	s_waitcnt lgkmcnt(0)
	s_barrier
	buffer_gl0_inv
	s_and_saveexec_b32 s5, s4
	s_cbranch_execz .LBB98_65
; %bb.64:
	ds_load_2addr_b64 v[29:32], v23 offset1:1
	ds_load_2addr_b64 v[33:36], v23 offset0:2 offset1:3
	s_waitcnt lgkmcnt(1)
	v_add_f64 v[26:27], v[26:27], v[29:30]
	s_delay_alu instid0(VALU_DEP_1) | instskip(SKIP_1) | instid1(VALU_DEP_1)
	v_add_f64 v[26:27], v[26:27], v[31:32]
	s_waitcnt lgkmcnt(0)
	v_add_f64 v[26:27], v[26:27], v[33:34]
	s_delay_alu instid0(VALU_DEP_1) | instskip(SKIP_4) | instid1(VALU_DEP_1)
	v_add_f64 v[26:27], v[26:27], v[35:36]
	ds_load_2addr_b64 v[29:32], v23 offset0:4 offset1:5
	ds_load_2addr_b64 v[33:36], v23 offset0:6 offset1:7
	s_waitcnt lgkmcnt(1)
	v_add_f64 v[26:27], v[26:27], v[29:30]
	v_add_f64 v[26:27], v[26:27], v[31:32]
	s_waitcnt lgkmcnt(0)
	s_delay_alu instid0(VALU_DEP_1) | instskip(NEXT) | instid1(VALU_DEP_1)
	v_add_f64 v[26:27], v[26:27], v[33:34]
	v_add_f64 v[26:27], v[26:27], v[35:36]
.LBB98_65:
	s_or_b32 exec_lo, exec_lo, s5
	v_fma_f64 v[8:9], v[20:21], v[8:9], 0
	s_barrier
	buffer_gl0_inv
	v_fma_f64 v[4:5], v[4:5], v[10:11], v[8:9]
	s_delay_alu instid0(VALU_DEP_1) | instskip(NEXT) | instid1(VALU_DEP_1)
	v_fma_f64 v[0:1], v[6:7], v[0:1], v[4:5]
	v_fma_f64 v[0:1], v[18:19], v[2:3], v[0:1]
	ds_store_b64 v28, v[0:1]
	s_waitcnt lgkmcnt(0)
	s_barrier
	buffer_gl0_inv
	s_and_saveexec_b32 s4, s3
	s_cbranch_execz .LBB98_67
; %bb.66:
	ds_load_2addr_b64 v[0:3], v23 offset1:1
	ds_load_2addr_b64 v[4:7], v23 offset0:2 offset1:3
	s_waitcnt lgkmcnt(1)
	v_add_f64 v[0:1], v[26:27], v[0:1]
	s_delay_alu instid0(VALU_DEP_1) | instskip(SKIP_1) | instid1(VALU_DEP_1)
	v_add_f64 v[0:1], v[0:1], v[2:3]
	s_waitcnt lgkmcnt(0)
	v_add_f64 v[0:1], v[0:1], v[4:5]
	s_delay_alu instid0(VALU_DEP_1) | instskip(SKIP_4) | instid1(VALU_DEP_1)
	v_add_f64 v[8:9], v[0:1], v[6:7]
	ds_load_2addr_b64 v[0:3], v23 offset0:4 offset1:5
	ds_load_2addr_b64 v[4:7], v23 offset0:6 offset1:7
	s_waitcnt lgkmcnt(1)
	v_add_f64 v[0:1], v[8:9], v[0:1]
	v_add_f64 v[0:1], v[0:1], v[2:3]
	s_waitcnt lgkmcnt(0)
	s_delay_alu instid0(VALU_DEP_1) | instskip(NEXT) | instid1(VALU_DEP_1)
	v_add_f64 v[0:1], v[0:1], v[4:5]
	v_add_f64 v[26:27], v[0:1], v[6:7]
.LBB98_67:
	s_or_b32 exec_lo, exec_lo, s4
	s_load_b64 s[0:1], s[0:1], 0x68
	s_mul_hi_u32 s3, s30, s15
	s_mul_i32 s25, s25, s15
	s_mul_i32 s4, s30, s15
	s_add_i32 s3, s3, s25
	s_mul_hi_u32 s5, s4, s9
	s_mul_i32 s3, s3, s9
	s_mul_i32 s4, s4, s9
	s_add_i32 s5, s5, s3
	s_mul_hi_i32 s7, s30, s14
	s_lshl_b64 s[4:5], s[4:5], 3
	s_mul_i32 s6, s30, s14
	v_lshlrev_b32_e32 v94, 3, v92
	s_waitcnt lgkmcnt(0)
	s_barrier
	buffer_gl0_inv
	s_add_u32 s3, s0, s4
	s_addc_u32 s4, s1, s5
	s_lshl_b64 s[0:1], s[6:7], 3
	s_delay_alu instid0(SALU_CYCLE_1) | instskip(SKIP_2) | instid1(SALU_CYCLE_1)
	s_add_u32 s3, s3, s0
	s_addc_u32 s6, s4, s1
	s_add_i32 s0, s14, 1
	s_cmp_ge_u32 s0, s9
	s_cbranch_scc1 .LBB98_124
; %bb.68:
	v_lshrrev_b32_e32 v8, 4, v22
	v_lshlrev_b32_e32 v9, 5, v93
	v_and_b32_e32 v7, 15, v92
	v_or_b32_e32 v1, 0x78, v94
	s_mul_i32 s0, s12, s29
	v_lshlrev_b32_e32 v2, 5, v8
	v_add_nc_u32_e32 v11, 0x110, v9
	v_add_nc_u32_e32 v10, 0x100, v9
	v_mad_u32_u24 v101, 0x218, v7, v1
	s_mul_hi_u32 s1, s12, s28
	v_mad_u32_u24 v102, 0x218, v7, v2
	v_mad_u64_u32 v[2:3], null, s20, v11, 0
	v_and_b32_e32 v6, 48, v92
	s_mul_i32 s4, s13, s28
	s_add_i32 s0, s1, s0
	v_mad_u32_u24 v107, 0x860, v93, v94
	s_add_i32 s1, s0, s4
	v_lshlrev_b32_e32 v0, 3, v6
	s_mul_i32 s0, s12, s28
	s_add_i32 s7, s9, -2
	s_lshl_b64 s[0:1], s[0:1], 3
	s_add_i32 s8, s12, 64
	v_mad_u32_u24 v100, 0x218, v7, v0
	v_mad_u64_u32 v[0:1], null, s20, v10, 0
	v_sub_co_u32 v96, vcc_lo, v14, s0
	v_subrev_co_ci_u32_e32 v97, vcc_lo, s1, v15, vcc_lo
	v_mul_i32_i24_e32 v14, 0xffffffe8, v8
	v_cmp_gt_u32_e64 s0, 64, v22
	v_mad_u64_u32 v[4:5], null, s21, v10, v[1:2]
	v_dual_mov_b32 v1, v3 :: v_dual_add_nc_u32 v10, 0x108, v9
	v_or_b32_e32 v120, v6, v7
	v_add_nc_u32_e32 v98, 0x2180, v94
	v_add_nc_u32_e32 v153, v102, v14
	s_delay_alu instid0(VALU_DEP_4) | instskip(SKIP_3) | instid1(VALU_DEP_4)
	v_mad_u64_u32 v[5:6], null, s20, v10, 0
	v_mov_b32_e32 v7, v4
	v_mad_u64_u32 v[3:4], null, s21, v11, v[1:2]
	v_sub_co_u32 v1, vcc_lo, v0, v12
	v_dual_mov_b32 v0, v6 :: v_dual_lshlrev_b32 v95, 2, v93
	s_delay_alu instid0(VALU_DEP_4) | instskip(NEXT) | instid1(VALU_DEP_3)
	v_sub_co_ci_u32_e32 v4, vcc_lo, v7, v13, vcc_lo
	v_add_co_u32 v121, vcc_lo, v16, v1
	v_mov_b32_e32 v7, v3
	s_delay_alu instid0(VALU_DEP_3)
	v_add_co_ci_u32_e32 v122, vcc_lo, v17, v4, vcc_lo
	v_mad_u64_u32 v[3:4], null, s21, v10, v[0:1]
	v_sub_co_u32 v2, vcc_lo, v2, v12
	v_add_nc_u32_e32 v6, 0x118, v9
	v_sub_co_ci_u32_e32 v4, vcc_lo, v7, v13, vcc_lo
	v_add_nc_u32_e32 v10, 0x180, v9
	s_delay_alu instid0(VALU_DEP_4) | instskip(NEXT) | instid1(VALU_DEP_4)
	v_add_co_u32 v123, vcc_lo, v16, v2
	v_mad_u64_u32 v[0:1], null, s20, v6, 0
	s_delay_alu instid0(VALU_DEP_4) | instskip(SKIP_4) | instid1(VALU_DEP_4)
	v_add_co_ci_u32_e32 v124, vcc_lo, v17, v4, vcc_lo
	v_mov_b32_e32 v4, v3
	v_mad_u64_u32 v[2:3], null, s20, v10, 0
	v_add_nc_u32_e32 v11, 0x188, v9
	v_sub_co_u32 v7, vcc_lo, v5, v12
	v_sub_co_ci_u32_e32 v8, vcc_lo, v4, v13, vcc_lo
	v_or_b32_e32 v103, 1, v95
	v_mad_u64_u32 v[4:5], null, s21, v6, v[1:2]
	v_mad_u64_u32 v[5:6], null, s20, v11, 0
	v_mov_b32_e32 v1, v3
	v_add_co_u32 v125, vcc_lo, v16, v7
	s_delay_alu instid0(VALU_DEP_4) | instskip(SKIP_1) | instid1(VALU_DEP_4)
	v_dual_mov_b32 v3, v4 :: v_dual_add_nc_u32 v108, 16, v95
	v_add_co_ci_u32_e32 v126, vcc_lo, v17, v8, vcc_lo
	v_mad_u64_u32 v[7:8], null, s21, v10, v[1:2]
	v_mov_b32_e32 v1, v6
	v_sub_co_u32 v6, vcc_lo, v0, v12
	v_sub_co_ci_u32_e32 v8, vcc_lo, v3, v13, vcc_lo
	v_add_nc_u32_e32 v10, 0x190, v9
	s_delay_alu instid0(VALU_DEP_4) | instskip(NEXT) | instid1(VALU_DEP_4)
	v_mad_u64_u32 v[3:4], null, s21, v11, v[1:2]
	v_add_co_u32 v127, vcc_lo, v16, v6
	s_delay_alu instid0(VALU_DEP_3)
	v_mad_u64_u32 v[0:1], null, s20, v10, 0
	v_add_co_ci_u32_e32 v128, vcc_lo, v17, v8, vcc_lo
	v_add_nc_u32_e32 v99, 0x2380, v94
	v_sub_co_u32 v6, vcc_lo, v2, v12
	v_mov_b32_e32 v2, v3
	v_add_nc_u32_e32 v8, 0x198, v9
	v_sub_co_ci_u32_e32 v7, vcc_lo, v7, v13, vcc_lo
	v_sub_co_u32 v5, vcc_lo, v5, v12
	s_delay_alu instid0(VALU_DEP_4)
	v_sub_co_ci_u32_e32 v11, vcc_lo, v2, v13, vcc_lo
	v_mad_u64_u32 v[2:3], null, s21, v10, v[1:2]
	v_mad_u64_u32 v[3:4], null, s20, v8, 0
	v_add_co_u32 v129, vcc_lo, v16, v6
	v_add_nc_u32_e32 v10, 0x200, v9
	v_add_co_ci_u32_e32 v130, vcc_lo, v17, v7, vcc_lo
	v_add_co_u32 v131, vcc_lo, v16, v5
	v_add_co_ci_u32_e32 v132, vcc_lo, v17, v11, vcc_lo
	v_dual_mov_b32 v1, v4 :: v_dual_add_nc_u32 v110, 18, v95
	v_sub_co_u32 v0, vcc_lo, v0, v12
	v_mad_u64_u32 v[4:5], null, s20, v10, 0
	v_sub_co_ci_u32_e32 v2, vcc_lo, v2, v13, vcc_lo
	s_delay_alu instid0(VALU_DEP_3) | instskip(SKIP_1) | instid1(VALU_DEP_3)
	v_add_co_u32 v133, vcc_lo, v16, v0
	v_or_b32_e32 v104, 2, v95
	v_mad_u64_u32 v[6:7], null, s21, v8, v[1:2]
	v_dual_mov_b32 v0, v5 :: v_dual_add_nc_u32 v7, 0x208, v9
	v_add_co_ci_u32_e32 v134, vcc_lo, v17, v2, vcc_lo
	v_add_nc_u32_e32 v109, 17, v95
	v_sub_co_u32 v3, vcc_lo, v3, v12
	v_mov_b32_e32 v8, v6
	v_mad_u64_u32 v[1:2], null, s20, v7, 0
	v_add_nc_u32_e32 v111, 19, v95
	v_add_nc_u32_e32 v15, 0x280, v9
	v_or_b32_e32 v105, 3, v95
	v_add_nc_u32_e32 v116, 48, v95
	v_add_nc_u32_e32 v118, 50, v95
	s_lshl_b64 s[4:5], s[20:21], 9
	v_mad_u64_u32 v[5:6], null, s21, v10, v[0:1]
	v_sub_co_ci_u32_e32 v6, vcc_lo, v8, v13, vcc_lo
	v_dual_mov_b32 v0, v2 :: v_dual_add_nc_u32 v113, 33, v95
	v_add_co_u32 v135, vcc_lo, v16, v3
	s_delay_alu instid0(VALU_DEP_4) | instskip(SKIP_4) | instid1(VALU_DEP_4)
	v_mov_b32_e32 v10, v5
	v_add_nc_u32_e32 v8, 0x210, v9
	v_add_co_ci_u32_e32 v136, vcc_lo, v17, v6, vcc_lo
	v_mad_u64_u32 v[2:3], null, s21, v7, v[0:1]
	v_sub_co_u32 v0, vcc_lo, v4, v12
	v_mad_u64_u32 v[5:6], null, s20, v8, 0
	v_sub_co_ci_u32_e32 v3, vcc_lo, v10, v13, vcc_lo
	v_add_nc_u32_e32 v10, 0x218, v9
	s_delay_alu instid0(VALU_DEP_4) | instskip(SKIP_1) | instid1(VALU_DEP_4)
	v_add_co_u32 v137, vcc_lo, v16, v0
	v_dual_mov_b32 v4, v2 :: v_dual_add_nc_u32 v115, 35, v95
	v_add_co_ci_u32_e32 v138, vcc_lo, v17, v3, vcc_lo
	s_delay_alu instid0(VALU_DEP_4) | instskip(SKIP_4) | instid1(VALU_DEP_3)
	v_mad_u64_u32 v[2:3], null, s20, v10, 0
	v_mov_b32_e32 v0, v6
	v_sub_co_u32 v1, vcc_lo, v1, v12
	v_add_nc_u32_e32 v117, 49, v95
	v_sub_co_ci_u32_e32 v11, vcc_lo, v4, v13, vcc_lo
	v_mad_u64_u32 v[6:7], null, s21, v8, v[0:1]
	v_mov_b32_e32 v0, v3
	v_mad_u64_u32 v[3:4], null, s20, v15, 0
	v_add_nc_u32_e32 v106, 0x2180, v9
	v_add_nc_u32_e32 v119, 51, v95
	v_add_co_u32 v139, vcc_lo, v16, v1
	v_mad_u64_u32 v[7:8], null, s21, v10, v[0:1]
	v_dual_mov_b32 v0, v4 :: v_dual_mov_b32 v1, v6
	v_add_nc_u32_e32 v10, 0x288, v9
	v_add_co_ci_u32_e32 v140, vcc_lo, v17, v11, vcc_lo
	v_sub_co_u32 v6, vcc_lo, v5, v12
	s_delay_alu instid0(VALU_DEP_4) | instskip(SKIP_2) | instid1(VALU_DEP_4)
	v_sub_co_ci_u32_e32 v8, vcc_lo, v1, v13, vcc_lo
	v_mad_u64_u32 v[4:5], null, s21, v15, v[0:1]
	v_mad_u64_u32 v[0:1], null, s20, v10, 0
	v_add_co_u32 v141, vcc_lo, v16, v6
	v_add_nc_u32_e32 v15, 0x290, v9
	v_add_nc_u32_e32 v9, 0x298, v9
	v_add_co_ci_u32_e32 v142, vcc_lo, v17, v8, vcc_lo
	v_sub_co_u32 v8, vcc_lo, v2, v12
	v_dual_mov_b32 v11, v4 :: v_dual_add_nc_u32 v112, 32, v95
	v_mad_u64_u32 v[4:5], null, s21, v10, v[1:2]
	v_sub_co_ci_u32_e32 v7, vcc_lo, v7, v13, vcc_lo
	v_mad_u64_u32 v[5:6], null, s20, v9, 0
	v_add_co_u32 v143, vcc_lo, v16, v8
	v_mad_u64_u32 v[1:2], null, s20, v15, 0
	s_delay_alu instid0(VALU_DEP_4)
	v_add_co_ci_u32_e32 v144, vcc_lo, v17, v7, vcc_lo
	v_sub_co_u32 v10, vcc_lo, v3, v12
	v_dual_mov_b32 v3, v6 :: v_dual_add_nc_u32 v114, 34, v95
	v_sub_co_ci_u32_e32 v11, vcc_lo, v11, v13, vcc_lo
	v_sub_co_u32 v0, vcc_lo, v0, v12
	v_sub_co_ci_u32_e32 v4, vcc_lo, v4, v13, vcc_lo
	s_delay_alu instid0(VALU_DEP_4) | instskip(SKIP_1) | instid1(VALU_DEP_3)
	v_mad_u64_u32 v[6:7], null, s21, v15, v[2:3]
	v_add_co_u32 v145, vcc_lo, v16, v10
	v_mad_u64_u32 v[7:8], null, s21, v9, v[3:4]
	v_add_co_ci_u32_e32 v146, vcc_lo, v17, v11, vcc_lo
	v_add_co_u32 v147, vcc_lo, v16, v0
	v_mov_b32_e32 v0, v6
	v_add_co_ci_u32_e32 v148, vcc_lo, v17, v4, vcc_lo
	v_mov_b32_e32 v2, v7
	v_sub_co_u32 v1, vcc_lo, v1, v12
	s_delay_alu instid0(VALU_DEP_4) | instskip(SKIP_1) | instid1(VALU_DEP_4)
	v_sub_co_ci_u32_e32 v0, vcc_lo, v0, v13, vcc_lo
	v_sub_co_u32 v3, vcc_lo, v5, v12
	v_sub_co_ci_u32_e32 v2, vcc_lo, v2, v13, vcc_lo
	s_delay_alu instid0(VALU_DEP_4) | instskip(NEXT) | instid1(VALU_DEP_4)
	v_add_co_u32 v149, vcc_lo, v16, v1
	v_add_co_ci_u32_e32 v150, vcc_lo, v17, v0, vcc_lo
	s_delay_alu instid0(VALU_DEP_4) | instskip(NEXT) | instid1(VALU_DEP_4)
	v_add_co_u32 v151, vcc_lo, v16, v3
	v_add_co_ci_u32_e32 v152, vcc_lo, v17, v2, vcc_lo
	s_cmp_eq_u32 s7, s14
	s_cselect_b32 s11, s24, 0
	s_and_saveexec_b32 s1, s2
	s_cbranch_execz .LBB98_72
.LBB98_69:
	v_cmp_gt_i32_e32 vcc_lo, s11, v92
	s_cmp_eq_u32 s11, 0
	v_mov_b32_e32 v0, 0
	v_mov_b32_e32 v1, 0
	s_cselect_b32 s12, -1, 0
	s_delay_alu instid0(SALU_CYCLE_1) | instskip(NEXT) | instid1(SALU_CYCLE_1)
	s_or_b32 s13, s12, vcc_lo
	s_and_saveexec_b32 s12, s13
	s_cbranch_execz .LBB98_71
; %bb.70:
	s_mul_i32 s13, s8, s29
	s_mul_hi_u32 s15, s8, s28
	s_ashr_i32 s16, s8, 31
	s_add_i32 s13, s15, s13
	s_mul_i32 s16, s16, s28
	s_delay_alu instid0(SALU_CYCLE_1) | instskip(SKIP_1) | instid1(SALU_CYCLE_1)
	s_add_i32 s17, s13, s16
	s_mul_i32 s16, s8, s28
	s_lshl_b64 s[16:17], s[16:17], 3
	s_delay_alu instid0(SALU_CYCLE_1)
	v_add_co_u32 v0, vcc_lo, v96, s16
	v_add_co_ci_u32_e32 v1, vcc_lo, s17, v97, vcc_lo
	global_load_b64 v[0:1], v[0:1], off
.LBB98_71:
	s_or_b32 exec_lo, exec_lo, s12
	s_waitcnt vmcnt(0)
	ds_store_b64 v98, v[0:1]
.LBB98_72:                              ; =>This Inner Loop Header: Depth=1
	s_or_b32 exec_lo, exec_lo, s1
	s_cmp_eq_u32 s11, 0
	v_add_co_u32 v0, vcc_lo, v121, v94
	s_cselect_b32 s12, -1, 0
	s_cmp_lg_u32 s11, 0
	v_add_co_ci_u32_e32 v1, vcc_lo, 0, v122, vcc_lo
	s_cselect_b32 s1, -1, 0
	s_waitcnt lgkmcnt(0)
	s_and_b32 vcc_lo, exec_lo, s1
	s_barrier
	buffer_gl0_inv
	s_cbranch_vccz .LBB98_120
; %bb.73:                               ;   in Loop: Header=BB98_72 Depth=1
	v_mov_b32_e32 v30, 0
	v_mov_b32_e32 v31, 0
	s_delay_alu instid0(VALU_DEP_2) | instskip(SKIP_1) | instid1(VALU_DEP_2)
	v_mov_b32_e32 v28, v30
	s_mov_b32 s13, exec_lo
	v_mov_b32_e32 v29, v31
	v_cmpx_gt_i32_e64 s11, v95
	s_cbranch_execz .LBB98_75
; %bb.74:                               ;   in Loop: Header=BB98_72 Depth=1
	global_load_b64 v[28:29], v[0:1], off
.LBB98_75:                              ;   in Loop: Header=BB98_72 Depth=1
	s_or_b32 exec_lo, exec_lo, s13
	s_delay_alu instid0(SALU_CYCLE_1)
	s_mov_b32 s13, exec_lo
	v_cmpx_gt_i32_e64 s11, v103
	s_cbranch_execz .LBB98_77
; %bb.76:                               ;   in Loop: Header=BB98_72 Depth=1
	v_add_co_u32 v2, vcc_lo, v125, v94
	v_add_co_ci_u32_e32 v3, vcc_lo, 0, v126, vcc_lo
	global_load_b64 v[30:31], v[2:3], off
.LBB98_77:                              ;   in Loop: Header=BB98_72 Depth=1
	s_or_b32 exec_lo, exec_lo, s13
	v_mov_b32_e32 v32, 0
	v_mov_b32_e32 v33, 0
	s_mov_b32 s13, exec_lo
	s_delay_alu instid0(VALU_DEP_1)
	v_dual_mov_b32 v35, v33 :: v_dual_mov_b32 v34, v32
	v_cmpx_gt_i32_e64 s11, v104
	s_cbranch_execz .LBB98_79
; %bb.78:                               ;   in Loop: Header=BB98_72 Depth=1
	v_add_co_u32 v2, vcc_lo, v123, v94
	v_add_co_ci_u32_e32 v3, vcc_lo, 0, v124, vcc_lo
	global_load_b64 v[34:35], v[2:3], off
.LBB98_79:                              ;   in Loop: Header=BB98_72 Depth=1
	s_or_b32 exec_lo, exec_lo, s13
	s_delay_alu instid0(SALU_CYCLE_1)
	s_mov_b32 s13, exec_lo
	v_cmpx_gt_i32_e64 s11, v105
	s_cbranch_execz .LBB98_81
; %bb.80:                               ;   in Loop: Header=BB98_72 Depth=1
	v_add_co_u32 v2, vcc_lo, v127, v94
	v_add_co_ci_u32_e32 v3, vcc_lo, 0, v128, vcc_lo
	global_load_b64 v[32:33], v[2:3], off
.LBB98_81:                              ;   in Loop: Header=BB98_72 Depth=1
	s_or_b32 exec_lo, exec_lo, s13
	s_branch .LBB98_83
.LBB98_82:                              ;   in Loop: Header=BB98_72 Depth=1
	v_add_co_u32 v2, vcc_lo, v125, v94
	v_add_co_ci_u32_e32 v3, vcc_lo, 0, v126, vcc_lo
	v_add_co_u32 v4, vcc_lo, v123, v94
	v_add_co_ci_u32_e32 v5, vcc_lo, 0, v124, vcc_lo
	;; [unrolled: 2-line block ×3, first 2 shown]
	global_load_b64 v[28:29], v[0:1], off
	global_load_b64 v[30:31], v[2:3], off
	;; [unrolled: 1-line block ×4, first 2 shown]
.LBB98_83:                              ;   in Loop: Header=BB98_72 Depth=1
	ds_load_b64 v[0:1], v99
	ds_load_b64 v[36:37], v106
	v_add_co_u32 v8, vcc_lo, v129, v94
	v_cndmask_b32_e64 v76, 0, 1, s1
	v_add_co_ci_u32_e32 v9, vcc_lo, 0, v130, vcc_lo
	s_and_not1_b32 vcc_lo, exec_lo, s1
	s_waitcnt vmcnt(0) lgkmcnt(1)
	v_mul_f64 v[2:3], v[28:29], v[0:1]
	v_mul_f64 v[4:5], v[30:31], v[0:1]
	v_mul_f64 v[6:7], v[34:35], v[0:1]
	v_mul_f64 v[0:1], v[32:33], v[0:1]
	ds_store_b64 v107, v[2:3]
	ds_load_b64 v[38:39], v106 offset:8
	ds_store_b64 v107, v[4:5] offset:536
	ds_load_b64 v[40:41], v106 offset:16
	ds_store_b64 v107, v[6:7] offset:1072
	;; [unrolled: 2-line block ×3, first 2 shown]
	s_waitcnt lgkmcnt(0)
	s_barrier
	buffer_gl0_inv
	ds_load_2addr_b64 v[4:7], v102 offset1:1
	ds_load_2addr_b64 v[0:3], v102 offset0:2 offset1:3
	s_waitcnt lgkmcnt(0)
	s_barrier
	buffer_gl0_inv
	s_cbranch_vccnz .LBB98_121
; %bb.84:                               ;   in Loop: Header=BB98_72 Depth=1
	v_mov_b32_e32 v46, 0
	v_mov_b32_e32 v47, 0
	s_delay_alu instid0(VALU_DEP_2) | instskip(SKIP_1) | instid1(VALU_DEP_2)
	v_mov_b32_e32 v44, v46
	s_mov_b32 s1, exec_lo
	v_mov_b32_e32 v45, v47
	v_cmpx_gt_i32_e64 s11, v108
	s_cbranch_execz .LBB98_86
; %bb.85:                               ;   in Loop: Header=BB98_72 Depth=1
	global_load_b64 v[44:45], v[8:9], off
.LBB98_86:                              ;   in Loop: Header=BB98_72 Depth=1
	s_or_b32 exec_lo, exec_lo, s1
	s_delay_alu instid0(SALU_CYCLE_1)
	s_mov_b32 s1, exec_lo
	v_cmpx_gt_i32_e64 s11, v109
	s_cbranch_execz .LBB98_88
; %bb.87:                               ;   in Loop: Header=BB98_72 Depth=1
	v_add_co_u32 v10, vcc_lo, v131, v94
	v_add_co_ci_u32_e32 v11, vcc_lo, 0, v132, vcc_lo
	global_load_b64 v[46:47], v[10:11], off
.LBB98_88:                              ;   in Loop: Header=BB98_72 Depth=1
	s_or_b32 exec_lo, exec_lo, s1
	v_mov_b32_e32 v48, 0
	v_mov_b32_e32 v49, 0
	s_mov_b32 s1, exec_lo
	s_delay_alu instid0(VALU_DEP_1)
	v_dual_mov_b32 v51, v49 :: v_dual_mov_b32 v50, v48
	v_cmpx_gt_i32_e64 s11, v110
	s_cbranch_execz .LBB98_90
; %bb.89:                               ;   in Loop: Header=BB98_72 Depth=1
	v_add_co_u32 v10, vcc_lo, v133, v94
	v_add_co_ci_u32_e32 v11, vcc_lo, 0, v134, vcc_lo
	global_load_b64 v[50:51], v[10:11], off
.LBB98_90:                              ;   in Loop: Header=BB98_72 Depth=1
	s_or_b32 exec_lo, exec_lo, s1
	s_delay_alu instid0(SALU_CYCLE_1)
	s_mov_b32 s1, exec_lo
	v_cmpx_gt_i32_e64 s11, v111
	s_cbranch_execz .LBB98_92
; %bb.91:                               ;   in Loop: Header=BB98_72 Depth=1
	v_add_co_u32 v10, vcc_lo, v135, v94
	v_add_co_ci_u32_e32 v11, vcc_lo, 0, v136, vcc_lo
	global_load_b64 v[48:49], v[10:11], off
.LBB98_92:                              ;   in Loop: Header=BB98_72 Depth=1
	s_or_b32 exec_lo, exec_lo, s1
	s_branch .LBB98_94
.LBB98_93:                              ;   in Loop: Header=BB98_72 Depth=1
	v_add_co_u32 v10, vcc_lo, v131, v94
	v_add_co_ci_u32_e32 v11, vcc_lo, 0, v132, vcc_lo
	v_add_co_u32 v12, vcc_lo, v133, v94
	v_add_co_ci_u32_e32 v13, vcc_lo, 0, v134, vcc_lo
	;; [unrolled: 2-line block ×3, first 2 shown]
	global_load_b64 v[44:45], v[8:9], off
	global_load_b64 v[46:47], v[10:11], off
	global_load_b64 v[50:51], v[12:13], off
	global_load_b64 v[48:49], v[14:15], off
.LBB98_94:                              ;   in Loop: Header=BB98_72 Depth=1
	ds_load_b64 v[8:9], v99
	ds_load_b64 v[52:53], v106 offset:128
	v_cmp_ne_u32_e32 vcc_lo, 1, v76
	v_add_co_u32 v16, s1, v137, v94
	s_delay_alu instid0(VALU_DEP_1)
	v_add_co_ci_u32_e64 v17, s1, 0, v138, s1
	s_and_b32 vcc_lo, exec_lo, vcc_lo
	s_waitcnt vmcnt(0) lgkmcnt(1)
	v_mul_f64 v[10:11], v[44:45], v[8:9]
	v_mul_f64 v[12:13], v[46:47], v[8:9]
	;; [unrolled: 1-line block ×4, first 2 shown]
	ds_store_b64 v107, v[10:11]
	ds_load_b64 v[54:55], v106 offset:136
	ds_store_b64 v107, v[12:13] offset:536
	ds_load_b64 v[56:57], v106 offset:144
	ds_store_b64 v107, v[14:15] offset:1072
	;; [unrolled: 2-line block ×3, first 2 shown]
	s_waitcnt lgkmcnt(0)
	s_barrier
	buffer_gl0_inv
	ds_load_2addr_b64 v[12:15], v102 offset1:1
	ds_load_2addr_b64 v[8:11], v102 offset0:2 offset1:3
	s_waitcnt lgkmcnt(0)
	s_barrier
	buffer_gl0_inv
	s_cbranch_vccnz .LBB98_122
; %bb.95:                               ;   in Loop: Header=BB98_72 Depth=1
	v_mov_b32_e32 v62, 0
	v_mov_b32_e32 v63, 0
	s_delay_alu instid0(VALU_DEP_2) | instskip(SKIP_1) | instid1(VALU_DEP_2)
	v_mov_b32_e32 v60, v62
	s_mov_b32 s1, exec_lo
	v_mov_b32_e32 v61, v63
	v_cmpx_gt_i32_e64 s11, v112
	s_cbranch_execz .LBB98_97
; %bb.96:                               ;   in Loop: Header=BB98_72 Depth=1
	global_load_b64 v[60:61], v[16:17], off
.LBB98_97:                              ;   in Loop: Header=BB98_72 Depth=1
	s_or_b32 exec_lo, exec_lo, s1
	s_delay_alu instid0(SALU_CYCLE_1)
	s_mov_b32 s1, exec_lo
	v_cmpx_gt_i32_e64 s11, v113
	s_cbranch_execz .LBB98_99
; %bb.98:                               ;   in Loop: Header=BB98_72 Depth=1
	v_add_co_u32 v18, vcc_lo, v139, v94
	v_add_co_ci_u32_e32 v19, vcc_lo, 0, v140, vcc_lo
	global_load_b64 v[62:63], v[18:19], off
.LBB98_99:                              ;   in Loop: Header=BB98_72 Depth=1
	s_or_b32 exec_lo, exec_lo, s1
	v_mov_b32_e32 v64, 0
	v_mov_b32_e32 v65, 0
	s_mov_b32 s1, exec_lo
	s_delay_alu instid0(VALU_DEP_1)
	v_dual_mov_b32 v67, v65 :: v_dual_mov_b32 v66, v64
	v_cmpx_gt_i32_e64 s11, v114
	s_cbranch_execz .LBB98_101
; %bb.100:                              ;   in Loop: Header=BB98_72 Depth=1
	v_add_co_u32 v18, vcc_lo, v141, v94
	v_add_co_ci_u32_e32 v19, vcc_lo, 0, v142, vcc_lo
	global_load_b64 v[66:67], v[18:19], off
.LBB98_101:                             ;   in Loop: Header=BB98_72 Depth=1
	s_or_b32 exec_lo, exec_lo, s1
	s_delay_alu instid0(SALU_CYCLE_1)
	s_mov_b32 s1, exec_lo
	v_cmpx_gt_i32_e64 s11, v115
	s_cbranch_execz .LBB98_103
; %bb.102:                              ;   in Loop: Header=BB98_72 Depth=1
	v_add_co_u32 v18, vcc_lo, v143, v94
	v_add_co_ci_u32_e32 v19, vcc_lo, 0, v144, vcc_lo
	global_load_b64 v[64:65], v[18:19], off
.LBB98_103:                             ;   in Loop: Header=BB98_72 Depth=1
	s_or_b32 exec_lo, exec_lo, s1
	s_branch .LBB98_105
.LBB98_104:                             ;   in Loop: Header=BB98_72 Depth=1
	v_add_co_u32 v18, vcc_lo, v139, v94
	v_add_co_ci_u32_e32 v19, vcc_lo, 0, v140, vcc_lo
	v_add_co_u32 v20, vcc_lo, v141, v94
	v_add_co_ci_u32_e32 v21, vcc_lo, 0, v142, vcc_lo
	;; [unrolled: 2-line block ×3, first 2 shown]
	global_load_b64 v[60:61], v[16:17], off
	global_load_b64 v[62:63], v[18:19], off
	global_load_b64 v[66:67], v[20:21], off
	global_load_b64 v[64:65], v[22:23], off
.LBB98_105:                             ;   in Loop: Header=BB98_72 Depth=1
	ds_load_b64 v[16:17], v99
	ds_load_b64 v[68:69], v106 offset:256
	v_cmp_ne_u32_e32 vcc_lo, 1, v76
	v_add_co_u32 v84, s1, v145, v94
	s_delay_alu instid0(VALU_DEP_1)
	v_add_co_ci_u32_e64 v85, s1, 0, v146, s1
	s_and_b32 vcc_lo, exec_lo, vcc_lo
	s_waitcnt vmcnt(0) lgkmcnt(1)
	v_mul_f64 v[18:19], v[60:61], v[16:17]
	v_mul_f64 v[20:21], v[62:63], v[16:17]
	;; [unrolled: 1-line block ×4, first 2 shown]
	ds_store_b64 v107, v[18:19]
	ds_load_b64 v[70:71], v106 offset:264
	ds_store_b64 v107, v[20:21] offset:536
	ds_load_b64 v[72:73], v106 offset:272
	ds_store_b64 v107, v[22:23] offset:1072
	;; [unrolled: 2-line block ×3, first 2 shown]
	s_waitcnt lgkmcnt(0)
	s_barrier
	buffer_gl0_inv
	ds_load_2addr_b64 v[20:23], v102 offset1:1
	ds_load_2addr_b64 v[16:19], v102 offset0:2 offset1:3
	s_waitcnt lgkmcnt(0)
	s_barrier
	buffer_gl0_inv
	s_cbranch_vccnz .LBB98_123
; %bb.106:                              ;   in Loop: Header=BB98_72 Depth=1
	v_mov_b32_e32 v78, 0
	v_mov_b32_e32 v79, 0
	s_delay_alu instid0(VALU_DEP_2) | instskip(SKIP_1) | instid1(VALU_DEP_2)
	v_mov_b32_e32 v76, v78
	s_mov_b32 s1, exec_lo
	v_mov_b32_e32 v77, v79
	v_cmpx_gt_i32_e64 s11, v116
	s_cbranch_execz .LBB98_108
; %bb.107:                              ;   in Loop: Header=BB98_72 Depth=1
	global_load_b64 v[76:77], v[84:85], off
.LBB98_108:                             ;   in Loop: Header=BB98_72 Depth=1
	s_or_b32 exec_lo, exec_lo, s1
	s_delay_alu instid0(SALU_CYCLE_1)
	s_mov_b32 s1, exec_lo
	v_cmpx_gt_i32_e64 s11, v117
	s_cbranch_execz .LBB98_110
; %bb.109:                              ;   in Loop: Header=BB98_72 Depth=1
	v_add_co_u32 v78, vcc_lo, v147, v94
	v_add_co_ci_u32_e32 v79, vcc_lo, 0, v148, vcc_lo
	global_load_b64 v[78:79], v[78:79], off
.LBB98_110:                             ;   in Loop: Header=BB98_72 Depth=1
	s_or_b32 exec_lo, exec_lo, s1
	v_mov_b32_e32 v80, 0
	v_mov_b32_e32 v81, 0
	s_mov_b32 s1, exec_lo
	s_delay_alu instid0(VALU_DEP_1)
	v_dual_mov_b32 v83, v81 :: v_dual_mov_b32 v82, v80
	v_cmpx_gt_i32_e64 s11, v118
	s_cbranch_execz .LBB98_112
; %bb.111:                              ;   in Loop: Header=BB98_72 Depth=1
	v_add_co_u32 v82, vcc_lo, v149, v94
	v_add_co_ci_u32_e32 v83, vcc_lo, 0, v150, vcc_lo
	global_load_b64 v[82:83], v[82:83], off
.LBB98_112:                             ;   in Loop: Header=BB98_72 Depth=1
	s_or_b32 exec_lo, exec_lo, s1
	s_delay_alu instid0(SALU_CYCLE_1)
	s_mov_b32 s1, exec_lo
	v_cmpx_gt_i32_e64 s11, v119
	s_cbranch_execz .LBB98_114
; %bb.113:                              ;   in Loop: Header=BB98_72 Depth=1
	v_add_co_u32 v80, vcc_lo, v151, v94
	v_add_co_ci_u32_e32 v81, vcc_lo, 0, v152, vcc_lo
	global_load_b64 v[80:81], v[80:81], off
.LBB98_114:                             ;   in Loop: Header=BB98_72 Depth=1
	s_or_b32 exec_lo, exec_lo, s1
	s_branch .LBB98_116
.LBB98_115:                             ;   in Loop: Header=BB98_72 Depth=1
	s_waitcnt vmcnt(0)
	v_add_co_u32 v78, vcc_lo, v147, v94
	v_add_co_ci_u32_e32 v79, vcc_lo, 0, v148, vcc_lo
	v_add_co_u32 v80, vcc_lo, v149, v94
	v_add_co_ci_u32_e32 v81, vcc_lo, 0, v150, vcc_lo
	;; [unrolled: 2-line block ×3, first 2 shown]
	global_load_b64 v[76:77], v[84:85], off
	global_load_b64 v[78:79], v[78:79], off
	;; [unrolled: 1-line block ×4, first 2 shown]
.LBB98_116:                             ;   in Loop: Header=BB98_72 Depth=1
	ds_load_b64 v[84:85], v99
	ds_load_b64 v[86:87], v106 offset:384
	v_add_f64 v[12:13], v[12:13], 0
	v_add_f64 v[4:5], v[4:5], 0
	;; [unrolled: 1-line block ×3, first 2 shown]
	v_cmp_gt_i32_e32 vcc_lo, s11, v92
	s_or_b32 s1, s12, vcc_lo
	s_delay_alu instid0(SALU_CYCLE_1)
	s_and_b32 s11, s0, s1
	s_waitcnt vmcnt(0) lgkmcnt(1)
	v_mul_f64 v[88:89], v[76:77], v[84:85]
	v_mul_f64 v[90:91], v[78:79], v[84:85]
	;; [unrolled: 1-line block ×4, first 2 shown]
	v_add_f64 v[12:13], v[12:13], v[14:15]
	v_add_f64 v[4:5], v[4:5], v[6:7]
	;; [unrolled: 1-line block ×3, first 2 shown]
	ds_store_b64 v107, v[88:89]
	ds_load_b64 v[88:89], v106 offset:392
	ds_store_b64 v107, v[90:91] offset:536
	ds_load_b64 v[90:91], v106 offset:400
	ds_store_b64 v107, v[154:155] offset:1072
	;; [unrolled: 2-line block ×3, first 2 shown]
	s_waitcnt lgkmcnt(0)
	s_barrier
	buffer_gl0_inv
	ds_load_2addr_b64 v[154:157], v102 offset1:1
	ds_load_2addr_b64 v[158:161], v102 offset0:2 offset1:3
	s_waitcnt lgkmcnt(0)
	s_barrier
	buffer_gl0_inv
	v_add_f64 v[8:9], v[12:13], v[8:9]
	v_add_f64 v[0:1], v[4:5], v[0:1]
	v_add_f64 v[14:15], v[20:21], v[16:17]
	v_add_f64 v[154:155], v[154:155], 0
	s_delay_alu instid0(VALU_DEP_4) | instskip(NEXT) | instid1(VALU_DEP_4)
	v_add_f64 v[8:9], v[8:9], v[10:11]
	v_add_f64 v[0:1], v[0:1], v[2:3]
	s_delay_alu instid0(VALU_DEP_3) | instskip(NEXT) | instid1(VALU_DEP_1)
	v_add_f64 v[6:7], v[154:155], v[156:157]
	v_add_f64 v[4:5], v[6:7], v[158:159]
	;; [unrolled: 1-line block ×3, first 2 shown]
	s_delay_alu instid0(VALU_DEP_2)
	v_add_f64 v[2:3], v[4:5], v[160:161]
	ds_store_2addr_b64 v153, v[0:1], v[8:9] offset1:16
	ds_store_2addr_b64 v153, v[6:7], v[2:3] offset0:32 offset1:48
	s_waitcnt lgkmcnt(0)
	s_barrier
	buffer_gl0_inv
	s_and_saveexec_b32 s1, s11
	s_cbranch_execz .LBB98_118
; %bb.117:                              ;   in Loop: Header=BB98_72 Depth=1
	ds_load_2addr_b64 v[0:3], v100 offset1:1
	ds_load_2addr_b64 v[4:7], v100 offset0:2 offset1:3
	s_waitcnt lgkmcnt(1)
	v_add_f64 v[0:1], v[0:1], v[2:3]
	s_waitcnt lgkmcnt(0)
	s_delay_alu instid0(VALU_DEP_1) | instskip(NEXT) | instid1(VALU_DEP_1)
	v_add_f64 v[0:1], v[0:1], v[4:5]
	v_add_f64 v[8:9], v[0:1], v[6:7]
	ds_load_2addr_b64 v[0:3], v100 offset0:4 offset1:5
	ds_load_2addr_b64 v[4:7], v100 offset0:6 offset1:7
	s_waitcnt lgkmcnt(1)
	v_add_f64 v[0:1], v[8:9], v[0:1]
	s_delay_alu instid0(VALU_DEP_1) | instskip(SKIP_1) | instid1(VALU_DEP_1)
	v_add_f64 v[0:1], v[0:1], v[2:3]
	s_waitcnt lgkmcnt(0)
	v_add_f64 v[0:1], v[0:1], v[4:5]
	s_delay_alu instid0(VALU_DEP_1) | instskip(SKIP_4) | instid1(VALU_DEP_1)
	v_add_f64 v[8:9], v[0:1], v[6:7]
	ds_load_2addr_b64 v[0:3], v100 offset0:8 offset1:9
	ds_load_2addr_b64 v[4:7], v100 offset0:10 offset1:11
	s_waitcnt lgkmcnt(1)
	v_add_f64 v[0:1], v[8:9], v[0:1]
	v_add_f64 v[0:1], v[0:1], v[2:3]
	s_waitcnt lgkmcnt(0)
	s_delay_alu instid0(VALU_DEP_1) | instskip(NEXT) | instid1(VALU_DEP_1)
	v_add_f64 v[0:1], v[0:1], v[4:5]
	v_add_f64 v[4:5], v[0:1], v[6:7]
	ds_load_2addr_b64 v[0:3], v100 offset0:12 offset1:13
	ds_load_b64 v[6:7], v100 offset:112
	s_waitcnt lgkmcnt(1)
	v_add_f64 v[0:1], v[4:5], v[0:1]
	s_delay_alu instid0(VALU_DEP_1) | instskip(SKIP_4) | instid1(VALU_DEP_1)
	v_add_f64 v[0:1], v[0:1], v[2:3]
	ds_load_b64 v[2:3], v101
	s_waitcnt lgkmcnt(1)
	v_add_f64 v[0:1], v[0:1], v[6:7]
	s_waitcnt lgkmcnt(0)
	v_add_f64 v[0:1], v[0:1], v[2:3]
	v_add_nc_u32_e32 v2, s8, v120
	s_delay_alu instid0(VALU_DEP_1) | instskip(NEXT) | instid1(VALU_DEP_1)
	v_ashrrev_i32_e32 v3, 31, v2
	v_lshlrev_b64 v[2:3], 3, v[2:3]
	s_delay_alu instid0(VALU_DEP_1) | instskip(NEXT) | instid1(VALU_DEP_2)
	v_add_co_u32 v2, vcc_lo, s3, v2
	v_add_co_ci_u32_e32 v3, vcc_lo, s6, v3, vcc_lo
	global_store_b64 v[2:3], v[0:1], off
.LBB98_118:                             ;   in Loop: Header=BB98_72 Depth=1
	s_or_b32 exec_lo, exec_lo, s1
	v_fma_f64 v[0:1], v[28:29], v[36:37], v[26:27]
	v_add_co_u32 v121, vcc_lo, v121, s4
	v_add_co_ci_u32_e32 v122, vcc_lo, s5, v122, vcc_lo
	v_add_co_u32 v123, vcc_lo, v123, s4
	v_add_co_ci_u32_e32 v124, vcc_lo, s5, v124, vcc_lo
	;; [unrolled: 2-line block ×9, first 2 shown]
	v_add_co_u32 v139, vcc_lo, v139, s4
	v_fma_f64 v[0:1], v[30:31], v[38:39], v[0:1]
	v_add_co_ci_u32_e32 v140, vcc_lo, s5, v140, vcc_lo
	v_add_co_u32 v141, vcc_lo, v141, s4
	v_add_co_ci_u32_e32 v142, vcc_lo, s5, v142, vcc_lo
	v_add_co_u32 v143, vcc_lo, v143, s4
	;; [unrolled: 2-line block ×6, first 2 shown]
	v_add_co_ci_u32_e32 v152, vcc_lo, s5, v152, vcc_lo
	s_add_i32 s11, s14, 2
	s_add_i32 s1, s14, 1
	;; [unrolled: 1-line block ×3, first 2 shown]
	s_cmp_ge_u32 s11, s9
	s_waitcnt_vscnt null, 0x0
	s_barrier
	buffer_gl0_inv
	v_fma_f64 v[0:1], v[34:35], v[40:41], v[0:1]
	s_delay_alu instid0(VALU_DEP_1) | instskip(NEXT) | instid1(VALU_DEP_1)
	v_fma_f64 v[0:1], v[32:33], v[42:43], v[0:1]
	v_fma_f64 v[0:1], v[44:45], v[52:53], v[0:1]
	s_delay_alu instid0(VALU_DEP_1) | instskip(NEXT) | instid1(VALU_DEP_1)
	v_fma_f64 v[0:1], v[46:47], v[54:55], v[0:1]
	;; [unrolled: 3-line block ×6, first 2 shown]
	v_fma_f64 v[0:1], v[82:83], v[90:91], v[0:1]
	s_delay_alu instid0(VALU_DEP_1)
	v_fma_f64 v[26:27], v[80:81], v[84:85], v[0:1]
	s_cbranch_scc1 .LBB98_124
; %bb.119:                              ;   in Loop: Header=BB98_72 Depth=1
	s_mov_b32 s14, s1
	s_delay_alu instid0(SALU_CYCLE_1)
	s_cmp_eq_u32 s7, s14
	s_cselect_b32 s11, s24, 0
	s_and_saveexec_b32 s1, s2
	s_cbranch_execnz .LBB98_69
	s_branch .LBB98_72
.LBB98_120:                             ;   in Loop: Header=BB98_72 Depth=1
                                        ; implicit-def: $vgpr32_vgpr33
                                        ; implicit-def: $vgpr34_vgpr35
                                        ; implicit-def: $vgpr30_vgpr31
                                        ; implicit-def: $vgpr28_vgpr29
	s_cbranch_execnz .LBB98_82
	s_branch .LBB98_83
.LBB98_121:                             ;   in Loop: Header=BB98_72 Depth=1
                                        ; implicit-def: $vgpr48_vgpr49
                                        ; implicit-def: $vgpr50_vgpr51
                                        ; implicit-def: $vgpr46_vgpr47
                                        ; implicit-def: $vgpr44_vgpr45
	s_cbranch_execnz .LBB98_93
	s_branch .LBB98_94
.LBB98_122:                             ;   in Loop: Header=BB98_72 Depth=1
                                        ; implicit-def: $vgpr64_vgpr65
                                        ; implicit-def: $vgpr66_vgpr67
                                        ; implicit-def: $vgpr62_vgpr63
                                        ; implicit-def: $vgpr60_vgpr61
	s_cbranch_execnz .LBB98_104
	s_branch .LBB98_105
.LBB98_123:                             ;   in Loop: Header=BB98_72 Depth=1
                                        ; implicit-def: $vgpr80_vgpr81
                                        ; implicit-def: $vgpr82_vgpr83
                                        ; implicit-def: $vgpr78_vgpr79
                                        ; implicit-def: $vgpr76_vgpr77
	s_cbranch_execnz .LBB98_115
	s_branch .LBB98_116
.LBB98_124:
	v_cmp_gt_i32_e32 vcc_lo, s10, v92
	v_mad_u32_u24 v0, 0x218, v93, v94
	s_or_b32 s0, s18, vcc_lo
	ds_store_b64 v0, v[26:27]
	s_and_b32 s0, s2, s0
	s_waitcnt lgkmcnt(0)
	s_barrier
	buffer_gl0_inv
	s_and_saveexec_b32 s1, s0
	s_cbranch_execz .LBB98_126
; %bb.125:
	ds_load_2addr_b64 v[0:3], v94 offset1:67
	s_waitcnt lgkmcnt(0)
	v_add_f64 v[4:5], v[0:1], v[2:3]
	ds_load_2addr_b64 v[0:3], v94 offset0:134 offset1:201
	s_waitcnt lgkmcnt(0)
	v_add_f64 v[0:1], v[4:5], v[0:1]
	s_delay_alu instid0(VALU_DEP_1) | instskip(SKIP_1) | instid1(VALU_DEP_1)
	v_add_f64 v[0:1], v[0:1], v[2:3]
	v_lshlrev_b64 v[2:3], 3, v[24:25]
	v_add_co_u32 v2, vcc_lo, s3, v2
	s_delay_alu instid0(VALU_DEP_2)
	v_add_co_ci_u32_e32 v3, vcc_lo, s6, v3, vcc_lo
	global_store_b64 v[2:3], v[0:1], off
.LBB98_126:
	s_nop 0
	s_sendmsg sendmsg(MSG_DEALLOC_VGPRS)
	s_endpgm
	.section	.rodata,"a",@progbits
	.p2align	6, 0x0
	.amdhsa_kernel _ZL26rocblas_hemvn_kernel_upperILb0ELi64ELi4ELi33ELi32ELi16EldPKdPdEviT6_lT7_lT5_lS4_lS5_lS3_lT8_i
		.amdhsa_group_segment_fixed_size 9600
		.amdhsa_private_segment_fixed_size 0
		.amdhsa_kernarg_size 376
		.amdhsa_user_sgpr_count 14
		.amdhsa_user_sgpr_dispatch_ptr 0
		.amdhsa_user_sgpr_queue_ptr 0
		.amdhsa_user_sgpr_kernarg_segment_ptr 1
		.amdhsa_user_sgpr_dispatch_id 0
		.amdhsa_user_sgpr_private_segment_size 0
		.amdhsa_wavefront_size32 1
		.amdhsa_uses_dynamic_stack 0
		.amdhsa_enable_private_segment 0
		.amdhsa_system_sgpr_workgroup_id_x 1
		.amdhsa_system_sgpr_workgroup_id_y 0
		.amdhsa_system_sgpr_workgroup_id_z 1
		.amdhsa_system_sgpr_workgroup_info 0
		.amdhsa_system_vgpr_workitem_id 1
		.amdhsa_next_free_vgpr 162
		.amdhsa_next_free_sgpr 32
		.amdhsa_reserve_vcc 1
		.amdhsa_float_round_mode_32 0
		.amdhsa_float_round_mode_16_64 0
		.amdhsa_float_denorm_mode_32 3
		.amdhsa_float_denorm_mode_16_64 3
		.amdhsa_dx10_clamp 1
		.amdhsa_ieee_mode 1
		.amdhsa_fp16_overflow 0
		.amdhsa_workgroup_processor_mode 1
		.amdhsa_memory_ordered 1
		.amdhsa_forward_progress 0
		.amdhsa_shared_vgpr_count 0
		.amdhsa_exception_fp_ieee_invalid_op 0
		.amdhsa_exception_fp_denorm_src 0
		.amdhsa_exception_fp_ieee_div_zero 0
		.amdhsa_exception_fp_ieee_overflow 0
		.amdhsa_exception_fp_ieee_underflow 0
		.amdhsa_exception_fp_ieee_inexact 0
		.amdhsa_exception_int_div_zero 0
	.end_amdhsa_kernel
	.section	.text._ZL26rocblas_hemvn_kernel_upperILb0ELi64ELi4ELi33ELi32ELi16EldPKdPdEviT6_lT7_lT5_lS4_lS5_lS3_lT8_i,"axG",@progbits,_ZL26rocblas_hemvn_kernel_upperILb0ELi64ELi4ELi33ELi32ELi16EldPKdPdEviT6_lT7_lT5_lS4_lS5_lS3_lT8_i,comdat
.Lfunc_end98:
	.size	_ZL26rocblas_hemvn_kernel_upperILb0ELi64ELi4ELi33ELi32ELi16EldPKdPdEviT6_lT7_lT5_lS4_lS5_lS3_lT8_i, .Lfunc_end98-_ZL26rocblas_hemvn_kernel_upperILb0ELi64ELi4ELi33ELi32ELi16EldPKdPdEviT6_lT7_lT5_lS4_lS5_lS3_lT8_i
                                        ; -- End function
	.section	.AMDGPU.csdata,"",@progbits
; Kernel info:
; codeLenInByte = 8604
; NumSgprs: 34
; NumVgprs: 162
; ScratchSize: 0
; MemoryBound: 0
; FloatMode: 240
; IeeeMode: 1
; LDSByteSize: 9600 bytes/workgroup (compile time only)
; SGPRBlocks: 4
; VGPRBlocks: 20
; NumSGPRsForWavesPerEU: 34
; NumVGPRsForWavesPerEU: 162
; Occupancy: 9
; WaveLimiterHint : 1
; COMPUTE_PGM_RSRC2:SCRATCH_EN: 0
; COMPUTE_PGM_RSRC2:USER_SGPR: 14
; COMPUTE_PGM_RSRC2:TRAP_HANDLER: 0
; COMPUTE_PGM_RSRC2:TGID_X_EN: 1
; COMPUTE_PGM_RSRC2:TGID_Y_EN: 0
; COMPUTE_PGM_RSRC2:TGID_Z_EN: 1
; COMPUTE_PGM_RSRC2:TIDIG_COMP_CNT: 1
	.section	.text._ZL36rocblas_hemvn_kernel_upper_block_sumILi64EldPddEviT1_lS1_lT2_lT0_lPT3_i,"axG",@progbits,_ZL36rocblas_hemvn_kernel_upper_block_sumILi64EldPddEviT1_lS1_lT2_lT0_lPT3_i,comdat
	.globl	_ZL36rocblas_hemvn_kernel_upper_block_sumILi64EldPddEviT1_lS1_lT2_lT0_lPT3_i ; -- Begin function _ZL36rocblas_hemvn_kernel_upper_block_sumILi64EldPddEviT1_lS1_lT2_lT0_lPT3_i
	.p2align	8
	.type	_ZL36rocblas_hemvn_kernel_upper_block_sumILi64EldPddEviT1_lS1_lT2_lT0_lPT3_i,@function
_ZL36rocblas_hemvn_kernel_upper_block_sumILi64EldPddEviT1_lS1_lT2_lT0_lPT3_i: ; @_ZL36rocblas_hemvn_kernel_upper_block_sumILi64EldPddEviT1_lS1_lT2_lT0_lPT3_i
; %bb.0:
	s_clause 0x1
	s_load_b64 s[12:13], s[0:1], 0x8
	s_load_b64 s[16:17], s[0:1], 0x18
	s_waitcnt lgkmcnt(0)
	v_cmp_eq_f64_e64 s2, s[12:13], 0
	v_cmp_eq_f64_e64 s3, s[16:17], 1.0
	s_delay_alu instid0(VALU_DEP_1) | instskip(NEXT) | instid1(SALU_CYCLE_1)
	s_and_b32 s2, s2, s3
	s_and_b32 vcc_lo, exec_lo, s2
	s_cbranch_vccnz .LBB99_19
; %bb.1:
	v_cmp_neq_f64_e64 s19, s[12:13], 0
	s_clause 0x2
	s_load_b256 s[4:11], s[0:1], 0x30
	s_load_b64 s[2:3], s[0:1], 0x28
	s_load_b32 s18, s[0:1], 0x0
	v_lshl_or_b32 v0, s14, 6, v0
	s_waitcnt lgkmcnt(0)
	s_mul_i32 s9, s15, s9
	s_mul_hi_u32 s20, s15, s8
	s_mul_i32 s8, s15, s8
	s_add_i32 s9, s20, s9
	s_delay_alu instid0(SALU_CYCLE_1) | instskip(NEXT) | instid1(SALU_CYCLE_1)
	s_lshl_b64 s[8:9], s[8:9], 3
	s_add_u32 s2, s2, s8
	s_addc_u32 s8, s3, s9
	s_lshl_b64 s[4:5], s[4:5], 3
	s_delay_alu instid0(SALU_CYCLE_1) | instskip(SKIP_3) | instid1(VALU_DEP_3)
	s_add_u32 s3, s2, s4
	v_cmp_gt_i32_e64 s2, s18, v0
	s_addc_u32 s4, s8, s5
	s_mov_b32 s5, 0
	s_and_b32 vcc_lo, exec_lo, s19
	s_cbranch_vccnz .LBB99_6
; %bb.2:
	s_mov_b32 s8, 0
                                        ; implicit-def: $vgpr3_vgpr4
                                        ; implicit-def: $vgpr1_vgpr2
	s_and_saveexec_b32 s9, s2
	s_cbranch_execz .LBB99_7
; %bb.3:
	v_cmp_eq_f64_e64 s2, s[16:17], 0
	v_ashrrev_i32_e32 v1, 31, v0
	v_mul_lo_u32 v3, v0, s7
	s_delay_alu instid0(VALU_DEP_2) | instskip(SKIP_1) | instid1(VALU_DEP_1)
	v_mul_lo_u32 v4, v1, s6
	v_mad_u64_u32 v[1:2], null, v0, s6, 0
	v_add3_u32 v2, v2, v3, v4
	v_mov_b32_e32 v3, 0
	v_mov_b32_e32 v4, 0
	s_and_b32 vcc_lo, exec_lo, s2
	s_cbranch_vccnz .LBB99_5
; %bb.4:
	s_delay_alu instid0(VALU_DEP_4) | instskip(NEXT) | instid1(VALU_DEP_1)
	v_lshlrev_b64 v[3:4], 3, v[1:2]
	v_add_co_u32 v3, vcc_lo, s3, v3
	s_delay_alu instid0(VALU_DEP_2)
	v_add_co_ci_u32_e32 v4, vcc_lo, s4, v4, vcc_lo
	global_load_b64 v[3:4], v[3:4], off
	s_waitcnt vmcnt(0)
	v_mul_f64 v[3:4], v[3:4], s[16:17]
.LBB99_5:
	s_mov_b32 s5, exec_lo
	s_or_b32 exec_lo, exec_lo, s9
	s_delay_alu instid0(SALU_CYCLE_1)
	s_and_b32 vcc_lo, exec_lo, s8
	s_cbranch_vccnz .LBB99_8
	s_branch .LBB99_17
.LBB99_6:
                                        ; implicit-def: $vgpr3_vgpr4
                                        ; implicit-def: $vgpr1_vgpr2
	s_cbranch_execnz .LBB99_8
	s_branch .LBB99_17
.LBB99_7:
	s_or_b32 exec_lo, exec_lo, s9
	s_delay_alu instid0(SALU_CYCLE_1)
	s_and_b32 vcc_lo, exec_lo, s8
	s_cbranch_vccz .LBB99_17
.LBB99_8:
	s_mov_b32 s2, exec_lo
                                        ; implicit-def: $vgpr3_vgpr4
                                        ; implicit-def: $vgpr1_vgpr2
	v_cmpx_gt_i32_e64 s18, v0
	s_cbranch_execz .LBB99_16
; %bb.9:
	v_mov_b32_e32 v5, 0
	v_mov_b32_e32 v6, 0
	v_ashrrev_i32_e32 v1, 31, v0
	s_cmp_lt_i32 s14, 0
	s_cbranch_scc1 .LBB99_12
; %bb.10:
	s_load_b32 s0, s[0:1], 0x58
	s_ashr_i32 s19, s18, 31
	s_mul_hi_u32 s1, s18, s15
	s_mul_i32 s8, s19, s15
	v_lshlrev_b64 v[2:3], 3, v[0:1]
	s_add_i32 s1, s1, s8
	s_mul_i32 s8, s18, s15
	v_mov_b32_e32 v5, 0
	v_mov_b32_e32 v6, 0
	s_waitcnt lgkmcnt(0)
	s_mul_i32 s1, s1, s0
	s_mul_hi_u32 s9, s8, s0
	s_mul_i32 s0, s8, s0
	s_add_i32 s1, s9, s1
	s_delay_alu instid0(SALU_CYCLE_1) | instskip(NEXT) | instid1(SALU_CYCLE_1)
	s_lshl_b64 s[0:1], s[0:1], 3
	s_add_u32 s0, s10, s0
	s_addc_u32 s1, s11, s1
	v_add_co_u32 v2, vcc_lo, s0, v2
	v_add_co_ci_u32_e32 v3, vcc_lo, s1, v3, vcc_lo
	s_add_i32 s8, s14, 1
	s_lshl_b64 s[0:1], s[18:19], 3
.LBB99_11:                              ; =>This Inner Loop Header: Depth=1
	global_load_b64 v[7:8], v[2:3], off
	v_add_co_u32 v2, vcc_lo, v2, s0
	v_add_co_ci_u32_e32 v3, vcc_lo, s1, v3, vcc_lo
	s_add_i32 s8, s8, -1
	s_delay_alu instid0(SALU_CYCLE_1)
	s_cmp_eq_u32 s8, 0
	s_waitcnt vmcnt(0)
	v_add_f64 v[5:6], v[5:6], v[7:8]
	s_cbranch_scc0 .LBB99_11
.LBB99_12:
	v_cmp_eq_f64_e64 s0, s[16:17], 0
	s_delay_alu instid0(VALU_DEP_2) | instskip(SKIP_1) | instid1(VALU_DEP_3)
	v_mul_lo_u32 v7, v1, s6
	v_mul_lo_u32 v8, v0, s7
	s_and_b32 vcc_lo, exec_lo, s0
	s_cbranch_vccz .LBB99_20
; %bb.13:
	v_mad_u64_u32 v[1:2], null, v0, s6, 0
	v_mul_f64 v[3:4], v[5:6], s[12:13]
	s_delay_alu instid0(VALU_DEP_2)
	v_add3_u32 v2, v2, v8, v7
	s_cbranch_execnz .LBB99_15
.LBB99_14:
	v_mad_u64_u32 v[1:2], null, v0, s6, 0
	s_delay_alu instid0(VALU_DEP_1) | instskip(NEXT) | instid1(VALU_DEP_1)
	v_add3_u32 v2, v2, v8, v7
	v_lshlrev_b64 v[3:4], 3, v[1:2]
	s_delay_alu instid0(VALU_DEP_1) | instskip(NEXT) | instid1(VALU_DEP_2)
	v_add_co_u32 v3, vcc_lo, s3, v3
	v_add_co_ci_u32_e32 v4, vcc_lo, s4, v4, vcc_lo
	global_load_b64 v[3:4], v[3:4], off
	s_waitcnt vmcnt(0)
	v_mul_f64 v[3:4], v[3:4], s[16:17]
	s_delay_alu instid0(VALU_DEP_1)
	v_fma_f64 v[3:4], v[5:6], s[12:13], v[3:4]
.LBB99_15:
	s_or_b32 s5, s5, exec_lo
.LBB99_16:
	s_or_b32 exec_lo, exec_lo, s2
.LBB99_17:
	s_and_saveexec_b32 s0, s5
	s_cbranch_execz .LBB99_19
; %bb.18:
	v_lshlrev_b64 v[0:1], 3, v[1:2]
	s_delay_alu instid0(VALU_DEP_1) | instskip(NEXT) | instid1(VALU_DEP_2)
	v_add_co_u32 v0, vcc_lo, s3, v0
	v_add_co_ci_u32_e32 v1, vcc_lo, s4, v1, vcc_lo
	global_store_b64 v[0:1], v[3:4], off
.LBB99_19:
	s_nop 0
	s_sendmsg sendmsg(MSG_DEALLOC_VGPRS)
	s_endpgm
.LBB99_20:
                                        ; implicit-def: $vgpr3_vgpr4
                                        ; implicit-def: $vgpr1_vgpr2
	s_branch .LBB99_14
	.section	.rodata,"a",@progbits
	.p2align	6, 0x0
	.amdhsa_kernel _ZL36rocblas_hemvn_kernel_upper_block_sumILi64EldPddEviT1_lS1_lT2_lT0_lPT3_i
		.amdhsa_group_segment_fixed_size 0
		.amdhsa_private_segment_fixed_size 0
		.amdhsa_kernarg_size 344
		.amdhsa_user_sgpr_count 14
		.amdhsa_user_sgpr_dispatch_ptr 0
		.amdhsa_user_sgpr_queue_ptr 0
		.amdhsa_user_sgpr_kernarg_segment_ptr 1
		.amdhsa_user_sgpr_dispatch_id 0
		.amdhsa_user_sgpr_private_segment_size 0
		.amdhsa_wavefront_size32 1
		.amdhsa_uses_dynamic_stack 0
		.amdhsa_enable_private_segment 0
		.amdhsa_system_sgpr_workgroup_id_x 1
		.amdhsa_system_sgpr_workgroup_id_y 0
		.amdhsa_system_sgpr_workgroup_id_z 1
		.amdhsa_system_sgpr_workgroup_info 0
		.amdhsa_system_vgpr_workitem_id 0
		.amdhsa_next_free_vgpr 9
		.amdhsa_next_free_sgpr 21
		.amdhsa_reserve_vcc 1
		.amdhsa_float_round_mode_32 0
		.amdhsa_float_round_mode_16_64 0
		.amdhsa_float_denorm_mode_32 3
		.amdhsa_float_denorm_mode_16_64 3
		.amdhsa_dx10_clamp 1
		.amdhsa_ieee_mode 1
		.amdhsa_fp16_overflow 0
		.amdhsa_workgroup_processor_mode 1
		.amdhsa_memory_ordered 1
		.amdhsa_forward_progress 0
		.amdhsa_shared_vgpr_count 0
		.amdhsa_exception_fp_ieee_invalid_op 0
		.amdhsa_exception_fp_denorm_src 0
		.amdhsa_exception_fp_ieee_div_zero 0
		.amdhsa_exception_fp_ieee_overflow 0
		.amdhsa_exception_fp_ieee_underflow 0
		.amdhsa_exception_fp_ieee_inexact 0
		.amdhsa_exception_int_div_zero 0
	.end_amdhsa_kernel
	.section	.text._ZL36rocblas_hemvn_kernel_upper_block_sumILi64EldPddEviT1_lS1_lT2_lT0_lPT3_i,"axG",@progbits,_ZL36rocblas_hemvn_kernel_upper_block_sumILi64EldPddEviT1_lS1_lT2_lT0_lPT3_i,comdat
.Lfunc_end99:
	.size	_ZL36rocblas_hemvn_kernel_upper_block_sumILi64EldPddEviT1_lS1_lT2_lT0_lPT3_i, .Lfunc_end99-_ZL36rocblas_hemvn_kernel_upper_block_sumILi64EldPddEviT1_lS1_lT2_lT0_lPT3_i
                                        ; -- End function
	.section	.AMDGPU.csdata,"",@progbits
; Kernel info:
; codeLenInByte = 736
; NumSgprs: 23
; NumVgprs: 9
; ScratchSize: 0
; MemoryBound: 0
; FloatMode: 240
; IeeeMode: 1
; LDSByteSize: 0 bytes/workgroup (compile time only)
; SGPRBlocks: 2
; VGPRBlocks: 1
; NumSGPRsForWavesPerEU: 23
; NumVGPRsForWavesPerEU: 9
; Occupancy: 16
; WaveLimiterHint : 0
; COMPUTE_PGM_RSRC2:SCRATCH_EN: 0
; COMPUTE_PGM_RSRC2:USER_SGPR: 14
; COMPUTE_PGM_RSRC2:TRAP_HANDLER: 0
; COMPUTE_PGM_RSRC2:TGID_X_EN: 1
; COMPUTE_PGM_RSRC2:TGID_Y_EN: 0
; COMPUTE_PGM_RSRC2:TGID_Z_EN: 1
; COMPUTE_PGM_RSRC2:TIDIG_COMP_CNT: 0
	.section	.text._ZL26rocblas_hemvn_kernel_upperILb0ELi64ELi4ELi33ELi32ELi16EidPKdPdEviT6_lT7_lT5_lS4_lS5_lS3_lT8_i,"axG",@progbits,_ZL26rocblas_hemvn_kernel_upperILb0ELi64ELi4ELi33ELi32ELi16EidPKdPdEviT6_lT7_lT5_lS4_lS5_lS3_lT8_i,comdat
	.globl	_ZL26rocblas_hemvn_kernel_upperILb0ELi64ELi4ELi33ELi32ELi16EidPKdPdEviT6_lT7_lT5_lS4_lS5_lS3_lT8_i ; -- Begin function _ZL26rocblas_hemvn_kernel_upperILb0ELi64ELi4ELi33ELi32ELi16EidPKdPdEviT6_lT7_lT5_lS4_lS5_lS3_lT8_i
	.p2align	8
	.type	_ZL26rocblas_hemvn_kernel_upperILb0ELi64ELi4ELi33ELi32ELi16EidPKdPdEviT6_lT7_lT5_lS4_lS5_lS3_lT8_i,@function
_ZL26rocblas_hemvn_kernel_upperILb0ELi64ELi4ELi33ELi32ELi16EidPKdPdEviT6_lT7_lT5_lS4_lS5_lS3_lT8_i: ; @_ZL26rocblas_hemvn_kernel_upperILb0ELi64ELi4ELi33ELi32ELi16EidPKdPdEviT6_lT7_lT5_lS4_lS5_lS3_lT8_i
; %bb.0:
	s_load_b64 s[4:5], s[0:1], 0x84
	s_add_u32 s2, s0, 0x78
	s_addc_u32 s3, s1, 0
	s_waitcnt lgkmcnt(0)
	s_lshr_b32 s6, s4, 16
	s_and_b32 s4, s4, 0xffff
	s_and_b32 s5, s5, 0xffff
	s_mul_i32 s4, s6, s4
	s_delay_alu instid0(SALU_CYCLE_1) | instskip(NEXT) | instid1(SALU_CYCLE_1)
	s_mul_i32 s4, s4, s5
	s_cmpk_lg_i32 s4, 0x100
	s_cbranch_scc1 .LBB100_126
; %bb.1:
	s_clause 0x1
	s_load_b64 s[4:5], s[0:1], 0x8
	s_load_b128 s[8:11], s[0:1], 0x50
	s_waitcnt lgkmcnt(0)
	v_cmp_eq_f64_e64 s4, s[4:5], 0
	v_cmp_eq_f64_e64 s5, s[10:11], 1.0
	s_delay_alu instid0(VALU_DEP_1) | instskip(NEXT) | instid1(SALU_CYCLE_1)
	s_and_b32 s5, s4, s5
	s_and_b32 vcc_lo, exec_lo, s5
	s_cbranch_vccnz .LBB100_126
; %bb.2:
	s_and_b32 vcc_lo, exec_lo, s4
	s_cbranch_vccnz .LBB100_126
; %bb.3:
	s_clause 0x2
	s_load_b128 s[4:7], s[0:1], 0x30
	s_load_b64 s[10:11], s[0:1], 0x40
	s_load_b32 s24, s[0:1], 0x48
	s_mul_i32 s9, s15, s9
	s_mul_hi_u32 s12, s15, s8
	s_mul_i32 s8, s15, s8
	s_add_i32 s9, s12, s9
	v_and_b32_e32 v25, 0x3ff, v0
	s_lshl_b64 s[12:13], s[8:9], 3
	s_load_b32 s9, s[0:1], 0x0
	s_load_b32 s28, s[2:3], 0x0
	v_bfe_u32 v94, v0, 10, 10
	s_waitcnt lgkmcnt(0)
	s_add_u32 s8, s6, s12
	s_addc_u32 s12, s7, s13
	s_lshl_b64 s[6:7], s[10:11], 3
	s_delay_alu instid0(SALU_CYCLE_1) | instskip(SKIP_2) | instid1(SALU_CYCLE_1)
	s_add_u32 s6, s8, s6
	s_addc_u32 s7, s12, s7
	s_lshl_b32 s16, s14, 6
	v_add_nc_u32_e32 v24, s16, v25
	s_ashr_i32 s25, s9, 31
	s_add_i32 s3, s28, -1
	s_lshr_b32 s2, s25, 26
	s_delay_alu instid0(VALU_DEP_1) | instskip(SKIP_1) | instid1(SALU_CYCLE_1)
	v_mul_lo_u32 v1, v24, s24
	s_add_i32 s2, s9, s2
	s_and_not1_b32 s2, s2, 63
	s_delay_alu instid0(SALU_CYCLE_1) | instskip(SKIP_2) | instid1(VALU_DEP_2)
	s_sub_i32 s29, s9, s2
	v_cmp_eq_u32_e64 s2, 0, v94
	s_cmp_eq_u32 s14, s3
	v_ashrrev_i32_e32 v2, 31, v1
	s_cselect_b32 s10, s29, 0
	s_delay_alu instid0(VALU_DEP_1) | instskip(NEXT) | instid1(VALU_DEP_1)
	v_lshlrev_b64 v[1:2], 3, v[1:2]
	v_add_co_u32 v12, vcc_lo, s6, v1
	s_delay_alu instid0(VALU_DEP_2)
	v_add_co_ci_u32_e32 v13, vcc_lo, s7, v2, vcc_lo
	s_and_saveexec_b32 s3, s2
	s_cbranch_execz .LBB100_7
; %bb.4:
	v_cmp_gt_i32_e32 vcc_lo, s10, v25
	s_cmp_eq_u32 s10, 0
	v_mov_b32_e32 v0, 0
	v_mov_b32_e32 v1, 0
	s_cselect_b32 s6, -1, 0
	s_delay_alu instid0(SALU_CYCLE_1) | instskip(NEXT) | instid1(SALU_CYCLE_1)
	s_or_b32 s7, s6, vcc_lo
	s_and_saveexec_b32 s6, s7
	s_cbranch_execz .LBB100_6
; %bb.5:
	global_load_b64 v[0:1], v[12:13], off
.LBB100_6:
	s_or_b32 exec_lo, exec_lo, s6
	v_lshlrev_b32_e32 v2, 3, v25
	s_waitcnt vmcnt(0)
	ds_store_b64 v2, v[0:1] offset:9088
.LBB100_7:
	s_or_b32 exec_lo, exec_lo, s3
	s_clause 0x1
	s_load_b128 s[20:23], s[0:1], 0x18
	s_load_b32 s12, s[0:1], 0x28
	v_lshl_add_u32 v22, v94, 6, v25
	v_and_b32_e32 v0, 31, v25
	s_mul_i32 s3, s15, s5
	s_mul_hi_u32 s5, s15, s4
	s_mul_i32 s4, s15, s4
	v_lshrrev_b32_e32 v11, 5, v22
	s_add_i32 s5, s5, s3
	v_lshlrev_b32_e32 v18, 3, v0
	s_lshl_b64 s[4:5], s[4:5], 3
	s_waitcnt lgkmcnt(0)
	s_add_u32 s3, s20, s4
	v_mad_u64_u32 v[1:2], null, v11, s12, v[0:1]
	s_addc_u32 s6, s21, s5
	s_lshl_b64 s[4:5], s[22:23], 3
	s_delay_alu instid0(SALU_CYCLE_1) | instskip(SKIP_2) | instid1(VALU_DEP_1)
	s_add_u32 s3, s3, s4
	s_addc_u32 s7, s6, s5
	s_ashr_i32 s17, s16, 31
	v_ashrrev_i32_e32 v2, 31, v1
	s_lshl_b64 s[4:5], s[16:17], 3
	s_mul_i32 s6, s16, s12
	s_add_u32 s3, s3, s4
	s_addc_u32 s8, s7, s5
	s_ashr_i32 s7, s6, 31
	v_lshlrev_b64 v[14:15], 3, v[1:2]
	s_lshl_b64 s[4:5], s[6:7], 3
	s_delay_alu instid0(SALU_CYCLE_1) | instskip(SKIP_2) | instid1(VALU_DEP_1)
	s_add_u32 s4, s4, s3
	s_addc_u32 s5, s5, s8
	s_cmp_eq_u32 s10, 0
	v_add_co_u32 v3, vcc_lo, s4, v14
	s_cselect_b32 s30, -1, 0
	s_cmp_lg_u32 s10, 0
	v_cmp_gt_i32_e64 s3, s10, v0
	v_add_co_ci_u32_e32 v4, vcc_lo, s5, v15, vcc_lo
	s_cselect_b32 s17, -1, 0
	s_delay_alu instid0(SALU_CYCLE_1)
	s_and_b32 vcc_lo, exec_lo, s17
	s_cbranch_vccz .LBB100_17
; %bb.8:
	v_sub_co_u32 v1, vcc_lo, v3, v18
	s_ashr_i32 s11, s10, 31
	v_subrev_co_ci_u32_e32 v2, vcc_lo, 0, v4, vcc_lo
	s_lshl_b64 s[4:5], s[10:11], 3
	v_mov_b32_e32 v7, 0
	v_add_co_u32 v1, vcc_lo, v1, s4
	s_delay_alu instid0(VALU_DEP_3) | instskip(SKIP_1) | instid1(VALU_DEP_3)
	v_add_co_ci_u32_e32 v2, vcc_lo, s5, v2, vcc_lo
	v_mov_b32_e32 v8, 0
	v_add_co_u32 v1, vcc_lo, v1, -8
	s_delay_alu instid0(VALU_DEP_3) | instskip(NEXT) | instid1(VALU_DEP_3)
	v_add_co_ci_u32_e32 v2, vcc_lo, -1, v2, vcc_lo
	v_dual_mov_b32 v5, v7 :: v_dual_mov_b32 v6, v8
	s_delay_alu instid0(VALU_DEP_3) | instskip(NEXT) | instid1(VALU_DEP_3)
	v_cndmask_b32_e64 v1, v1, v3, s3
	v_cndmask_b32_e64 v2, v2, v4, s3
	s_mov_b32 s6, exec_lo
	v_cmpx_gt_i32_e64 s10, v11
	s_cbranch_execz .LBB100_10
; %bb.9:
	global_load_b64 v[5:6], v[1:2], off
.LBB100_10:
	s_or_b32 exec_lo, exec_lo, s6
	v_mul_u32_u24_e32 v9, 33, v11
	v_add_nc_u32_e32 v10, 8, v11
	s_mov_b32 s6, exec_lo
	s_delay_alu instid0(VALU_DEP_2)
	v_add_lshl_u32 v16, v9, v0, 3
	s_waitcnt vmcnt(0)
	ds_store_b64 v16, v[5:6]
	v_cmpx_gt_i32_e64 s10, v10
	s_cbranch_execz .LBB100_12
; %bb.11:
	s_lshl_b32 s18, s12, 3
	s_delay_alu instid0(SALU_CYCLE_1) | instskip(NEXT) | instid1(SALU_CYCLE_1)
	s_ashr_i32 s19, s18, 31
	s_lshl_b64 s[18:19], s[18:19], 3
	s_delay_alu instid0(SALU_CYCLE_1)
	v_add_co_u32 v5, vcc_lo, v1, s18
	v_add_co_ci_u32_e32 v6, vcc_lo, s19, v2, vcc_lo
	global_load_b64 v[7:8], v[5:6], off
.LBB100_12:
	s_or_b32 exec_lo, exec_lo, s6
	v_mov_b32_e32 v5, 0
	v_dual_mov_b32 v6, 0 :: v_dual_add_nc_u32 v9, 16, v11
	s_waitcnt vmcnt(0)
	ds_store_b64 v16, v[7:8] offset:2112
	v_cmp_gt_i32_e32 vcc_lo, s10, v9
	v_dual_mov_b32 v10, v6 :: v_dual_mov_b32 v9, v5
	s_and_saveexec_b32 s6, vcc_lo
	s_cbranch_execz .LBB100_14
; %bb.13:
	s_lshl_b32 s18, s12, 4
	s_delay_alu instid0(SALU_CYCLE_1) | instskip(NEXT) | instid1(SALU_CYCLE_1)
	s_ashr_i32 s19, s18, 31
	s_lshl_b64 s[18:19], s[18:19], 3
	s_delay_alu instid0(SALU_CYCLE_1)
	v_add_co_u32 v7, vcc_lo, v1, s18
	v_add_co_ci_u32_e32 v8, vcc_lo, s19, v2, vcc_lo
	global_load_b64 v[9:10], v[7:8], off
.LBB100_14:
	s_or_b32 exec_lo, exec_lo, s6
	v_add_nc_u32_e32 v7, 24, v11
	s_mov_b32 s6, exec_lo
	s_waitcnt vmcnt(0)
	ds_store_b64 v16, v[9:10] offset:4224
	v_cmpx_gt_i32_e64 s10, v7
	s_cbranch_execz .LBB100_16
; %bb.15:
	s_mul_i32 s18, s12, 24
	s_delay_alu instid0(SALU_CYCLE_1) | instskip(NEXT) | instid1(SALU_CYCLE_1)
	s_ashr_i32 s19, s18, 31
	s_lshl_b64 s[18:19], s[18:19], 3
	s_delay_alu instid0(SALU_CYCLE_1)
	v_add_co_u32 v5, vcc_lo, v1, s18
	v_add_co_ci_u32_e32 v6, vcc_lo, s19, v2, vcc_lo
	global_load_b64 v[5:6], v[5:6], off
.LBB100_16:
	s_or_b32 exec_lo, exec_lo, s6
	v_add_co_u32 v1, vcc_lo, v1, v18
	v_add_co_ci_u32_e32 v2, vcc_lo, 0, v2, vcc_lo
	s_waitcnt vmcnt(0)
	ds_store_b64 v16, v[5:6] offset:6336
	v_sub_co_u32 v1, vcc_lo, v1, s4
	v_subrev_co_ci_u32_e32 v2, vcc_lo, s5, v2, vcc_lo
	s_delay_alu instid0(VALU_DEP_2) | instskip(NEXT) | instid1(VALU_DEP_2)
	v_add_co_u32 v1, vcc_lo, v1, 8
	v_add_co_ci_u32_e32 v2, vcc_lo, 0, v2, vcc_lo
	s_delay_alu instid0(VALU_DEP_2) | instskip(NEXT) | instid1(VALU_DEP_2)
	v_cndmask_b32_e64 v1, v1, v3, s3
	v_cndmask_b32_e64 v2, v2, v4, s3
	v_mul_u32_u24_e32 v19, 33, v11
	s_branch .LBB100_19
.LBB100_17:
                                        ; implicit-def: $vgpr1_vgpr2
	v_mul_u32_u24_e32 v19, 33, v11
	s_cbranch_execz .LBB100_19
; %bb.18:
	s_lshl_b32 s4, s12, 3
	s_ashr_i32 s13, s12, 31
	s_ashr_i32 s5, s4, 31
	v_add_lshl_u32 v20, v19, v0, 3
	s_lshl_b64 s[4:5], s[4:5], 3
	s_delay_alu instid0(SALU_CYCLE_1)
	v_add_co_u32 v1, vcc_lo, v3, s4
	v_add_co_ci_u32_e32 v2, vcc_lo, s5, v4, vcc_lo
	s_lshl_b64 s[4:5], s[12:13], 6
	s_delay_alu instid0(VALU_DEP_2) | instid1(SALU_CYCLE_1)
	v_add_co_u32 v5, vcc_lo, v1, s4
	s_delay_alu instid0(VALU_DEP_2) | instskip(NEXT) | instid1(VALU_DEP_2)
	v_add_co_ci_u32_e32 v6, vcc_lo, s5, v2, vcc_lo
	v_add_co_u32 v7, vcc_lo, v5, s4
	s_delay_alu instid0(VALU_DEP_2)
	v_add_co_ci_u32_e32 v8, vcc_lo, s5, v6, vcc_lo
	s_clause 0x1
	global_load_b64 v[9:10], v[3:4], off
	global_load_b64 v[16:17], v[1:2], off
	;; [unrolled: 1-line block ×4, first 2 shown]
	v_dual_mov_b32 v1, v3 :: v_dual_mov_b32 v2, v4
	s_waitcnt vmcnt(3)
	ds_store_b64 v20, v[9:10]
	s_waitcnt vmcnt(2)
	ds_store_b64 v20, v[16:17] offset:2112
	s_waitcnt vmcnt(1)
	ds_store_b64 v20, v[5:6] offset:4224
	;; [unrolled: 2-line block ×3, first 2 shown]
.LBB100_19:
	v_lshlrev_b32_e32 v3, 2, v11
	v_mul_u32_u24_e32 v20, 33, v0
	v_mul_u32_u24_e32 v4, 0x84, v11
	s_waitcnt lgkmcnt(0)
	s_barrier
	v_cmp_gt_u32_e64 s4, v3, v0
	v_add_lshl_u32 v31, v3, v20, 3
	buffer_gl0_inv
	s_and_saveexec_b32 s3, s4
	s_cbranch_execz .LBB100_21
; %bb.20:
	v_add_lshl_u32 v5, v4, v0, 3
	ds_load_b64 v[5:6], v5
	s_waitcnt lgkmcnt(0)
	ds_store_b64 v31, v[5:6]
.LBB100_21:
	s_or_b32 exec_lo, exec_lo, s3
	v_cmp_ge_u32_e64 s5, v3, v0
	s_delay_alu instid0(VALU_DEP_1)
	s_and_saveexec_b32 s3, s5
	s_cbranch_execz .LBB100_23
; %bb.22:
	v_or_b32_e32 v5, 1, v3
	s_delay_alu instid0(VALU_DEP_1) | instskip(NEXT) | instid1(VALU_DEP_1)
	v_mul_u32_u24_e32 v5, 33, v5
	v_add_lshl_u32 v5, v5, v0, 3
	ds_load_b64 v[5:6], v5
	s_waitcnt lgkmcnt(0)
	ds_store_b64 v31, v[5:6] offset:8
.LBB100_23:
	s_or_b32 exec_lo, exec_lo, s3
	v_or_b32_e32 v5, 2, v3
	s_delay_alu instid0(VALU_DEP_1) | instskip(NEXT) | instid1(VALU_DEP_1)
	v_cmp_gt_u32_e64 s6, v5, v0
	s_and_saveexec_b32 s3, s6
	s_cbranch_execz .LBB100_25
; %bb.24:
	v_mul_u32_u24_e32 v5, 33, v5
	s_delay_alu instid0(VALU_DEP_1)
	v_add_lshl_u32 v5, v5, v0, 3
	ds_load_b64 v[5:6], v5
	s_waitcnt lgkmcnt(0)
	ds_store_b64 v31, v[5:6] offset:16
.LBB100_25:
	s_or_b32 exec_lo, exec_lo, s3
	v_or_b32_e32 v5, 3, v3
	s_delay_alu instid0(VALU_DEP_1) | instskip(SKIP_1) | instid1(VALU_DEP_2)
	v_mad_u32_u24 v6, v5, 33, v0
	v_cmp_gt_u32_e64 s7, v5, v0
	v_lshlrev_b32_e32 v21, 3, v6
	s_delay_alu instid0(VALU_DEP_2)
	s_and_saveexec_b32 s3, s7
	s_cbranch_execz .LBB100_27
; %bb.26:
	ds_load_b64 v[5:6], v21
	s_waitcnt lgkmcnt(0)
	ds_store_b64 v31, v[5:6] offset:24
.LBB100_27:
	s_or_b32 exec_lo, exec_lo, s3
	v_add_lshl_u32 v29, v4, v0, 3
	v_lshlrev_b32_e32 v32, 3, v3
	v_dual_mov_b32 v26, 0 :: v_dual_lshlrev_b32 v23, 3, v20
	s_waitcnt lgkmcnt(0)
	s_barrier
	buffer_gl0_inv
	v_mov_b32_e32 v27, 0
	ds_load_b64 v[7:8], v29
	ds_load_b128 v[3:6], v32 offset:9088
	v_add_nc_u32_e32 v30, 0xfffffdf0, v21
	v_add_lshl_u32 v28, v11, v20, 3
	v_cmp_gt_u32_e64 s3, 32, v22
	s_waitcnt lgkmcnt(0)
	v_fma_f64 v[3:4], v[7:8], v[3:4], 0
	ds_load_2addr_b64 v[7:10], v30 offset1:33
	s_waitcnt lgkmcnt(0)
	v_fma_f64 v[7:8], v[7:8], v[5:6], v[3:4]
	ds_load_b128 v[3:6], v32 offset:9104
	ds_load_b64 v[16:17], v21
	s_waitcnt lgkmcnt(0)
	s_barrier
	buffer_gl0_inv
	v_fma_f64 v[3:4], v[9:10], v[3:4], v[7:8]
	s_delay_alu instid0(VALU_DEP_1)
	v_fma_f64 v[3:4], v[16:17], v[5:6], v[3:4]
	ds_store_b64 v28, v[3:4]
	s_waitcnt lgkmcnt(0)
	s_barrier
	buffer_gl0_inv
	s_and_saveexec_b32 s8, s3
	s_cbranch_execz .LBB100_29
; %bb.28:
	ds_load_2addr_b64 v[3:6], v23 offset1:1
	ds_load_2addr_b64 v[7:10], v23 offset0:2 offset1:3
	s_waitcnt lgkmcnt(1)
	v_add_f64 v[3:4], v[3:4], v[5:6]
	s_waitcnt lgkmcnt(0)
	s_delay_alu instid0(VALU_DEP_1) | instskip(NEXT) | instid1(VALU_DEP_1)
	v_add_f64 v[3:4], v[3:4], v[7:8]
	v_add_f64 v[16:17], v[3:4], v[9:10]
	ds_load_2addr_b64 v[3:6], v23 offset0:4 offset1:5
	ds_load_2addr_b64 v[7:10], v23 offset0:6 offset1:7
	s_waitcnt lgkmcnt(1)
	v_add_f64 v[3:4], v[16:17], v[3:4]
	s_delay_alu instid0(VALU_DEP_1) | instskip(SKIP_1) | instid1(VALU_DEP_1)
	v_add_f64 v[3:4], v[3:4], v[5:6]
	s_waitcnt lgkmcnt(0)
	v_add_f64 v[3:4], v[3:4], v[7:8]
	s_delay_alu instid0(VALU_DEP_1)
	v_add_f64 v[26:27], v[3:4], v[9:10]
.LBB100_29:
	s_or_b32 exec_lo, exec_lo, s8
	s_lshl_b32 s20, s12, 5
	s_delay_alu instid0(SALU_CYCLE_1)
	s_ashr_i32 s21, s20, 31
	s_barrier
	s_lshl_b64 s[18:19], s[20:21], 3
	buffer_gl0_inv
	v_add_co_u32 v5, vcc_lo, v1, s18
	v_add_co_ci_u32_e32 v6, vcc_lo, s19, v2, vcc_lo
	s_delay_alu instid0(VALU_DEP_2) | instskip(NEXT) | instid1(VALU_DEP_2)
	v_add_co_u32 v3, vcc_lo, 0x100, v5
	v_add_co_ci_u32_e32 v4, vcc_lo, 0, v6, vcc_lo
	s_and_b32 vcc_lo, exec_lo, s17
	s_cbranch_vccz .LBB100_39
; %bb.30:
	s_delay_alu instid0(VALU_DEP_2)
	v_sub_co_u32 v1, vcc_lo, v3, v18
	s_ashr_i32 s11, s10, 31
	v_subrev_co_ci_u32_e32 v2, vcc_lo, 0, v4, vcc_lo
	s_lshl_b64 s[22:23], s[10:11], 3
	v_or_b32_e32 v7, 32, v0
	v_add_co_u32 v1, vcc_lo, v1, s22
	s_delay_alu instid0(VALU_DEP_3) | instskip(SKIP_1) | instid1(VALU_DEP_2)
	v_add_co_ci_u32_e32 v2, vcc_lo, s23, v2, vcc_lo
	s_sub_i32 s11, s10, 32
	v_add_co_u32 v1, vcc_lo, 0xfffffef8, v1
	s_delay_alu instid0(VALU_DEP_2)
	v_add_co_ci_u32_e32 v2, vcc_lo, -1, v2, vcc_lo
	v_cmp_gt_i32_e32 vcc_lo, s10, v7
	v_mov_b32_e32 v9, 0
	v_mov_b32_e32 v10, 0
	s_mov_b32 s13, exec_lo
	v_dual_cndmask_b32 v1, v1, v3 :: v_dual_cndmask_b32 v2, v2, v4
	s_delay_alu instid0(VALU_DEP_2)
	v_dual_mov_b32 v7, v9 :: v_dual_mov_b32 v8, v10
	v_cmpx_gt_i32_e64 s11, v11
	s_cbranch_execz .LBB100_32
; %bb.31:
	global_load_b64 v[7:8], v[1:2], off
.LBB100_32:
	s_or_b32 exec_lo, exec_lo, s13
	v_add_nc_u32_e32 v16, 8, v11
	v_add_lshl_u32 v33, v19, v0, 3
	s_mov_b32 s13, exec_lo
	s_waitcnt vmcnt(0)
	ds_store_b64 v33, v[7:8]
	v_cmpx_gt_i32_e64 s11, v16
	s_cbranch_execz .LBB100_34
; %bb.33:
	s_lshl_b32 s26, s12, 3
	s_delay_alu instid0(SALU_CYCLE_1) | instskip(NEXT) | instid1(SALU_CYCLE_1)
	s_ashr_i32 s27, s26, 31
	s_lshl_b64 s[26:27], s[26:27], 3
	s_delay_alu instid0(SALU_CYCLE_1) | instskip(NEXT) | instid1(VALU_DEP_1)
	v_add_co_u32 v7, s8, v1, s26
	v_add_co_ci_u32_e64 v8, s8, s27, v2, s8
	global_load_b64 v[9:10], v[7:8], off
.LBB100_34:
	s_or_b32 exec_lo, exec_lo, s13
	v_dual_mov_b32 v7, 0 :: v_dual_add_nc_u32 v16, 16, v11
	v_mov_b32_e32 v8, 0
	s_waitcnt vmcnt(0)
	ds_store_b64 v33, v[9:10] offset:2112
	v_cmp_gt_i32_e64 s8, s11, v16
	v_dual_mov_b32 v17, v8 :: v_dual_mov_b32 v16, v7
	s_delay_alu instid0(VALU_DEP_2)
	s_and_saveexec_b32 s13, s8
	s_cbranch_execz .LBB100_36
; %bb.35:
	s_lshl_b32 s26, s12, 4
	s_delay_alu instid0(SALU_CYCLE_1) | instskip(NEXT) | instid1(SALU_CYCLE_1)
	s_ashr_i32 s27, s26, 31
	s_lshl_b64 s[26:27], s[26:27], 3
	s_delay_alu instid0(SALU_CYCLE_1) | instskip(NEXT) | instid1(VALU_DEP_1)
	v_add_co_u32 v9, s8, v1, s26
	v_add_co_ci_u32_e64 v10, s8, s27, v2, s8
	global_load_b64 v[16:17], v[9:10], off
.LBB100_36:
	s_or_b32 exec_lo, exec_lo, s13
	v_add_nc_u32_e32 v9, 24, v11
	s_waitcnt vmcnt(0)
	ds_store_b64 v33, v[16:17] offset:4224
	v_cmp_gt_i32_e64 s8, s11, v9
	s_delay_alu instid0(VALU_DEP_1)
	s_and_saveexec_b32 s11, s8
	s_cbranch_execz .LBB100_38
; %bb.37:
	s_mul_i32 s26, s12, 24
	s_delay_alu instid0(SALU_CYCLE_1) | instskip(NEXT) | instid1(SALU_CYCLE_1)
	s_ashr_i32 s27, s26, 31
	s_lshl_b64 s[26:27], s[26:27], 3
	s_delay_alu instid0(SALU_CYCLE_1) | instskip(NEXT) | instid1(VALU_DEP_1)
	v_add_co_u32 v7, s8, v1, s26
	v_add_co_ci_u32_e64 v8, s8, s27, v2, s8
	global_load_b64 v[7:8], v[7:8], off
.LBB100_38:
	s_or_b32 exec_lo, exec_lo, s11
	v_add_co_u32 v1, s8, v1, v18
	s_delay_alu instid0(VALU_DEP_1) | instskip(SKIP_3) | instid1(VALU_DEP_1)
	v_add_co_ci_u32_e64 v2, s8, 0, v2, s8
	s_waitcnt vmcnt(0)
	ds_store_b64 v33, v[7:8] offset:6336
	v_sub_co_u32 v1, s8, v1, s22
	v_subrev_co_ci_u32_e64 v2, s8, s23, v2, s8
	s_delay_alu instid0(VALU_DEP_2) | instskip(NEXT) | instid1(VALU_DEP_1)
	v_add_co_u32 v1, s8, 0x108, v1
	v_add_co_ci_u32_e64 v2, s8, 0, v2, s8
	s_delay_alu instid0(VALU_DEP_1)
	v_dual_cndmask_b32 v1, v1, v3 :: v_dual_cndmask_b32 v2, v2, v4
	s_branch .LBB100_41
.LBB100_39:
                                        ; implicit-def: $vgpr1_vgpr2
	s_cbranch_execz .LBB100_41
; %bb.40:
	s_lshl_b32 s22, s12, 3
	s_ashr_i32 s13, s12, 31
	s_ashr_i32 s23, s22, 31
	v_add_lshl_u32 v33, v19, v0, 3
	s_lshl_b64 s[22:23], s[22:23], 3
	s_delay_alu instid0(SALU_CYCLE_1)
	v_add_co_u32 v1, vcc_lo, v5, s22
	v_add_co_ci_u32_e32 v2, vcc_lo, s23, v6, vcc_lo
	s_lshl_b64 s[22:23], s[12:13], 6
	s_delay_alu instid0(VALU_DEP_2) | instid1(SALU_CYCLE_1)
	v_add_co_u32 v7, vcc_lo, v1, s22
	s_delay_alu instid0(VALU_DEP_2) | instskip(NEXT) | instid1(VALU_DEP_2)
	v_add_co_ci_u32_e32 v8, vcc_lo, s23, v2, vcc_lo
	v_add_co_u32 v9, vcc_lo, v7, s22
	s_delay_alu instid0(VALU_DEP_2)
	v_add_co_ci_u32_e32 v10, vcc_lo, s23, v8, vcc_lo
	s_clause 0x3
	global_load_b64 v[5:6], v[5:6], off offset:256
	global_load_b64 v[16:17], v[1:2], off offset:256
	;; [unrolled: 1-line block ×4, first 2 shown]
	v_dual_mov_b32 v1, v3 :: v_dual_mov_b32 v2, v4
	s_waitcnt vmcnt(3)
	ds_store_b64 v33, v[5:6]
	s_waitcnt vmcnt(2)
	ds_store_b64 v33, v[16:17] offset:2112
	s_waitcnt vmcnt(1)
	ds_store_b64 v33, v[7:8] offset:4224
	;; [unrolled: 2-line block ×3, first 2 shown]
.LBB100_41:
	s_waitcnt lgkmcnt(0)
	s_barrier
	buffer_gl0_inv
	s_and_saveexec_b32 s8, s4
	s_cbranch_execnz .LBB100_58
; %bb.42:
	s_or_b32 exec_lo, exec_lo, s8
	s_and_saveexec_b32 s4, s5
	s_cbranch_execnz .LBB100_59
.LBB100_43:
	s_or_b32 exec_lo, exec_lo, s4
	s_and_saveexec_b32 s4, s6
	s_cbranch_execnz .LBB100_60
.LBB100_44:
	s_or_b32 exec_lo, exec_lo, s4
	v_add_nc_u32_e32 v32, 0x2380, v32
	s_and_saveexec_b32 s4, s7
	s_cbranch_execz .LBB100_46
.LBB100_45:
	ds_load_b64 v[3:4], v21
	s_waitcnt lgkmcnt(0)
	ds_store_b64 v31, v[3:4] offset:24
.LBB100_46:
	s_or_b32 exec_lo, exec_lo, s4
	s_waitcnt lgkmcnt(0)
	s_barrier
	buffer_gl0_inv
	ds_load_b64 v[7:8], v29
	ds_load_b128 v[3:6], v32 offset:256
	v_cmp_eq_u32_e64 s4, 1, v11
	s_waitcnt lgkmcnt(0)
	v_fma_f64 v[3:4], v[7:8], v[3:4], 0
	ds_load_2addr_b64 v[7:10], v30 offset1:33
	s_waitcnt lgkmcnt(0)
	v_fma_f64 v[7:8], v[7:8], v[5:6], v[3:4]
	ds_load_b128 v[3:6], v32 offset:272
	ds_load_b64 v[16:17], v21
	s_waitcnt lgkmcnt(0)
	s_barrier
	buffer_gl0_inv
	v_fma_f64 v[3:4], v[9:10], v[3:4], v[7:8]
	s_delay_alu instid0(VALU_DEP_1)
	v_fma_f64 v[3:4], v[16:17], v[5:6], v[3:4]
	ds_store_b64 v28, v[3:4]
	s_waitcnt lgkmcnt(0)
	s_barrier
	buffer_gl0_inv
	s_and_saveexec_b32 s5, s4
	s_cbranch_execz .LBB100_48
; %bb.47:
	ds_load_2addr_b64 v[3:6], v23 offset1:1
	ds_load_2addr_b64 v[7:10], v23 offset0:2 offset1:3
	s_waitcnt lgkmcnt(1)
	v_add_f64 v[3:4], v[3:4], v[5:6]
	s_waitcnt lgkmcnt(0)
	s_delay_alu instid0(VALU_DEP_1) | instskip(NEXT) | instid1(VALU_DEP_1)
	v_add_f64 v[3:4], v[3:4], v[7:8]
	v_add_f64 v[16:17], v[3:4], v[9:10]
	ds_load_2addr_b64 v[3:6], v23 offset0:4 offset1:5
	ds_load_2addr_b64 v[7:10], v23 offset0:6 offset1:7
	s_waitcnt lgkmcnt(1)
	v_add_f64 v[3:4], v[16:17], v[3:4]
	s_delay_alu instid0(VALU_DEP_1) | instskip(SKIP_1) | instid1(VALU_DEP_1)
	v_add_f64 v[3:4], v[3:4], v[5:6]
	s_waitcnt lgkmcnt(0)
	v_add_f64 v[3:4], v[3:4], v[7:8]
	s_delay_alu instid0(VALU_DEP_1)
	v_add_f64 v[26:27], v[3:4], v[9:10]
.LBB100_48:
	s_or_b32 exec_lo, exec_lo, s5
	v_add_co_u32 v3, vcc_lo, 0xffffff00, v1
	v_add_co_ci_u32_e32 v4, vcc_lo, -1, v2, vcc_lo
	s_and_b32 vcc_lo, exec_lo, s17
	s_barrier
	buffer_gl0_inv
	s_cbranch_vccz .LBB100_61
; %bb.49:
	v_sub_co_u32 v5, vcc_lo, v1, v18
	s_ashr_i32 s11, s10, 31
	v_subrev_co_ci_u32_e32 v6, vcc_lo, 0, v2, vcc_lo
	s_lshl_b64 s[6:7], s[10:11], 3
	s_sub_i32 s8, s10, 32
	v_add_co_u32 v5, vcc_lo, v5, s6
	s_delay_alu instid0(VALU_DEP_2) | instskip(SKIP_1) | instid1(VALU_DEP_2)
	v_add_co_ci_u32_e32 v6, vcc_lo, s7, v6, vcc_lo
	s_mov_b32 s11, exec_lo
	v_add_co_u32 v5, vcc_lo, 0xfffffef8, v5
	s_delay_alu instid0(VALU_DEP_2) | instskip(SKIP_2) | instid1(VALU_DEP_4)
	v_add_co_ci_u32_e32 v6, vcc_lo, -1, v6, vcc_lo
	v_cmp_gt_i32_e32 vcc_lo, s10, v0
	v_mov_b32_e32 v9, 0
	v_dual_mov_b32 v10, 0 :: v_dual_cndmask_b32 v5, v5, v3
	s_delay_alu instid0(VALU_DEP_2) | instskip(NEXT) | instid1(VALU_DEP_2)
	v_dual_cndmask_b32 v6, v6, v4 :: v_dual_mov_b32 v7, v9
	v_mov_b32_e32 v8, v10
	v_cmpx_gt_i32_e64 s8, v11
	s_cbranch_execz .LBB100_51
; %bb.50:
	global_load_b64 v[7:8], v[5:6], off
.LBB100_51:
	s_or_b32 exec_lo, exec_lo, s11
	v_add_nc_u32_e32 v31, 8, v11
	v_add_lshl_u32 v34, v19, v0, 3
	s_mov_b32 s11, exec_lo
	s_waitcnt vmcnt(0)
	ds_store_b64 v34, v[7:8]
	v_cmpx_gt_i32_e64 s8, v31
	s_cbranch_execz .LBB100_53
; %bb.52:
	s_lshl_b32 s22, s12, 3
	s_delay_alu instid0(SALU_CYCLE_1) | instskip(NEXT) | instid1(SALU_CYCLE_1)
	s_ashr_i32 s23, s22, 31
	s_lshl_b64 s[22:23], s[22:23], 3
	s_delay_alu instid0(SALU_CYCLE_1) | instskip(NEXT) | instid1(VALU_DEP_1)
	v_add_co_u32 v7, s5, v5, s22
	v_add_co_ci_u32_e64 v8, s5, s23, v6, s5
	global_load_b64 v[9:10], v[7:8], off
.LBB100_53:
	s_or_b32 exec_lo, exec_lo, s11
	v_mov_b32_e32 v7, 0
	v_dual_mov_b32 v8, 0 :: v_dual_add_nc_u32 v33, 16, v11
	s_mov_b32 s11, exec_lo
	s_waitcnt vmcnt(0)
	ds_store_b64 v34, v[9:10] offset:2112
	v_dual_mov_b32 v17, v8 :: v_dual_mov_b32 v16, v7
	v_cmpx_gt_i32_e64 s8, v33
	s_cbranch_execz .LBB100_55
; %bb.54:
	s_lshl_b32 s22, s12, 4
	s_delay_alu instid0(SALU_CYCLE_1) | instskip(NEXT) | instid1(SALU_CYCLE_1)
	s_ashr_i32 s23, s22, 31
	s_lshl_b64 s[22:23], s[22:23], 3
	s_delay_alu instid0(SALU_CYCLE_1) | instskip(NEXT) | instid1(VALU_DEP_1)
	v_add_co_u32 v9, s5, v5, s22
	v_add_co_ci_u32_e64 v10, s5, s23, v6, s5
	global_load_b64 v[16:17], v[9:10], off
.LBB100_55:
	s_or_b32 exec_lo, exec_lo, s11
	v_add_nc_u32_e32 v9, 24, v11
	s_waitcnt vmcnt(0)
	ds_store_b64 v34, v[16:17] offset:4224
	v_cmp_gt_i32_e64 s5, s8, v9
	s_delay_alu instid0(VALU_DEP_1)
	s_and_saveexec_b32 s8, s5
	s_cbranch_execz .LBB100_57
; %bb.56:
	s_mul_i32 s22, s12, 24
	s_delay_alu instid0(SALU_CYCLE_1) | instskip(NEXT) | instid1(SALU_CYCLE_1)
	s_ashr_i32 s23, s22, 31
	s_lshl_b64 s[22:23], s[22:23], 3
	s_delay_alu instid0(SALU_CYCLE_1) | instskip(NEXT) | instid1(VALU_DEP_1)
	v_add_co_u32 v7, s5, v5, s22
	v_add_co_ci_u32_e64 v8, s5, s23, v6, s5
	global_load_b64 v[7:8], v[7:8], off
.LBB100_57:
	s_or_b32 exec_lo, exec_lo, s8
	v_add_co_u32 v5, s5, v5, v18
	s_delay_alu instid0(VALU_DEP_1) | instskip(SKIP_3) | instid1(VALU_DEP_1)
	v_add_co_ci_u32_e64 v6, s5, 0, v6, s5
	s_waitcnt vmcnt(0)
	ds_store_b64 v34, v[7:8] offset:6336
	v_sub_co_u32 v5, s5, v5, s6
	v_subrev_co_ci_u32_e64 v6, s5, s7, v6, s5
	s_delay_alu instid0(VALU_DEP_2) | instskip(NEXT) | instid1(VALU_DEP_1)
	v_add_co_u32 v5, s5, v5, 8
	v_add_co_ci_u32_e64 v6, s5, 0, v6, s5
	s_delay_alu instid0(VALU_DEP_1)
	v_dual_cndmask_b32 v16, v5, v3 :: v_dual_cndmask_b32 v17, v6, v4
	s_branch .LBB100_63
.LBB100_58:
	ds_load_b64 v[3:4], v29
	s_waitcnt lgkmcnt(0)
	ds_store_b64 v31, v[3:4]
	s_or_b32 exec_lo, exec_lo, s8
	s_and_saveexec_b32 s4, s5
	s_cbranch_execz .LBB100_43
.LBB100_59:
	ds_load_b64 v[3:4], v30
	s_waitcnt lgkmcnt(0)
	ds_store_b64 v31, v[3:4] offset:8
	s_or_b32 exec_lo, exec_lo, s4
	s_and_saveexec_b32 s4, s6
	s_cbranch_execz .LBB100_44
.LBB100_60:
	ds_load_b64 v[3:4], v30 offset:264
	s_waitcnt lgkmcnt(0)
	ds_store_b64 v31, v[3:4] offset:16
	s_or_b32 exec_lo, exec_lo, s4
	v_add_nc_u32_e32 v32, 0x2380, v32
	s_and_saveexec_b32 s4, s7
	s_cbranch_execnz .LBB100_45
	s_branch .LBB100_46
.LBB100_61:
                                        ; implicit-def: $vgpr16_vgpr17
                                        ; implicit-def: $vgpr31
                                        ; implicit-def: $vgpr33
                                        ; implicit-def: $vgpr9
	s_cbranch_execz .LBB100_63
; %bb.62:
	s_lshl_b32 s6, s12, 3
	s_ashr_i32 s13, s12, 31
	s_ashr_i32 s7, s6, 31
	v_mov_b32_e32 v17, v4
	s_lshl_b64 s[6:7], s[6:7], 3
	v_add_lshl_u32 v0, v19, v0, 3
	v_add_co_u32 v5, vcc_lo, v1, s6
	v_add_co_ci_u32_e32 v6, vcc_lo, s7, v2, vcc_lo
	s_lshl_b64 s[6:7], s[12:13], 6
	v_dual_mov_b32 v16, v3 :: v_dual_add_nc_u32 v31, 8, v11
	s_delay_alu instid0(VALU_DEP_3) | instskip(NEXT) | instid1(VALU_DEP_3)
	v_add_co_u32 v7, vcc_lo, v5, s6
	v_add_co_ci_u32_e32 v8, vcc_lo, s7, v6, vcc_lo
	v_add_nc_u32_e32 v33, 16, v11
	s_delay_alu instid0(VALU_DEP_3) | instskip(NEXT) | instid1(VALU_DEP_3)
	v_add_co_u32 v9, vcc_lo, v7, s6
	v_add_co_ci_u32_e32 v10, vcc_lo, s7, v8, vcc_lo
	s_clause 0x3
	global_load_b64 v[1:2], v[1:2], off offset:-256
	global_load_b64 v[5:6], v[5:6], off offset:-256
	;; [unrolled: 1-line block ×4, first 2 shown]
	v_add_nc_u32_e32 v9, 24, v11
	s_waitcnt vmcnt(3)
	ds_store_b64 v0, v[1:2]
	s_waitcnt vmcnt(2)
	ds_store_b64 v0, v[5:6] offset:2112
	s_waitcnt vmcnt(1)
	ds_store_b64 v0, v[7:8] offset:4224
	s_waitcnt vmcnt(0)
	ds_store_b64 v0, v[34:35] offset:6336
.LBB100_63:
	v_lshlrev_b32_e32 v0, 3, v11
	s_waitcnt lgkmcnt(0)
	s_barrier
	buffer_gl0_inv
	v_add_lshl_u32 v8, v31, v20, 3
	ds_load_b64 v[4:5], v0 offset:9088
	ds_load_b64 v[6:7], v28
	v_lshlrev_b32_e32 v18, 3, v31
	v_add_lshl_u32 v31, v33, v20, 3
	ds_load_b128 v[0:3], v32 offset:272
	ds_load_b64 v[10:11], v8
	ds_load_b64 v[18:19], v18 offset:9088
	ds_load_b64 v[34:35], v31
	v_add_lshl_u32 v8, v9, v20, 3
	s_waitcnt lgkmcnt(4)
	v_fma_f64 v[4:5], v[6:7], v[4:5], 0
	v_lshlrev_b32_e32 v6, 3, v33
	ds_load_b64 v[6:7], v6 offset:9088
	s_waitcnt lgkmcnt(2)
	v_fma_f64 v[4:5], v[10:11], v[18:19], v[4:5]
	v_lshlrev_b32_e32 v10, 3, v9
	ds_load_b64 v[8:9], v8
	ds_load_b64 v[10:11], v10 offset:9088
	ds_load_b64 v[18:19], v21
	s_waitcnt lgkmcnt(3)
	v_fma_f64 v[4:5], v[34:35], v[6:7], v[4:5]
	s_waitcnt lgkmcnt(1)
	s_delay_alu instid0(VALU_DEP_1)
	v_fma_f64 v[33:34], v[8:9], v[10:11], v[4:5]
	ds_load_b64 v[20:21], v29
	ds_load_b128 v[8:11], v32 offset:256
	ds_load_2addr_b64 v[4:7], v30 offset1:33
	s_waitcnt lgkmcnt(0)
	s_barrier
	buffer_gl0_inv
	ds_store_b64 v28, v[33:34]
	s_waitcnt lgkmcnt(0)
	s_barrier
	buffer_gl0_inv
	s_and_saveexec_b32 s5, s4
	s_cbranch_execz .LBB100_65
; %bb.64:
	ds_load_2addr_b64 v[29:32], v23 offset1:1
	ds_load_2addr_b64 v[33:36], v23 offset0:2 offset1:3
	s_waitcnt lgkmcnt(1)
	v_add_f64 v[26:27], v[26:27], v[29:30]
	s_delay_alu instid0(VALU_DEP_1) | instskip(SKIP_1) | instid1(VALU_DEP_1)
	v_add_f64 v[26:27], v[26:27], v[31:32]
	s_waitcnt lgkmcnt(0)
	v_add_f64 v[26:27], v[26:27], v[33:34]
	s_delay_alu instid0(VALU_DEP_1) | instskip(SKIP_4) | instid1(VALU_DEP_1)
	v_add_f64 v[26:27], v[26:27], v[35:36]
	ds_load_2addr_b64 v[29:32], v23 offset0:4 offset1:5
	ds_load_2addr_b64 v[33:36], v23 offset0:6 offset1:7
	s_waitcnt lgkmcnt(1)
	v_add_f64 v[26:27], v[26:27], v[29:30]
	v_add_f64 v[26:27], v[26:27], v[31:32]
	s_waitcnt lgkmcnt(0)
	s_delay_alu instid0(VALU_DEP_1) | instskip(NEXT) | instid1(VALU_DEP_1)
	v_add_f64 v[26:27], v[26:27], v[33:34]
	v_add_f64 v[26:27], v[26:27], v[35:36]
.LBB100_65:
	s_or_b32 exec_lo, exec_lo, s5
	v_fma_f64 v[8:9], v[20:21], v[8:9], 0
	s_barrier
	buffer_gl0_inv
	v_fma_f64 v[4:5], v[4:5], v[10:11], v[8:9]
	s_delay_alu instid0(VALU_DEP_1) | instskip(NEXT) | instid1(VALU_DEP_1)
	v_fma_f64 v[0:1], v[6:7], v[0:1], v[4:5]
	v_fma_f64 v[0:1], v[18:19], v[2:3], v[0:1]
	ds_store_b64 v28, v[0:1]
	s_waitcnt lgkmcnt(0)
	s_barrier
	buffer_gl0_inv
	s_and_saveexec_b32 s4, s3
	s_cbranch_execz .LBB100_67
; %bb.66:
	ds_load_2addr_b64 v[0:3], v23 offset1:1
	ds_load_2addr_b64 v[4:7], v23 offset0:2 offset1:3
	s_waitcnt lgkmcnt(1)
	v_add_f64 v[0:1], v[26:27], v[0:1]
	s_delay_alu instid0(VALU_DEP_1) | instskip(SKIP_1) | instid1(VALU_DEP_1)
	v_add_f64 v[0:1], v[0:1], v[2:3]
	s_waitcnt lgkmcnt(0)
	v_add_f64 v[0:1], v[0:1], v[4:5]
	s_delay_alu instid0(VALU_DEP_1) | instskip(SKIP_4) | instid1(VALU_DEP_1)
	v_add_f64 v[8:9], v[0:1], v[6:7]
	ds_load_2addr_b64 v[0:3], v23 offset0:4 offset1:5
	ds_load_2addr_b64 v[4:7], v23 offset0:6 offset1:7
	s_waitcnt lgkmcnt(1)
	v_add_f64 v[0:1], v[8:9], v[0:1]
	v_add_f64 v[0:1], v[0:1], v[2:3]
	s_waitcnt lgkmcnt(0)
	s_delay_alu instid0(VALU_DEP_1) | instskip(NEXT) | instid1(VALU_DEP_1)
	v_add_f64 v[0:1], v[0:1], v[4:5]
	v_add_f64 v[26:27], v[0:1], v[6:7]
.LBB100_67:
	s_or_b32 exec_lo, exec_lo, s4
	s_load_b64 s[0:1], s[0:1], 0x68
	s_mul_hi_u32 s3, s9, s15
	s_mul_i32 s25, s25, s15
	s_mul_i32 s4, s9, s15
	s_add_i32 s3, s3, s25
	s_mul_hi_u32 s5, s4, s28
	s_mul_i32 s3, s3, s28
	s_mul_i32 s4, s4, s28
	s_add_i32 s5, s5, s3
	s_mul_hi_i32 s7, s9, s14
	s_lshl_b64 s[4:5], s[4:5], 3
	s_mul_i32 s6, s9, s14
	v_lshlrev_b32_e32 v95, 3, v25
	s_waitcnt lgkmcnt(0)
	s_barrier
	buffer_gl0_inv
	s_add_u32 s3, s0, s4
	s_addc_u32 s4, s1, s5
	s_lshl_b64 s[0:1], s[6:7], 3
	s_delay_alu instid0(SALU_CYCLE_1) | instskip(SKIP_2) | instid1(SALU_CYCLE_1)
	s_add_u32 s3, s3, s0
	s_addc_u32 s11, s4, s1
	s_add_i32 s1, s14, 1
	s_cmp_ge_u32 s1, s28
	s_cbranch_scc1 .LBB100_124
; %bb.68:
	v_lshlrev_b32_e32 v96, 2, v94
	s_mul_i32 s4, s16, s24
	v_lshrrev_b32_e32 v3, 4, v22
	s_ashr_i32 s5, s4, 31
	v_and_b32_e32 v4, 48, v25
	v_mad_u64_u32 v[0:1], null, v96, s12, v[25:26]
	s_lshl_b64 s[4:5], s[4:5], 3
	v_and_b32_e32 v2, 15, v25
	v_sub_co_u32 v97, vcc_lo, v12, s4
	v_subrev_co_ci_u32_e32 v98, vcc_lo, s5, v13, vcc_lo
	v_add_co_u32 v99, vcc_lo, v16, s18
	v_ashrrev_i32_e32 v1, 31, v0
	v_lshlrev_b32_e32 v5, 3, v4
	v_or_b32_e32 v6, 0x78, v95
	v_lshlrev_b32_e32 v7, 5, v3
	v_add_nc_u32_e32 v4, s16, v4
	v_add_co_ci_u32_e32 v100, vcc_lo, s19, v17, vcc_lo
	v_sub_co_u32 v123, vcc_lo, 0, v14
	v_mad_u32_u24 v103, 0x218, v2, v5
	v_mad_u32_u24 v104, 0x218, v2, v6
	;; [unrolled: 1-line block ×3, first 2 shown]
	v_mul_i32_i24_e32 v6, 0xffffffe8, v3
	v_add3_u32 v28, v4, v2, 64
	v_lshlrev_b64 v[2:3], 3, v[0:1]
	v_sub_co_ci_u32_e32 v124, vcc_lo, 0, v15, vcc_lo
	v_add_co_u32 v4, vcc_lo, s20, v0
	v_add_co_ci_u32_e32 v5, vcc_lo, s21, v1, vcc_lo
	s_delay_alu instid0(VALU_DEP_4) | instskip(SKIP_1) | instid1(VALU_DEP_3)
	v_sub_co_u32 v125, vcc_lo, v2, v14
	v_sub_co_ci_u32_e32 v126, vcc_lo, v3, v15, vcc_lo
	v_lshlrev_b64 v[2:3], 3, v[4:5]
	s_lshl_b32 s8, s12, 4
	s_ashr_i32 s13, s12, 31
	s_lshl_b32 s31, s24, 6
	s_ashr_i32 s9, s8, 31
	s_lshl_b32 s26, s12, 1
	s_mul_i32 s34, s12, 3
	s_mul_i32 s24, s24, s1
	;; [unrolled: 1-line block ×3, first 2 shown]
	s_lshl_b64 s[22:23], s[12:13], 4
	s_add_i32 s15, s28, -2
	s_ashr_i32 s27, s26, 31
	s_ashr_i32 s35, s34, 31
	s_lshl_b64 s[16:17], s[12:13], 3
	s_lshl_b32 s4, s24, 6
	s_lshl_b64 s[6:7], s[8:9], 5
	s_mul_hi_i32 s33, s12, 24
	v_add_co_u32 v4, vcc_lo, s36, v2
	s_add_u32 s1, s22, s18
	v_add_co_ci_u32_e32 v5, vcc_lo, s33, v3, vcc_lo
	s_addc_u32 s5, s23, s19
	v_add_co_u32 v127, vcc_lo, v16, s1
	v_add_co_ci_u32_e32 v128, vcc_lo, s5, v17, vcc_lo
	v_add_co_u32 v129, vcc_lo, v16, v4
	s_add_u32 s37, s16, s18
	v_add_co_ci_u32_e32 v130, vcc_lo, v17, v5, vcc_lo
	s_addc_u32 s38, s17, s19
	s_lshl_b64 s[26:27], s[26:27], 3
	v_add_co_u32 v131, vcc_lo, v16, s37
	s_add_u32 s39, s18, s26
	v_add_co_ci_u32_e32 v132, vcc_lo, s38, v17, vcc_lo
	s_addc_u32 s40, s19, s27
	s_lshl_b64 s[24:25], s[34:35], 3
	;; [unrolled: 5-line block ×3, first 2 shown]
	v_add_co_u32 v135, vcc_lo, v16, s39
	s_add_u32 s39, s18, s34
	v_add_co_ci_u32_e32 v136, vcc_lo, s40, v17, vcc_lo
	s_addc_u32 s40, s19, s35
	v_add_co_u32 v137, vcc_lo, v16, s39
	s_add_u32 s37, s37, s34
	v_add_co_ci_u32_e32 v138, vcc_lo, s40, v17, vcc_lo
	s_addc_u32 s38, s38, s35
	;; [unrolled: 4-line block ×4, first 2 shown]
	s_add_u32 s34, s1, s34
	s_addc_u32 s35, s5, s35
	s_add_u32 s20, s20, s8
	s_addc_u32 s21, s21, s9
	v_add_co_u32 v0, vcc_lo, s20, v0
	v_add_co_ci_u32_e32 v1, vcc_lo, s21, v1, vcc_lo
	v_add_co_u32 v143, vcc_lo, v16, s37
	v_add_co_ci_u32_e32 v144, vcc_lo, s38, v17, vcc_lo
	s_delay_alu instid0(VALU_DEP_3) | instskip(SKIP_3) | instid1(VALU_DEP_3)
	v_lshlrev_b64 v[0:1], 3, v[0:1]
	v_add_co_u32 v145, vcc_lo, v16, s34
	v_add_co_ci_u32_e32 v146, vcc_lo, s35, v17, vcc_lo
	s_lshl_b64 s[20:21], s[8:9], 4
	v_add_co_u32 v0, vcc_lo, s36, v0
	s_delay_alu instid0(VALU_DEP_4) | instskip(SKIP_1) | instid1(VALU_DEP_2)
	v_add_co_ci_u32_e32 v1, vcc_lo, s33, v1, vcc_lo
	s_add_u32 s18, s20, s18
	v_add_co_u32 v147, vcc_lo, v16, v0
	s_delay_alu instid0(VALU_DEP_2)
	v_add_co_ci_u32_e32 v148, vcc_lo, v17, v1, vcc_lo
	s_addc_u32 s19, s21, s19
	v_add_co_u32 v149, vcc_lo, v16, s18
	s_add_u32 s34, s18, s16
	v_add_co_ci_u32_e32 v150, vcc_lo, s19, v17, vcc_lo
	s_addc_u32 s35, s19, s17
	v_add_co_u32 v151, vcc_lo, v16, s34
	s_add_u32 s34, s18, s26
	;; [unrolled: 4-line block ×5, first 2 shown]
	v_add_co_ci_u32_e32 v158, vcc_lo, s5, v17, vcc_lo
	s_addc_u32 s5, s33, s21
	v_add_co_u32 v4, vcc_lo, s1, v2
	v_mad_i64_i32 v[0:1], null, s8, 24, v[2:3]
	v_add_co_ci_u32_e32 v5, vcc_lo, s5, v3, vcc_lo
	s_delay_alu instid0(VALU_DEP_3) | instskip(SKIP_1) | instid1(VALU_DEP_2)
	v_add_co_u32 v159, vcc_lo, v16, v4
	s_mul_i32 s1, s12, 0x180
	v_add_co_ci_u32_e32 v160, vcc_lo, v17, v5, vcc_lo
	s_delay_alu instid0(VALU_DEP_4)
	v_add_co_u32 v161, vcc_lo, v16, v0
	v_add_co_ci_u32_e32 v162, vcc_lo, v17, v1, vcc_lo
	v_add_co_u32 v7, vcc_lo, v0, s16
	v_add_co_ci_u32_e32 v8, vcc_lo, s17, v1, vcc_lo
	v_add_co_u32 v9, vcc_lo, v0, s26
	v_add_co_ci_u32_e32 v10, vcc_lo, s27, v1, vcc_lo
	s_mul_hi_i32 s5, s8, 24
	v_add_co_u32 v163, vcc_lo, v16, v7
	s_add_u32 s1, s1, s22
	s_addc_u32 s5, s5, s23
	v_add_co_ci_u32_e32 v164, vcc_lo, v17, v8, vcc_lo
	s_add_u32 s8, s12, s8
	v_add_co_u32 v165, vcc_lo, v16, v9
	v_mad_u64_u32 v[4:5], null, s8, 24, v[2:3]
	v_add_co_ci_u32_e32 v166, vcc_lo, v17, v10, vcc_lo
	v_add_co_u32 v7, vcc_lo, v0, s24
	v_add_co_ci_u32_e32 v8, vcc_lo, s25, v1, vcc_lo
	s_addc_u32 s8, s13, s9
	s_delay_alu instid0(VALU_DEP_2) | instskip(SKIP_1) | instid1(VALU_DEP_3)
	v_add_co_u32 v167, vcc_lo, v16, v7
	v_mad_u64_u32 v[0:1], null, s8, 24, v[5:6]
	v_add_co_ci_u32_e32 v168, vcc_lo, v17, v8, vcc_lo
	v_add_co_u32 v1, vcc_lo, s1, v2
	v_add_co_ci_u32_e32 v2, vcc_lo, s5, v3, vcc_lo
	v_add_nc_u32_e32 v101, 0x2180, v95
	s_delay_alu instid0(VALU_DEP_3) | instskip(NEXT) | instid1(VALU_DEP_3)
	v_add_co_u32 v169, vcc_lo, v16, v1
	v_add_co_ci_u32_e32 v170, vcc_lo, v17, v2, vcc_lo
	v_add_co_u32 v171, vcc_lo, v16, v4
	v_add_nc_u32_e32 v102, 0x2380, v95
	v_cmp_gt_u32_e64 s0, 64, v22
	v_or_b32_e32 v106, 1, v96
	v_or_b32_e32 v107, 2, v96
	;; [unrolled: 1-line block ×3, first 2 shown]
	v_lshl_add_u32 v109, v94, 5, 0x2180
	v_mad_u32_u24 v110, 0x860, v94, v95
	v_add_nc_u32_e32 v111, 16, v96
	v_add_nc_u32_e32 v112, 17, v96
	;; [unrolled: 1-line block ×12, first 2 shown]
	v_add_co_ci_u32_e32 v172, vcc_lo, v17, v0, vcc_lo
	v_add_nc_u32_e32 v173, v105, v6
	s_cmp_eq_u32 s15, s14
	s_cselect_b32 s8, s29, 0
	s_and_saveexec_b32 s1, s2
	s_cbranch_execz .LBB100_72
.LBB100_69:
	v_cmp_gt_i32_e32 vcc_lo, s8, v25
	s_cmp_eq_u32 s8, 0
	v_mov_b32_e32 v0, 0
	v_mov_b32_e32 v1, 0
	s_cselect_b32 s5, -1, 0
	s_delay_alu instid0(SALU_CYCLE_1) | instskip(NEXT) | instid1(SALU_CYCLE_1)
	s_or_b32 s5, s5, vcc_lo
	s_and_saveexec_b32 s9, s5
	s_cbranch_execz .LBB100_71
; %bb.70:
	s_ashr_i32 s5, s4, 31
	s_delay_alu instid0(SALU_CYCLE_1) | instskip(NEXT) | instid1(SALU_CYCLE_1)
	s_lshl_b64 s[12:13], s[4:5], 3
	v_add_co_u32 v0, vcc_lo, v97, s12
	v_add_co_ci_u32_e32 v1, vcc_lo, s13, v98, vcc_lo
	global_load_b64 v[0:1], v[0:1], off
.LBB100_71:
	s_or_b32 exec_lo, exec_lo, s9
	s_waitcnt vmcnt(0)
	ds_store_b64 v101, v[0:1]
.LBB100_72:                             ; =>This Inner Loop Header: Depth=1
	s_or_b32 exec_lo, exec_lo, s1
	s_cmp_eq_u32 s8, 0
	v_add_co_u32 v0, vcc_lo, v99, v125
	s_cselect_b32 s5, -1, 0
	s_cmp_lg_u32 s8, 0
	v_add_co_ci_u32_e32 v1, vcc_lo, v100, v126, vcc_lo
	s_cselect_b32 s1, -1, 0
	s_waitcnt lgkmcnt(0)
	s_and_b32 vcc_lo, exec_lo, s1
	s_barrier
	buffer_gl0_inv
	s_cbranch_vccz .LBB100_120
; %bb.73:                               ;   in Loop: Header=BB100_72 Depth=1
	v_mov_b32_e32 v32, 0
	v_mov_b32_e32 v33, 0
	s_delay_alu instid0(VALU_DEP_2) | instskip(SKIP_1) | instid1(VALU_DEP_2)
	v_mov_b32_e32 v30, v32
	s_mov_b32 s9, exec_lo
	v_mov_b32_e32 v31, v33
	v_cmpx_gt_i32_e64 s8, v96
	s_cbranch_execz .LBB100_75
; %bb.74:                               ;   in Loop: Header=BB100_72 Depth=1
	global_load_b64 v[30:31], v[0:1], off
.LBB100_75:                             ;   in Loop: Header=BB100_72 Depth=1
	s_or_b32 exec_lo, exec_lo, s9
	s_delay_alu instid0(SALU_CYCLE_1)
	s_mov_b32 s9, exec_lo
	v_cmpx_gt_i32_e64 s8, v106
	s_cbranch_execz .LBB100_77
; %bb.76:                               ;   in Loop: Header=BB100_72 Depth=1
	v_add_co_u32 v2, vcc_lo, v131, v125
	v_add_co_ci_u32_e32 v3, vcc_lo, v132, v126, vcc_lo
	global_load_b64 v[32:33], v[2:3], off
.LBB100_77:                             ;   in Loop: Header=BB100_72 Depth=1
	s_or_b32 exec_lo, exec_lo, s9
	v_mov_b32_e32 v34, 0
	v_mov_b32_e32 v35, 0
	s_mov_b32 s9, exec_lo
	s_delay_alu instid0(VALU_DEP_1)
	v_dual_mov_b32 v37, v35 :: v_dual_mov_b32 v36, v34
	v_cmpx_gt_i32_e64 s8, v107
	s_cbranch_execz .LBB100_79
; %bb.78:                               ;   in Loop: Header=BB100_72 Depth=1
	v_add_co_u32 v2, vcc_lo, v133, v125
	v_add_co_ci_u32_e32 v3, vcc_lo, v134, v126, vcc_lo
	global_load_b64 v[36:37], v[2:3], off
.LBB100_79:                             ;   in Loop: Header=BB100_72 Depth=1
	s_or_b32 exec_lo, exec_lo, s9
	s_delay_alu instid0(SALU_CYCLE_1)
	s_mov_b32 s9, exec_lo
	v_cmpx_gt_i32_e64 s8, v108
	s_cbranch_execz .LBB100_81
; %bb.80:                               ;   in Loop: Header=BB100_72 Depth=1
	v_add_co_u32 v2, vcc_lo, v135, v125
	v_add_co_ci_u32_e32 v3, vcc_lo, v136, v126, vcc_lo
	global_load_b64 v[34:35], v[2:3], off
.LBB100_81:                             ;   in Loop: Header=BB100_72 Depth=1
	s_or_b32 exec_lo, exec_lo, s9
	s_branch .LBB100_83
.LBB100_82:                             ;   in Loop: Header=BB100_72 Depth=1
	v_add_co_u32 v2, vcc_lo, v131, v125
	v_add_co_ci_u32_e32 v3, vcc_lo, v132, v126, vcc_lo
	v_add_co_u32 v4, vcc_lo, v127, v125
	v_add_co_ci_u32_e32 v5, vcc_lo, v128, v126, vcc_lo
	;; [unrolled: 2-line block ×3, first 2 shown]
	global_load_b64 v[30:31], v[0:1], off
	global_load_b64 v[32:33], v[2:3], off
	;; [unrolled: 1-line block ×4, first 2 shown]
.LBB100_83:                             ;   in Loop: Header=BB100_72 Depth=1
	ds_load_b64 v[0:1], v102
	ds_load_b64 v[38:39], v109
	v_add_co_u32 v8, vcc_lo, v137, v125
	v_cndmask_b32_e64 v29, 0, 1, s1
	v_add_co_ci_u32_e32 v9, vcc_lo, v138, v126, vcc_lo
	s_and_not1_b32 vcc_lo, exec_lo, s1
	s_waitcnt vmcnt(0) lgkmcnt(1)
	v_mul_f64 v[2:3], v[30:31], v[0:1]
	v_mul_f64 v[4:5], v[32:33], v[0:1]
	;; [unrolled: 1-line block ×4, first 2 shown]
	ds_store_b64 v110, v[2:3]
	ds_load_b64 v[40:41], v109 offset:8
	ds_store_b64 v110, v[4:5] offset:536
	ds_load_b64 v[42:43], v109 offset:16
	ds_store_b64 v110, v[6:7] offset:1072
	;; [unrolled: 2-line block ×3, first 2 shown]
	s_waitcnt lgkmcnt(0)
	s_barrier
	buffer_gl0_inv
	ds_load_2addr_b64 v[4:7], v105 offset1:1
	ds_load_2addr_b64 v[0:3], v105 offset0:2 offset1:3
	s_waitcnt lgkmcnt(0)
	s_barrier
	buffer_gl0_inv
	s_cbranch_vccnz .LBB100_121
; %bb.84:                               ;   in Loop: Header=BB100_72 Depth=1
	v_mov_b32_e32 v48, 0
	v_mov_b32_e32 v49, 0
	s_delay_alu instid0(VALU_DEP_2) | instskip(SKIP_1) | instid1(VALU_DEP_2)
	v_mov_b32_e32 v46, v48
	s_mov_b32 s1, exec_lo
	v_mov_b32_e32 v47, v49
	v_cmpx_gt_i32_e64 s8, v111
	s_cbranch_execz .LBB100_86
; %bb.85:                               ;   in Loop: Header=BB100_72 Depth=1
	global_load_b64 v[46:47], v[8:9], off
.LBB100_86:                             ;   in Loop: Header=BB100_72 Depth=1
	s_or_b32 exec_lo, exec_lo, s1
	s_delay_alu instid0(SALU_CYCLE_1)
	s_mov_b32 s1, exec_lo
	v_cmpx_gt_i32_e64 s8, v112
	s_cbranch_execz .LBB100_88
; %bb.87:                               ;   in Loop: Header=BB100_72 Depth=1
	v_add_co_u32 v10, vcc_lo, v139, v125
	v_add_co_ci_u32_e32 v11, vcc_lo, v140, v126, vcc_lo
	global_load_b64 v[48:49], v[10:11], off
.LBB100_88:                             ;   in Loop: Header=BB100_72 Depth=1
	s_or_b32 exec_lo, exec_lo, s1
	v_mov_b32_e32 v50, 0
	v_mov_b32_e32 v51, 0
	s_mov_b32 s1, exec_lo
	s_delay_alu instid0(VALU_DEP_1)
	v_dual_mov_b32 v53, v51 :: v_dual_mov_b32 v52, v50
	v_cmpx_gt_i32_e64 s8, v113
	s_cbranch_execz .LBB100_90
; %bb.89:                               ;   in Loop: Header=BB100_72 Depth=1
	v_add_co_u32 v10, vcc_lo, v141, v125
	v_add_co_ci_u32_e32 v11, vcc_lo, v142, v126, vcc_lo
	global_load_b64 v[52:53], v[10:11], off
.LBB100_90:                             ;   in Loop: Header=BB100_72 Depth=1
	s_or_b32 exec_lo, exec_lo, s1
	s_delay_alu instid0(SALU_CYCLE_1)
	s_mov_b32 s1, exec_lo
	v_cmpx_gt_i32_e64 s8, v114
	s_cbranch_execz .LBB100_92
; %bb.91:                               ;   in Loop: Header=BB100_72 Depth=1
	v_add_co_u32 v10, vcc_lo, v143, v125
	v_add_co_ci_u32_e32 v11, vcc_lo, v144, v126, vcc_lo
	global_load_b64 v[50:51], v[10:11], off
.LBB100_92:                             ;   in Loop: Header=BB100_72 Depth=1
	s_or_b32 exec_lo, exec_lo, s1
	s_branch .LBB100_94
.LBB100_93:                             ;   in Loop: Header=BB100_72 Depth=1
	v_add_co_u32 v10, vcc_lo, v139, v125
	v_add_co_ci_u32_e32 v11, vcc_lo, v140, v126, vcc_lo
	v_add_co_u32 v12, vcc_lo, v145, v125
	v_add_co_ci_u32_e32 v13, vcc_lo, v146, v126, vcc_lo
	;; [unrolled: 2-line block ×3, first 2 shown]
	global_load_b64 v[46:47], v[8:9], off
	global_load_b64 v[48:49], v[10:11], off
	;; [unrolled: 1-line block ×4, first 2 shown]
.LBB100_94:                             ;   in Loop: Header=BB100_72 Depth=1
	ds_load_b64 v[8:9], v102
	ds_load_b64 v[54:55], v109 offset:128
	v_cmp_ne_u32_e32 vcc_lo, 1, v29
	v_add_co_u32 v16, s1, v149, v125
	s_delay_alu instid0(VALU_DEP_1)
	v_add_co_ci_u32_e64 v17, s1, v150, v126, s1
	s_and_b32 vcc_lo, exec_lo, vcc_lo
	s_waitcnt vmcnt(0) lgkmcnt(1)
	v_mul_f64 v[10:11], v[46:47], v[8:9]
	v_mul_f64 v[12:13], v[48:49], v[8:9]
	;; [unrolled: 1-line block ×4, first 2 shown]
	ds_store_b64 v110, v[10:11]
	ds_load_b64 v[56:57], v109 offset:136
	ds_store_b64 v110, v[12:13] offset:536
	ds_load_b64 v[58:59], v109 offset:144
	ds_store_b64 v110, v[14:15] offset:1072
	;; [unrolled: 2-line block ×3, first 2 shown]
	s_waitcnt lgkmcnt(0)
	s_barrier
	buffer_gl0_inv
	ds_load_2addr_b64 v[12:15], v105 offset1:1
	ds_load_2addr_b64 v[8:11], v105 offset0:2 offset1:3
	s_waitcnt lgkmcnt(0)
	s_barrier
	buffer_gl0_inv
	s_cbranch_vccnz .LBB100_122
; %bb.95:                               ;   in Loop: Header=BB100_72 Depth=1
	v_mov_b32_e32 v64, 0
	v_mov_b32_e32 v65, 0
	s_delay_alu instid0(VALU_DEP_2) | instskip(SKIP_1) | instid1(VALU_DEP_2)
	v_mov_b32_e32 v62, v64
	s_mov_b32 s1, exec_lo
	v_mov_b32_e32 v63, v65
	v_cmpx_gt_i32_e64 s8, v115
	s_cbranch_execz .LBB100_97
; %bb.96:                               ;   in Loop: Header=BB100_72 Depth=1
	global_load_b64 v[62:63], v[16:17], off
.LBB100_97:                             ;   in Loop: Header=BB100_72 Depth=1
	s_or_b32 exec_lo, exec_lo, s1
	s_delay_alu instid0(SALU_CYCLE_1)
	s_mov_b32 s1, exec_lo
	v_cmpx_gt_i32_e64 s8, v116
	s_cbranch_execz .LBB100_99
; %bb.98:                               ;   in Loop: Header=BB100_72 Depth=1
	v_add_co_u32 v18, vcc_lo, v151, v125
	v_add_co_ci_u32_e32 v19, vcc_lo, v152, v126, vcc_lo
	global_load_b64 v[64:65], v[18:19], off
.LBB100_99:                             ;   in Loop: Header=BB100_72 Depth=1
	s_or_b32 exec_lo, exec_lo, s1
	v_mov_b32_e32 v66, 0
	v_mov_b32_e32 v67, 0
	s_mov_b32 s1, exec_lo
	s_delay_alu instid0(VALU_DEP_1)
	v_dual_mov_b32 v69, v67 :: v_dual_mov_b32 v68, v66
	v_cmpx_gt_i32_e64 s8, v117
	s_cbranch_execz .LBB100_101
; %bb.100:                              ;   in Loop: Header=BB100_72 Depth=1
	v_add_co_u32 v18, vcc_lo, v153, v125
	v_add_co_ci_u32_e32 v19, vcc_lo, v154, v126, vcc_lo
	global_load_b64 v[68:69], v[18:19], off
.LBB100_101:                            ;   in Loop: Header=BB100_72 Depth=1
	s_or_b32 exec_lo, exec_lo, s1
	s_delay_alu instid0(SALU_CYCLE_1)
	s_mov_b32 s1, exec_lo
	v_cmpx_gt_i32_e64 s8, v118
	s_cbranch_execz .LBB100_103
; %bb.102:                              ;   in Loop: Header=BB100_72 Depth=1
	v_add_co_u32 v18, vcc_lo, v155, v125
	v_add_co_ci_u32_e32 v19, vcc_lo, v156, v126, vcc_lo
	global_load_b64 v[66:67], v[18:19], off
.LBB100_103:                            ;   in Loop: Header=BB100_72 Depth=1
	s_or_b32 exec_lo, exec_lo, s1
	s_branch .LBB100_105
.LBB100_104:                            ;   in Loop: Header=BB100_72 Depth=1
	v_add_co_u32 v18, vcc_lo, v151, v125
	v_add_co_ci_u32_e32 v19, vcc_lo, v152, v126, vcc_lo
	v_add_co_u32 v20, vcc_lo, v157, v125
	v_add_co_ci_u32_e32 v21, vcc_lo, v158, v126, vcc_lo
	;; [unrolled: 2-line block ×3, first 2 shown]
	global_load_b64 v[62:63], v[16:17], off
	global_load_b64 v[64:65], v[18:19], off
	;; [unrolled: 1-line block ×4, first 2 shown]
.LBB100_105:                            ;   in Loop: Header=BB100_72 Depth=1
	ds_load_b64 v[16:17], v102
	ds_load_b64 v[70:71], v109 offset:256
	v_cmp_ne_u32_e32 vcc_lo, 1, v29
	v_add_co_u32 v86, s1, v161, v123
	s_delay_alu instid0(VALU_DEP_1)
	v_add_co_ci_u32_e64 v87, s1, v162, v124, s1
	s_and_b32 vcc_lo, exec_lo, vcc_lo
	s_waitcnt vmcnt(0) lgkmcnt(1)
	v_mul_f64 v[18:19], v[62:63], v[16:17]
	v_mul_f64 v[20:21], v[64:65], v[16:17]
	v_mul_f64 v[22:23], v[68:69], v[16:17]
	v_mul_f64 v[16:17], v[66:67], v[16:17]
	ds_store_b64 v110, v[18:19]
	ds_load_b64 v[72:73], v109 offset:264
	ds_store_b64 v110, v[20:21] offset:536
	ds_load_b64 v[74:75], v109 offset:272
	ds_store_b64 v110, v[22:23] offset:1072
	;; [unrolled: 2-line block ×3, first 2 shown]
	s_waitcnt lgkmcnt(0)
	s_barrier
	buffer_gl0_inv
	ds_load_2addr_b64 v[20:23], v105 offset1:1
	ds_load_2addr_b64 v[16:19], v105 offset0:2 offset1:3
	s_waitcnt lgkmcnt(0)
	s_barrier
	buffer_gl0_inv
	s_cbranch_vccnz .LBB100_123
; %bb.106:                              ;   in Loop: Header=BB100_72 Depth=1
	v_mov_b32_e32 v82, 0
	v_mov_b32_e32 v83, 0
	s_delay_alu instid0(VALU_DEP_2) | instskip(SKIP_1) | instid1(VALU_DEP_2)
	v_mov_b32_e32 v80, v82
	s_mov_b32 s1, exec_lo
	v_mov_b32_e32 v81, v83
	v_cmpx_gt_i32_e64 s8, v119
	s_cbranch_execz .LBB100_108
; %bb.107:                              ;   in Loop: Header=BB100_72 Depth=1
	global_load_b64 v[80:81], v[86:87], off
.LBB100_108:                            ;   in Loop: Header=BB100_72 Depth=1
	s_or_b32 exec_lo, exec_lo, s1
	s_delay_alu instid0(SALU_CYCLE_1)
	s_mov_b32 s1, exec_lo
	v_cmpx_gt_i32_e64 s8, v120
	s_cbranch_execz .LBB100_110
; %bb.109:                              ;   in Loop: Header=BB100_72 Depth=1
	v_add_co_u32 v78, vcc_lo, v163, v123
	v_add_co_ci_u32_e32 v79, vcc_lo, v164, v124, vcc_lo
	global_load_b64 v[82:83], v[78:79], off
.LBB100_110:                            ;   in Loop: Header=BB100_72 Depth=1
	s_or_b32 exec_lo, exec_lo, s1
	v_mov_b32_e32 v78, 0
	v_mov_b32_e32 v79, 0
	s_mov_b32 s1, exec_lo
	s_delay_alu instid0(VALU_DEP_1)
	v_dual_mov_b32 v85, v79 :: v_dual_mov_b32 v84, v78
	v_cmpx_gt_i32_e64 s8, v121
	s_cbranch_execz .LBB100_112
; %bb.111:                              ;   in Loop: Header=BB100_72 Depth=1
	v_add_co_u32 v84, vcc_lo, v165, v123
	v_add_co_ci_u32_e32 v85, vcc_lo, v166, v124, vcc_lo
	global_load_b64 v[84:85], v[84:85], off
.LBB100_112:                            ;   in Loop: Header=BB100_72 Depth=1
	s_or_b32 exec_lo, exec_lo, s1
	s_delay_alu instid0(SALU_CYCLE_1)
	s_mov_b32 s1, exec_lo
	v_cmpx_gt_i32_e64 s8, v122
	s_cbranch_execz .LBB100_114
; %bb.113:                              ;   in Loop: Header=BB100_72 Depth=1
	v_add_co_u32 v78, vcc_lo, v167, v123
	v_add_co_ci_u32_e32 v79, vcc_lo, v168, v124, vcc_lo
	global_load_b64 v[78:79], v[78:79], off
.LBB100_114:                            ;   in Loop: Header=BB100_72 Depth=1
	s_or_b32 exec_lo, exec_lo, s1
	s_branch .LBB100_116
.LBB100_115:                            ;   in Loop: Header=BB100_72 Depth=1
	s_waitcnt vmcnt(0)
	v_add_co_u32 v78, vcc_lo, v163, v123
	v_add_co_ci_u32_e32 v79, vcc_lo, v164, v124, vcc_lo
	v_add_co_u32 v84, vcc_lo, v169, v123
	v_add_co_ci_u32_e32 v85, vcc_lo, v170, v124, vcc_lo
	;; [unrolled: 2-line block ×3, first 2 shown]
	global_load_b64 v[80:81], v[86:87], off
	global_load_b64 v[82:83], v[78:79], off
	;; [unrolled: 1-line block ×4, first 2 shown]
.LBB100_116:                            ;   in Loop: Header=BB100_72 Depth=1
	ds_load_b64 v[86:87], v102
	ds_load_b64 v[90:91], v109 offset:384
	v_add_f64 v[12:13], v[12:13], 0
	v_add_f64 v[4:5], v[4:5], 0
	;; [unrolled: 1-line block ×3, first 2 shown]
	v_cmp_gt_i32_e32 vcc_lo, s8, v25
	s_or_b32 s1, s5, vcc_lo
	s_delay_alu instid0(SALU_CYCLE_1)
	s_and_b32 s5, s0, s1
	s_waitcnt vmcnt(0) lgkmcnt(1)
	v_mul_f64 v[88:89], v[80:81], v[86:87]
	v_mul_f64 v[174:175], v[82:83], v[86:87]
	;; [unrolled: 1-line block ×4, first 2 shown]
	v_add_f64 v[12:13], v[12:13], v[14:15]
	v_add_f64 v[4:5], v[4:5], v[6:7]
	;; [unrolled: 1-line block ×3, first 2 shown]
	ds_store_b64 v110, v[88:89]
	ds_load_b64 v[92:93], v109 offset:392
	ds_store_b64 v110, v[174:175] offset:536
	ds_load_b64 v[88:89], v109 offset:400
	ds_store_b64 v110, v[176:177] offset:1072
	;; [unrolled: 2-line block ×3, first 2 shown]
	s_waitcnt lgkmcnt(0)
	s_barrier
	buffer_gl0_inv
	ds_load_2addr_b64 v[174:177], v105 offset1:1
	ds_load_2addr_b64 v[178:181], v105 offset0:2 offset1:3
	s_waitcnt lgkmcnt(0)
	s_barrier
	buffer_gl0_inv
	v_add_f64 v[8:9], v[12:13], v[8:9]
	v_add_f64 v[0:1], v[4:5], v[0:1]
	;; [unrolled: 1-line block ×4, first 2 shown]
	s_delay_alu instid0(VALU_DEP_4) | instskip(NEXT) | instid1(VALU_DEP_4)
	v_add_f64 v[8:9], v[8:9], v[10:11]
	v_add_f64 v[0:1], v[0:1], v[2:3]
	s_delay_alu instid0(VALU_DEP_3) | instskip(NEXT) | instid1(VALU_DEP_1)
	v_add_f64 v[6:7], v[174:175], v[176:177]
	v_add_f64 v[4:5], v[6:7], v[178:179]
	;; [unrolled: 1-line block ×3, first 2 shown]
	s_delay_alu instid0(VALU_DEP_2)
	v_add_f64 v[2:3], v[4:5], v[180:181]
	ds_store_2addr_b64 v173, v[0:1], v[8:9] offset1:16
	ds_store_2addr_b64 v173, v[6:7], v[2:3] offset0:32 offset1:48
	s_waitcnt lgkmcnt(0)
	s_barrier
	buffer_gl0_inv
	s_and_saveexec_b32 s1, s5
	s_cbranch_execz .LBB100_118
; %bb.117:                              ;   in Loop: Header=BB100_72 Depth=1
	ds_load_2addr_b64 v[0:3], v103 offset1:1
	ds_load_2addr_b64 v[4:7], v103 offset0:2 offset1:3
	v_ashrrev_i32_e32 v29, 31, v28
	s_waitcnt lgkmcnt(1)
	v_add_f64 v[0:1], v[0:1], v[2:3]
	s_waitcnt lgkmcnt(0)
	s_delay_alu instid0(VALU_DEP_1) | instskip(NEXT) | instid1(VALU_DEP_1)
	v_add_f64 v[0:1], v[0:1], v[4:5]
	v_add_f64 v[8:9], v[0:1], v[6:7]
	ds_load_2addr_b64 v[0:3], v103 offset0:4 offset1:5
	ds_load_2addr_b64 v[4:7], v103 offset0:6 offset1:7
	s_waitcnt lgkmcnt(1)
	v_add_f64 v[0:1], v[8:9], v[0:1]
	s_delay_alu instid0(VALU_DEP_1) | instskip(SKIP_1) | instid1(VALU_DEP_1)
	v_add_f64 v[0:1], v[0:1], v[2:3]
	s_waitcnt lgkmcnt(0)
	v_add_f64 v[0:1], v[0:1], v[4:5]
	s_delay_alu instid0(VALU_DEP_1) | instskip(SKIP_4) | instid1(VALU_DEP_1)
	v_add_f64 v[8:9], v[0:1], v[6:7]
	ds_load_2addr_b64 v[0:3], v103 offset0:8 offset1:9
	ds_load_2addr_b64 v[4:7], v103 offset0:10 offset1:11
	s_waitcnt lgkmcnt(1)
	v_add_f64 v[0:1], v[8:9], v[0:1]
	v_add_f64 v[0:1], v[0:1], v[2:3]
	s_waitcnt lgkmcnt(0)
	s_delay_alu instid0(VALU_DEP_1) | instskip(NEXT) | instid1(VALU_DEP_1)
	v_add_f64 v[0:1], v[0:1], v[4:5]
	v_add_f64 v[4:5], v[0:1], v[6:7]
	ds_load_2addr_b64 v[0:3], v103 offset0:12 offset1:13
	ds_load_b64 v[6:7], v103 offset:112
	s_waitcnt lgkmcnt(1)
	v_add_f64 v[0:1], v[4:5], v[0:1]
	s_delay_alu instid0(VALU_DEP_1) | instskip(SKIP_4) | instid1(VALU_DEP_1)
	v_add_f64 v[0:1], v[0:1], v[2:3]
	ds_load_b64 v[2:3], v104
	s_waitcnt lgkmcnt(1)
	v_add_f64 v[0:1], v[0:1], v[6:7]
	s_waitcnt lgkmcnt(0)
	v_add_f64 v[0:1], v[0:1], v[2:3]
	v_lshlrev_b64 v[2:3], 3, v[28:29]
	s_delay_alu instid0(VALU_DEP_1) | instskip(NEXT) | instid1(VALU_DEP_2)
	v_add_co_u32 v2, vcc_lo, s3, v2
	v_add_co_ci_u32_e32 v3, vcc_lo, s11, v3, vcc_lo
	global_store_b64 v[2:3], v[0:1], off
.LBB100_118:                            ;   in Loop: Header=BB100_72 Depth=1
	s_or_b32 exec_lo, exec_lo, s1
	v_fma_f64 v[0:1], v[30:31], v[38:39], v[26:27]
	v_add_co_u32 v99, vcc_lo, v99, s6
	v_add_co_ci_u32_e32 v100, vcc_lo, s7, v100, vcc_lo
	v_add_co_u32 v127, vcc_lo, v127, s6
	v_add_co_ci_u32_e32 v128, vcc_lo, s7, v128, vcc_lo
	;; [unrolled: 2-line block ×9, first 2 shown]
	v_add_co_u32 v143, vcc_lo, v143, s6
	v_fma_f64 v[0:1], v[32:33], v[40:41], v[0:1]
	v_add_co_ci_u32_e32 v144, vcc_lo, s7, v144, vcc_lo
	v_add_co_u32 v145, vcc_lo, v145, s6
	v_add_co_ci_u32_e32 v146, vcc_lo, s7, v146, vcc_lo
	v_add_co_u32 v147, vcc_lo, v147, s6
	;; [unrolled: 2-line block ×9, first 2 shown]
	v_add_co_ci_u32_e32 v162, vcc_lo, s7, v162, vcc_lo
	v_fma_f64 v[0:1], v[36:37], v[42:43], v[0:1]
	v_add_co_u32 v163, vcc_lo, v163, s6
	v_add_co_ci_u32_e32 v164, vcc_lo, s7, v164, vcc_lo
	v_add_co_u32 v165, vcc_lo, v165, s6
	v_add_co_ci_u32_e32 v166, vcc_lo, s7, v166, vcc_lo
	;; [unrolled: 2-line block ×4, first 2 shown]
	v_add_co_u32 v171, vcc_lo, v171, s6
	v_add_nc_u32_e32 v28, 64, v28
	v_add_co_ci_u32_e32 v172, vcc_lo, s7, v172, vcc_lo
	s_add_i32 s5, s14, 2
	s_add_i32 s1, s14, 1
	;; [unrolled: 1-line block ×3, first 2 shown]
	s_cmp_ge_u32 s5, s28
	s_waitcnt_vscnt null, 0x0
	s_barrier
	buffer_gl0_inv
	v_fma_f64 v[0:1], v[34:35], v[44:45], v[0:1]
	s_delay_alu instid0(VALU_DEP_1) | instskip(NEXT) | instid1(VALU_DEP_1)
	v_fma_f64 v[0:1], v[46:47], v[54:55], v[0:1]
	v_fma_f64 v[0:1], v[48:49], v[56:57], v[0:1]
	s_delay_alu instid0(VALU_DEP_1) | instskip(NEXT) | instid1(VALU_DEP_1)
	v_fma_f64 v[0:1], v[52:53], v[58:59], v[0:1]
	;; [unrolled: 3-line block ×6, first 2 shown]
	v_fma_f64 v[26:27], v[78:79], v[86:87], v[0:1]
	s_cbranch_scc1 .LBB100_124
; %bb.119:                              ;   in Loop: Header=BB100_72 Depth=1
	s_mov_b32 s14, s1
	s_delay_alu instid0(SALU_CYCLE_1)
	s_cmp_eq_u32 s15, s14
	s_cselect_b32 s8, s29, 0
	s_and_saveexec_b32 s1, s2
	s_cbranch_execnz .LBB100_69
	s_branch .LBB100_72
.LBB100_120:                            ;   in Loop: Header=BB100_72 Depth=1
                                        ; implicit-def: $vgpr34_vgpr35
                                        ; implicit-def: $vgpr36_vgpr37
                                        ; implicit-def: $vgpr32_vgpr33
                                        ; implicit-def: $vgpr30_vgpr31
	s_cbranch_execnz .LBB100_82
	s_branch .LBB100_83
.LBB100_121:                            ;   in Loop: Header=BB100_72 Depth=1
                                        ; implicit-def: $vgpr50_vgpr51
                                        ; implicit-def: $vgpr52_vgpr53
                                        ; implicit-def: $vgpr48_vgpr49
                                        ; implicit-def: $vgpr46_vgpr47
	s_cbranch_execnz .LBB100_93
	s_branch .LBB100_94
.LBB100_122:                            ;   in Loop: Header=BB100_72 Depth=1
                                        ; implicit-def: $vgpr66_vgpr67
                                        ; implicit-def: $vgpr68_vgpr69
                                        ; implicit-def: $vgpr64_vgpr65
                                        ; implicit-def: $vgpr62_vgpr63
	s_cbranch_execnz .LBB100_104
	s_branch .LBB100_105
.LBB100_123:                            ;   in Loop: Header=BB100_72 Depth=1
                                        ; implicit-def: $vgpr78_vgpr79
                                        ; implicit-def: $vgpr84_vgpr85
                                        ; implicit-def: $vgpr82_vgpr83
                                        ; implicit-def: $vgpr80_vgpr81
	s_cbranch_execnz .LBB100_115
	s_branch .LBB100_116
.LBB100_124:
	v_cmp_gt_i32_e32 vcc_lo, s10, v25
	v_mad_u32_u24 v0, 0x218, v94, v95
	s_or_b32 s0, s30, vcc_lo
	ds_store_b64 v0, v[26:27]
	s_and_b32 s0, s2, s0
	s_waitcnt lgkmcnt(0)
	s_barrier
	buffer_gl0_inv
	s_and_saveexec_b32 s1, s0
	s_cbranch_execz .LBB100_126
; %bb.125:
	ds_load_2addr_b64 v[0:3], v95 offset1:67
	v_ashrrev_i32_e32 v25, 31, v24
	s_waitcnt lgkmcnt(0)
	v_add_f64 v[4:5], v[0:1], v[2:3]
	ds_load_2addr_b64 v[0:3], v95 offset0:134 offset1:201
	s_waitcnt lgkmcnt(0)
	v_add_f64 v[0:1], v[4:5], v[0:1]
	s_delay_alu instid0(VALU_DEP_1) | instskip(SKIP_1) | instid1(VALU_DEP_1)
	v_add_f64 v[0:1], v[0:1], v[2:3]
	v_lshlrev_b64 v[2:3], 3, v[24:25]
	v_add_co_u32 v2, vcc_lo, s3, v2
	s_delay_alu instid0(VALU_DEP_2)
	v_add_co_ci_u32_e32 v3, vcc_lo, s11, v3, vcc_lo
	global_store_b64 v[2:3], v[0:1], off
.LBB100_126:
	s_nop 0
	s_sendmsg sendmsg(MSG_DEALLOC_VGPRS)
	s_endpgm
	.section	.rodata,"a",@progbits
	.p2align	6, 0x0
	.amdhsa_kernel _ZL26rocblas_hemvn_kernel_upperILb0ELi64ELi4ELi33ELi32ELi16EidPKdPdEviT6_lT7_lT5_lS4_lS5_lS3_lT8_i
		.amdhsa_group_segment_fixed_size 9600
		.amdhsa_private_segment_fixed_size 0
		.amdhsa_kernarg_size 376
		.amdhsa_user_sgpr_count 14
		.amdhsa_user_sgpr_dispatch_ptr 0
		.amdhsa_user_sgpr_queue_ptr 0
		.amdhsa_user_sgpr_kernarg_segment_ptr 1
		.amdhsa_user_sgpr_dispatch_id 0
		.amdhsa_user_sgpr_private_segment_size 0
		.amdhsa_wavefront_size32 1
		.amdhsa_uses_dynamic_stack 0
		.amdhsa_enable_private_segment 0
		.amdhsa_system_sgpr_workgroup_id_x 1
		.amdhsa_system_sgpr_workgroup_id_y 0
		.amdhsa_system_sgpr_workgroup_id_z 1
		.amdhsa_system_sgpr_workgroup_info 0
		.amdhsa_system_vgpr_workitem_id 1
		.amdhsa_next_free_vgpr 182
		.amdhsa_next_free_sgpr 41
		.amdhsa_reserve_vcc 1
		.amdhsa_float_round_mode_32 0
		.amdhsa_float_round_mode_16_64 0
		.amdhsa_float_denorm_mode_32 3
		.amdhsa_float_denorm_mode_16_64 3
		.amdhsa_dx10_clamp 1
		.amdhsa_ieee_mode 1
		.amdhsa_fp16_overflow 0
		.amdhsa_workgroup_processor_mode 1
		.amdhsa_memory_ordered 1
		.amdhsa_forward_progress 0
		.amdhsa_shared_vgpr_count 0
		.amdhsa_exception_fp_ieee_invalid_op 0
		.amdhsa_exception_fp_denorm_src 0
		.amdhsa_exception_fp_ieee_div_zero 0
		.amdhsa_exception_fp_ieee_overflow 0
		.amdhsa_exception_fp_ieee_underflow 0
		.amdhsa_exception_fp_ieee_inexact 0
		.amdhsa_exception_int_div_zero 0
	.end_amdhsa_kernel
	.section	.text._ZL26rocblas_hemvn_kernel_upperILb0ELi64ELi4ELi33ELi32ELi16EidPKdPdEviT6_lT7_lT5_lS4_lS5_lS3_lT8_i,"axG",@progbits,_ZL26rocblas_hemvn_kernel_upperILb0ELi64ELi4ELi33ELi32ELi16EidPKdPdEviT6_lT7_lT5_lS4_lS5_lS3_lT8_i,comdat
.Lfunc_end100:
	.size	_ZL26rocblas_hemvn_kernel_upperILb0ELi64ELi4ELi33ELi32ELi16EidPKdPdEviT6_lT7_lT5_lS4_lS5_lS3_lT8_i, .Lfunc_end100-_ZL26rocblas_hemvn_kernel_upperILb0ELi64ELi4ELi33ELi32ELi16EidPKdPdEviT6_lT7_lT5_lS4_lS5_lS3_lT8_i
                                        ; -- End function
	.section	.AMDGPU.csdata,"",@progbits
; Kernel info:
; codeLenInByte = 8532
; NumSgprs: 43
; NumVgprs: 182
; ScratchSize: 0
; MemoryBound: 0
; FloatMode: 240
; IeeeMode: 1
; LDSByteSize: 9600 bytes/workgroup (compile time only)
; SGPRBlocks: 5
; VGPRBlocks: 22
; NumSGPRsForWavesPerEU: 43
; NumVGPRsForWavesPerEU: 182
; Occupancy: 8
; WaveLimiterHint : 1
; COMPUTE_PGM_RSRC2:SCRATCH_EN: 0
; COMPUTE_PGM_RSRC2:USER_SGPR: 14
; COMPUTE_PGM_RSRC2:TRAP_HANDLER: 0
; COMPUTE_PGM_RSRC2:TGID_X_EN: 1
; COMPUTE_PGM_RSRC2:TGID_Y_EN: 0
; COMPUTE_PGM_RSRC2:TGID_Z_EN: 1
; COMPUTE_PGM_RSRC2:TIDIG_COMP_CNT: 1
	.section	.text._ZL36rocblas_hemvn_kernel_upper_block_sumILi64EidPddEviT1_lS1_lT2_lT0_lPT3_i,"axG",@progbits,_ZL36rocblas_hemvn_kernel_upper_block_sumILi64EidPddEviT1_lS1_lT2_lT0_lPT3_i,comdat
	.globl	_ZL36rocblas_hemvn_kernel_upper_block_sumILi64EidPddEviT1_lS1_lT2_lT0_lPT3_i ; -- Begin function _ZL36rocblas_hemvn_kernel_upper_block_sumILi64EidPddEviT1_lS1_lT2_lT0_lPT3_i
	.p2align	8
	.type	_ZL36rocblas_hemvn_kernel_upper_block_sumILi64EidPddEviT1_lS1_lT2_lT0_lPT3_i,@function
_ZL36rocblas_hemvn_kernel_upper_block_sumILi64EidPddEviT1_lS1_lT2_lT0_lPT3_i: ; @_ZL36rocblas_hemvn_kernel_upper_block_sumILi64EidPddEviT1_lS1_lT2_lT0_lPT3_i
; %bb.0:
	s_clause 0x1
	s_load_b64 s[8:9], s[0:1], 0x8
	s_load_b64 s[10:11], s[0:1], 0x18
	s_waitcnt lgkmcnt(0)
	v_cmp_eq_f64_e64 s2, s[8:9], 0
	v_cmp_eq_f64_e64 s3, s[10:11], 1.0
	s_delay_alu instid0(VALU_DEP_1) | instskip(NEXT) | instid1(SALU_CYCLE_1)
	s_and_b32 s2, s2, s3
	s_and_b32 vcc_lo, exec_lo, s2
	s_cbranch_vccnz .LBB101_19
; %bb.1:
	v_cmp_neq_f64_e64 s13, s[8:9], 0
	s_clause 0x3
	s_load_b128 s[4:7], s[0:1], 0x40
	s_load_b128 s[20:23], s[0:1], 0x28
	s_load_b32 s16, s[0:1], 0x38
	s_load_b32 s12, s[0:1], 0x0
	v_lshl_or_b32 v0, s14, 6, v0
	s_waitcnt lgkmcnt(0)
	s_mul_i32 s3, s15, s5
	s_mul_hi_u32 s5, s15, s4
	s_mul_i32 s2, s15, s4
	s_add_i32 s3, s5, s3
	s_delay_alu instid0(SALU_CYCLE_1) | instskip(NEXT) | instid1(SALU_CYCLE_1)
	s_lshl_b64 s[2:3], s[2:3], 3
	s_add_u32 s2, s20, s2
	s_addc_u32 s17, s21, s3
	s_lshl_b64 s[4:5], s[22:23], 3
	s_delay_alu instid0(SALU_CYCLE_1) | instskip(SKIP_3) | instid1(VALU_DEP_3)
	s_add_u32 s3, s2, s4
	v_cmp_gt_i32_e64 s2, s12, v0
	s_addc_u32 s4, s17, s5
	s_mov_b32 s5, 0
	s_and_b32 vcc_lo, exec_lo, s13
	s_cbranch_vccnz .LBB101_6
; %bb.2:
	s_mov_b32 s13, 0
                                        ; implicit-def: $vgpr3_vgpr4
                                        ; implicit-def: $vgpr1_vgpr2
	s_and_saveexec_b32 s17, s2
	s_cbranch_execz .LBB101_7
; %bb.3:
	v_cmp_eq_f64_e64 s2, s[10:11], 0
	v_mul_lo_u32 v1, v0, s16
	v_mov_b32_e32 v3, 0
	v_mov_b32_e32 v4, 0
	s_delay_alu instid0(VALU_DEP_3)
	v_ashrrev_i32_e32 v2, 31, v1
	s_and_b32 vcc_lo, exec_lo, s2
	s_cbranch_vccnz .LBB101_5
; %bb.4:
	s_delay_alu instid0(VALU_DEP_1) | instskip(NEXT) | instid1(VALU_DEP_1)
	v_lshlrev_b64 v[3:4], 3, v[1:2]
	v_add_co_u32 v3, vcc_lo, s3, v3
	s_delay_alu instid0(VALU_DEP_2)
	v_add_co_ci_u32_e32 v4, vcc_lo, s4, v4, vcc_lo
	global_load_b64 v[3:4], v[3:4], off
	s_waitcnt vmcnt(0)
	v_mul_f64 v[3:4], v[3:4], s[10:11]
.LBB101_5:
	s_mov_b32 s5, exec_lo
	s_or_b32 exec_lo, exec_lo, s17
	s_delay_alu instid0(SALU_CYCLE_1)
	s_and_b32 vcc_lo, exec_lo, s13
	s_cbranch_vccnz .LBB101_8
	s_branch .LBB101_17
.LBB101_6:
                                        ; implicit-def: $vgpr3_vgpr4
                                        ; implicit-def: $vgpr1_vgpr2
	s_cbranch_execnz .LBB101_8
	s_branch .LBB101_17
.LBB101_7:
	s_or_b32 exec_lo, exec_lo, s17
	s_delay_alu instid0(SALU_CYCLE_1)
	s_and_b32 vcc_lo, exec_lo, s13
	s_cbranch_vccz .LBB101_17
.LBB101_8:
	s_mov_b32 s2, exec_lo
                                        ; implicit-def: $vgpr3_vgpr4
                                        ; implicit-def: $vgpr1_vgpr2
	v_cmpx_gt_i32_e64 s12, v0
	s_cbranch_execz .LBB101_16
; %bb.9:
	v_mov_b32_e32 v5, 0
	v_mov_b32_e32 v6, 0
	s_cmp_lt_i32 s14, 0
	s_cbranch_scc1 .LBB101_12
; %bb.10:
	s_load_b32 s0, s[0:1], 0x58
	s_ashr_i32 s13, s12, 31
	s_mul_hi_u32 s1, s12, s15
	s_mul_i32 s17, s13, s15
	v_mov_b32_e32 v1, 0
	s_mul_i32 s15, s12, s15
	s_add_i32 s1, s1, s17
	v_mov_b32_e32 v5, 0
	v_mov_b32_e32 v6, 0
	v_lshlrev_b64 v[1:2], 3, v[0:1]
	s_waitcnt lgkmcnt(0)
	s_mul_i32 s1, s1, s0
	s_mul_hi_u32 s17, s15, s0
	s_mul_i32 s0, s15, s0
	s_add_i32 s1, s17, s1
	s_delay_alu instid0(SALU_CYCLE_1) | instskip(NEXT) | instid1(SALU_CYCLE_1)
	s_lshl_b64 s[0:1], s[0:1], 3
	s_add_u32 s0, s6, s0
	s_addc_u32 s1, s7, s1
	v_add_co_u32 v1, vcc_lo, s0, v1
	v_add_co_ci_u32_e32 v2, vcc_lo, s1, v2, vcc_lo
	s_add_i32 s6, s14, 1
	s_lshl_b64 s[0:1], s[12:13], 3
.LBB101_11:                             ; =>This Inner Loop Header: Depth=1
	global_load_b64 v[3:4], v[1:2], off
	v_add_co_u32 v1, vcc_lo, v1, s0
	v_add_co_ci_u32_e32 v2, vcc_lo, s1, v2, vcc_lo
	s_add_i32 s6, s6, -1
	s_delay_alu instid0(SALU_CYCLE_1)
	s_cmp_eq_u32 s6, 0
	s_waitcnt vmcnt(0)
	v_add_f64 v[5:6], v[5:6], v[3:4]
	s_cbranch_scc0 .LBB101_11
.LBB101_12:
	v_cmp_eq_f64_e64 s0, s[10:11], 0
	v_mul_lo_u32 v1, v0, s16
	s_delay_alu instid0(VALU_DEP_1) | instskip(NEXT) | instid1(VALU_DEP_3)
	v_ashrrev_i32_e32 v2, 31, v1
	s_and_b32 vcc_lo, exec_lo, s0
	s_cbranch_vccz .LBB101_20
; %bb.13:
	s_delay_alu instid0(VALU_DEP_4)
	v_mul_f64 v[3:4], v[5:6], s[8:9]
	s_cbranch_execnz .LBB101_15
.LBB101_14:
	s_delay_alu instid0(VALU_DEP_1) | instskip(NEXT) | instid1(VALU_DEP_1)
	v_lshlrev_b64 v[3:4], 3, v[1:2]
	v_add_co_u32 v3, vcc_lo, s3, v3
	s_delay_alu instid0(VALU_DEP_2) | instskip(SKIP_3) | instid1(VALU_DEP_1)
	v_add_co_ci_u32_e32 v4, vcc_lo, s4, v4, vcc_lo
	global_load_b64 v[3:4], v[3:4], off
	s_waitcnt vmcnt(0)
	v_mul_f64 v[3:4], v[3:4], s[10:11]
	v_fma_f64 v[3:4], v[5:6], s[8:9], v[3:4]
.LBB101_15:
	s_or_b32 s5, s5, exec_lo
.LBB101_16:
	s_or_b32 exec_lo, exec_lo, s2
.LBB101_17:
	s_and_saveexec_b32 s0, s5
	s_cbranch_execz .LBB101_19
; %bb.18:
	v_lshlrev_b64 v[0:1], 3, v[1:2]
	s_delay_alu instid0(VALU_DEP_1) | instskip(NEXT) | instid1(VALU_DEP_2)
	v_add_co_u32 v0, vcc_lo, s3, v0
	v_add_co_ci_u32_e32 v1, vcc_lo, s4, v1, vcc_lo
	global_store_b64 v[0:1], v[3:4], off
.LBB101_19:
	s_nop 0
	s_sendmsg sendmsg(MSG_DEALLOC_VGPRS)
	s_endpgm
.LBB101_20:
                                        ; implicit-def: $vgpr3_vgpr4
	s_branch .LBB101_14
	.section	.rodata,"a",@progbits
	.p2align	6, 0x0
	.amdhsa_kernel _ZL36rocblas_hemvn_kernel_upper_block_sumILi64EidPddEviT1_lS1_lT2_lT0_lPT3_i
		.amdhsa_group_segment_fixed_size 0
		.amdhsa_private_segment_fixed_size 0
		.amdhsa_kernarg_size 344
		.amdhsa_user_sgpr_count 14
		.amdhsa_user_sgpr_dispatch_ptr 0
		.amdhsa_user_sgpr_queue_ptr 0
		.amdhsa_user_sgpr_kernarg_segment_ptr 1
		.amdhsa_user_sgpr_dispatch_id 0
		.amdhsa_user_sgpr_private_segment_size 0
		.amdhsa_wavefront_size32 1
		.amdhsa_uses_dynamic_stack 0
		.amdhsa_enable_private_segment 0
		.amdhsa_system_sgpr_workgroup_id_x 1
		.amdhsa_system_sgpr_workgroup_id_y 0
		.amdhsa_system_sgpr_workgroup_id_z 1
		.amdhsa_system_sgpr_workgroup_info 0
		.amdhsa_system_vgpr_workitem_id 0
		.amdhsa_next_free_vgpr 7
		.amdhsa_next_free_sgpr 24
		.amdhsa_reserve_vcc 1
		.amdhsa_float_round_mode_32 0
		.amdhsa_float_round_mode_16_64 0
		.amdhsa_float_denorm_mode_32 3
		.amdhsa_float_denorm_mode_16_64 3
		.amdhsa_dx10_clamp 1
		.amdhsa_ieee_mode 1
		.amdhsa_fp16_overflow 0
		.amdhsa_workgroup_processor_mode 1
		.amdhsa_memory_ordered 1
		.amdhsa_forward_progress 0
		.amdhsa_shared_vgpr_count 0
		.amdhsa_exception_fp_ieee_invalid_op 0
		.amdhsa_exception_fp_denorm_src 0
		.amdhsa_exception_fp_ieee_div_zero 0
		.amdhsa_exception_fp_ieee_overflow 0
		.amdhsa_exception_fp_ieee_underflow 0
		.amdhsa_exception_fp_ieee_inexact 0
		.amdhsa_exception_int_div_zero 0
	.end_amdhsa_kernel
	.section	.text._ZL36rocblas_hemvn_kernel_upper_block_sumILi64EidPddEviT1_lS1_lT2_lT0_lPT3_i,"axG",@progbits,_ZL36rocblas_hemvn_kernel_upper_block_sumILi64EidPddEviT1_lS1_lT2_lT0_lPT3_i,comdat
.Lfunc_end101:
	.size	_ZL36rocblas_hemvn_kernel_upper_block_sumILi64EidPddEviT1_lS1_lT2_lT0_lPT3_i, .Lfunc_end101-_ZL36rocblas_hemvn_kernel_upper_block_sumILi64EidPddEviT1_lS1_lT2_lT0_lPT3_i
                                        ; -- End function
	.section	.AMDGPU.csdata,"",@progbits
; Kernel info:
; codeLenInByte = 680
; NumSgprs: 26
; NumVgprs: 7
; ScratchSize: 0
; MemoryBound: 0
; FloatMode: 240
; IeeeMode: 1
; LDSByteSize: 0 bytes/workgroup (compile time only)
; SGPRBlocks: 3
; VGPRBlocks: 0
; NumSGPRsForWavesPerEU: 26
; NumVGPRsForWavesPerEU: 7
; Occupancy: 16
; WaveLimiterHint : 0
; COMPUTE_PGM_RSRC2:SCRATCH_EN: 0
; COMPUTE_PGM_RSRC2:USER_SGPR: 14
; COMPUTE_PGM_RSRC2:TRAP_HANDLER: 0
; COMPUTE_PGM_RSRC2:TGID_X_EN: 1
; COMPUTE_PGM_RSRC2:TGID_Y_EN: 0
; COMPUTE_PGM_RSRC2:TGID_Z_EN: 1
; COMPUTE_PGM_RSRC2:TIDIG_COMP_CNT: 0
	.section	.text._ZL50rocblas_symv_kernel_lower_double_buffered_diagonalILi32ELi4E24rocblas_internal_val_ptrIdEPKdPdEvbiT1_lT2_lllS6_lllS5_lT3_llli,"axG",@progbits,_ZL50rocblas_symv_kernel_lower_double_buffered_diagonalILi32ELi4E24rocblas_internal_val_ptrIdEPKdPdEvbiT1_lT2_lllS6_lllS5_lT3_llli,comdat
	.globl	_ZL50rocblas_symv_kernel_lower_double_buffered_diagonalILi32ELi4E24rocblas_internal_val_ptrIdEPKdPdEvbiT1_lT2_lllS6_lllS5_lT3_llli ; -- Begin function _ZL50rocblas_symv_kernel_lower_double_buffered_diagonalILi32ELi4E24rocblas_internal_val_ptrIdEPKdPdEvbiT1_lT2_lllS6_lllS5_lT3_llli
	.p2align	8
	.type	_ZL50rocblas_symv_kernel_lower_double_buffered_diagonalILi32ELi4E24rocblas_internal_val_ptrIdEPKdPdEvbiT1_lT2_lllS6_lllS5_lT3_llli,@function
_ZL50rocblas_symv_kernel_lower_double_buffered_diagonalILi32ELi4E24rocblas_internal_val_ptrIdEPKdPdEvbiT1_lT2_lllS6_lllS5_lT3_llli: ; @_ZL50rocblas_symv_kernel_lower_double_buffered_diagonalILi32ELi4E24rocblas_internal_val_ptrIdEPKdPdEvbiT1_lT2_lllS6_lllS5_lT3_llli
; %bb.0:
	s_clause 0x2
	s_load_b32 s2, s[0:1], 0x0
	s_load_b512 s[16:31], s[0:1], 0x8
	s_load_b256 s[4:11], s[0:1], 0x48
	s_waitcnt lgkmcnt(0)
	s_bitcmp1_b32 s2, 0
	v_dual_mov_b32 v1, s16 :: v_dual_mov_b32 v2, s17
	s_cselect_b32 s2, -1, 0
	s_delay_alu instid0(SALU_CYCLE_1)
	s_and_b32 vcc_lo, exec_lo, s2
	s_xor_b32 s2, s2, -1
	s_cbranch_vccnz .LBB102_2
; %bb.1:
	s_mul_i32 s3, s15, s19
	s_mul_hi_u32 s12, s15, s18
	s_delay_alu instid0(SALU_CYCLE_1) | instskip(SKIP_1) | instid1(SALU_CYCLE_1)
	s_add_i32 s13, s12, s3
	s_mul_i32 s12, s15, s18
	s_lshl_b64 s[12:13], s[12:13], 3
	s_delay_alu instid0(SALU_CYCLE_1) | instskip(SKIP_1) | instid1(SALU_CYCLE_1)
	s_add_u32 s12, s16, s12
	s_addc_u32 s13, s17, s13
	v_dual_mov_b32 v1, s12 :: v_dual_mov_b32 v2, s13
	flat_load_b64 v[1:2], v[1:2]
.LBB102_2:
	v_dual_mov_b32 v3, s8 :: v_dual_mov_b32 v4, s9
	s_and_not1_b32 vcc_lo, exec_lo, s2
	s_cbranch_vccnz .LBB102_4
; %bb.3:
	s_mul_i32 s2, s15, s11
	s_mul_hi_u32 s3, s15, s10
	s_delay_alu instid0(SALU_CYCLE_1) | instskip(SKIP_1) | instid1(SALU_CYCLE_1)
	s_add_i32 s3, s3, s2
	s_mul_i32 s2, s15, s10
	s_lshl_b64 s[2:3], s[2:3], 3
	s_delay_alu instid0(SALU_CYCLE_1) | instskip(SKIP_1) | instid1(SALU_CYCLE_1)
	s_add_u32 s2, s8, s2
	s_addc_u32 s3, s9, s3
	v_dual_mov_b32 v4, s3 :: v_dual_mov_b32 v3, s2
	flat_load_b64 v[3:4], v[3:4]
.LBB102_4:
	s_waitcnt vmcnt(0) lgkmcnt(0)
	v_cmp_neq_f64_e32 vcc_lo, 0, v[1:2]
	v_cmp_neq_f64_e64 s2, 1.0, v[3:4]
	s_delay_alu instid0(VALU_DEP_1) | instskip(NEXT) | instid1(SALU_CYCLE_1)
	s_or_b32 s2, vcc_lo, s2
	s_and_saveexec_b32 s3, s2
	s_cbranch_execz .LBB102_36
; %bb.5:
	s_clause 0x2
	s_load_b64 s[8:9], s[0:1], 0x80
	s_load_b64 s[10:11], s[0:1], 0x68
	s_load_b128 s[0:3], s[0:1], 0x70
	v_cmp_eq_f64_e32 vcc_lo, 0, v[1:2]
	v_and_b32_e32 v9, 0x3ff, v0
	v_bfe_u32 v0, v0, 10, 10
	s_waitcnt lgkmcnt(0)
	s_mul_i32 s9, s15, s9
	s_mul_hi_u32 s12, s15, s8
	s_mul_i32 s8, s15, s8
	s_add_i32 s9, s12, s9
	s_delay_alu instid0(SALU_CYCLE_1) | instskip(NEXT) | instid1(SALU_CYCLE_1)
	s_lshl_b64 s[8:9], s[8:9], 3
	s_add_u32 s8, s10, s8
	s_addc_u32 s9, s11, s9
	s_lshl_b64 s[0:1], s[0:1], 3
	s_delay_alu instid0(SALU_CYCLE_1) | instskip(SKIP_2) | instid1(SALU_CYCLE_1)
	s_add_u32 s8, s8, s0
	s_addc_u32 s11, s9, s1
	s_lshl_b32 s9, s14, 5
	s_mul_i32 s0, s9, s3
	s_mul_hi_u32 s1, s9, s2
	s_ashr_i32 s10, s9, 31
	s_add_i32 s0, s1, s0
	s_mul_i32 s1, s10, s2
	s_delay_alu instid0(SALU_CYCLE_1) | instskip(SKIP_1) | instid1(SALU_CYCLE_1)
	s_add_i32 s1, s0, s1
	s_mul_i32 s0, s9, s2
	s_lshl_b64 s[12:13], s[0:1], 3
	s_delay_alu instid0(SALU_CYCLE_1) | instskip(SKIP_2) | instid1(SALU_CYCLE_1)
	s_add_u32 s1, s8, s12
	s_addc_u32 s8, s11, s13
	s_and_saveexec_b32 s0, vcc_lo
	s_xor_b32 s0, exec_lo, s0
	s_cbranch_execz .LBB102_9
; %bb.6:
	s_mov_b32 s11, exec_lo
	v_cmpx_eq_u32_e32 0, v0
	s_cbranch_execz .LBB102_8
; %bb.7:
	v_mad_u64_u32 v[0:1], null, v9, s2, 0
	s_delay_alu instid0(VALU_DEP_1) | instskip(NEXT) | instid1(VALU_DEP_1)
	v_mad_u64_u32 v[5:6], null, v9, s3, v[1:2]
	v_mov_b32_e32 v1, v5
	s_delay_alu instid0(VALU_DEP_1) | instskip(NEXT) | instid1(VALU_DEP_1)
	v_lshlrev_b64 v[0:1], 3, v[0:1]
	v_add_co_u32 v0, vcc_lo, s1, v0
	s_delay_alu instid0(VALU_DEP_2)
	v_add_co_ci_u32_e32 v1, vcc_lo, s8, v1, vcc_lo
	global_load_b64 v[5:6], v[0:1], off
	s_waitcnt vmcnt(0)
	v_mul_f64 v[2:3], v[3:4], v[5:6]
	global_store_b64 v[0:1], v[2:3], off
.LBB102_8:
	s_or_b32 exec_lo, exec_lo, s11
                                        ; implicit-def: $vgpr0
                                        ; implicit-def: $vgpr9
                                        ; implicit-def: $vgpr1_vgpr2
                                        ; implicit-def: $vgpr3_vgpr4
.LBB102_9:
	s_and_not1_saveexec_b32 s0, s0
	s_cbranch_execz .LBB102_36
; %bb.10:
	v_mov_b32_e32 v5, 0
	v_mov_b32_e32 v6, 0
	v_cmp_eq_u32_e32 vcc_lo, 0, v0
	s_and_saveexec_b32 s11, vcc_lo
	s_cbranch_execz .LBB102_14
; %bb.11:
	v_mov_b32_e32 v5, 0
	v_mov_b32_e32 v6, 0
	s_mov_b32 s12, exec_lo
	v_cmpx_neq_f64_e32 0, v[3:4]
	s_cbranch_execz .LBB102_13
; %bb.12:
	v_mad_u64_u32 v[5:6], null, v9, s2, 0
	s_delay_alu instid0(VALU_DEP_1) | instskip(NEXT) | instid1(VALU_DEP_1)
	v_mad_u64_u32 v[7:8], null, v9, s3, v[6:7]
	v_mov_b32_e32 v6, v7
	s_delay_alu instid0(VALU_DEP_1) | instskip(NEXT) | instid1(VALU_DEP_1)
	v_lshlrev_b64 v[5:6], 3, v[5:6]
	v_add_co_u32 v5, s0, s1, v5
	s_delay_alu instid0(VALU_DEP_1)
	v_add_co_ci_u32_e64 v6, s0, s8, v6, s0
	global_load_b64 v[5:6], v[5:6], off
	s_waitcnt vmcnt(0)
	v_mul_f64 v[5:6], v[3:4], v[5:6]
.LBB102_13:
	s_or_b32 exec_lo, exec_lo, s12
	v_mad_u64_u32 v[7:8], null, v9, s4, 0
	s_mul_i32 s0, s15, s7
	s_mul_hi_u32 s7, s15, s6
	s_mul_i32 s6, s15, s6
	s_add_i32 s7, s7, s0
	s_mul_i32 s12, s9, s5
	s_lshl_b64 s[6:7], s[6:7], 3
	s_delay_alu instid0(VALU_DEP_1)
	v_mad_u64_u32 v[10:11], null, v9, s5, v[8:9]
	s_add_u32 s5, s28, s6
	s_addc_u32 s13, s29, s7
	s_lshl_b64 s[6:7], s[30:31], 3
	s_mul_hi_u32 s0, s9, s4
	s_add_u32 s6, s5, s6
	s_mul_i32 s14, s10, s4
	s_delay_alu instid0(VALU_DEP_1)
	v_mov_b32_e32 v8, v10
	s_addc_u32 s7, s13, s7
	s_add_i32 s0, s0, s12
	s_mul_i32 s4, s9, s4
	s_add_i32 s5, s0, s14
	v_lshlrev_b64 v[7:8], 3, v[7:8]
	s_lshl_b64 s[4:5], s[4:5], 3
	v_lshlrev_b32_e32 v10, 3, v9
	s_add_u32 s0, s6, s4
	s_addc_u32 s4, s7, s5
	s_delay_alu instid0(VALU_DEP_2) | instskip(NEXT) | instid1(VALU_DEP_1)
	v_add_co_u32 v7, s0, s0, v7
	v_add_co_ci_u32_e64 v8, s0, s4, v8, s0
	global_load_b64 v[7:8], v[7:8], off
	s_waitcnt vmcnt(0)
	ds_store_b64 v10, v[7:8] offset:10240
.LBB102_14:
	s_or_b32 exec_lo, exec_lo, s11
	v_mad_u64_u32 v[7:8], null, v0, s24, 0
	s_mul_i32 s0, s15, s27
	s_mul_hi_u32 s5, s15, s26
	s_mul_i32 s4, s15, s26
	s_add_i32 s5, s5, s0
	v_add_nc_u32_e32 v17, 4, v0
	s_lshl_b64 s[4:5], s[4:5], 3
	s_delay_alu instid0(VALU_DEP_2) | instskip(SKIP_3) | instid1(SALU_CYCLE_1)
	v_mad_u64_u32 v[10:11], null, v0, s25, v[8:9]
	s_add_u32 s0, s20, s4
	s_addc_u32 s6, s21, s5
	s_lshl_b64 s[4:5], s[22:23], 3
	s_add_u32 s0, s0, s4
	s_addc_u32 s6, s6, s5
	s_add_u32 s4, s24, 1
	s_delay_alu instid0(VALU_DEP_1)
	v_mov_b32_e32 v8, v10
	s_addc_u32 s5, s25, 0
	s_mul_i32 s7, s4, s10
	s_mul_hi_u32 s10, s4, s9
	s_mul_i32 s5, s5, s9
	s_add_i32 s7, s10, s7
	s_mul_i32 s4, s4, s9
	s_add_i32 s5, s7, s5
	v_lshlrev_b64 v[7:8], 3, v[7:8]
	s_lshl_b64 s[4:5], s[4:5], 3
	v_lshlrev_b32_e32 v10, 3, v9
	s_add_u32 s0, s0, s4
	s_addc_u32 s4, s6, s5
	s_mov_b32 s6, exec_lo
	v_add_co_u32 v7, s0, s0, v7
	s_delay_alu instid0(VALU_DEP_1) | instskip(SKIP_1) | instid1(VALU_DEP_2)
	v_add_co_ci_u32_e64 v8, s0, s4, v8, s0
	s_lshl_b64 s[4:5], s[24:25], 5
	v_add_co_u32 v11, s0, v7, v10
	s_delay_alu instid0(VALU_DEP_1) | instskip(NEXT) | instid1(VALU_DEP_2)
	v_add_co_ci_u32_e64 v12, s0, 0, v8, s0
	v_add_co_u32 v13, s0, v11, s4
	s_delay_alu instid0(VALU_DEP_1) | instskip(NEXT) | instid1(VALU_DEP_2)
	v_add_co_ci_u32_e64 v14, s0, s5, v12, s0
	;; [unrolled: 3-line block ×3, first 2 shown]
	v_add_co_u32 v7, s0, v15, s4
	s_delay_alu instid0(VALU_DEP_1)
	v_add_co_ci_u32_e64 v8, s0, s5, v16, s0
	s_clause 0x1
	global_load_b64 v[18:19], v[11:12], off
	global_load_b64 v[20:21], v[13:14], off
	;; [unrolled: 1-line block ×4, first 2 shown]
	v_add_nc_u32_e32 v16, 8, v0
	v_add_nc_u32_e32 v15, 12, v0
	v_lshl_add_u32 v11, v0, 5, v9
	v_lshlrev_b32_e32 v12, 5, v17
	s_delay_alu instid0(VALU_DEP_4) | instskip(NEXT) | instid1(VALU_DEP_4)
	v_lshlrev_b32_e32 v13, 5, v16
	v_lshlrev_b32_e32 v26, 5, v15
	s_delay_alu instid0(VALU_DEP_4) | instskip(NEXT) | instid1(VALU_DEP_4)
	v_lshlrev_b32_e32 v11, 3, v11
	v_add_lshl_u32 v14, v12, v9, 3
	s_delay_alu instid0(VALU_DEP_4) | instskip(NEXT) | instid1(VALU_DEP_4)
	v_add_lshl_u32 v13, v13, v9, 3
	v_add_lshl_u32 v12, v26, v9, 3
	s_waitcnt vmcnt(3)
	ds_store_b64 v11, v[18:19]
	s_waitcnt vmcnt(2)
	ds_store_b64 v14, v[20:21]
	;; [unrolled: 2-line block ×4, first 2 shown]
	v_cmpx_lt_u32_e32 15, v9
	s_cbranch_execz .LBB102_16
; %bb.15:
	v_add_co_u32 v7, s0, v7, s4
	s_lshl_b64 s[10:11], s[24:25], 2
	v_add_co_ci_u32_e64 v8, s0, s5, v8, s0
	s_lshl_b64 s[10:11], s[10:11], 3
	s_delay_alu instid0(VALU_DEP_2) | instid1(SALU_CYCLE_1)
	v_add_co_u32 v18, s0, v7, s10
	s_delay_alu instid0(VALU_DEP_1) | instskip(NEXT) | instid1(VALU_DEP_2)
	v_add_co_ci_u32_e64 v19, s0, s11, v8, s0
	v_add_co_u32 v20, s0, v18, s4
	s_delay_alu instid0(VALU_DEP_1) | instskip(NEXT) | instid1(VALU_DEP_2)
	v_add_co_ci_u32_e64 v21, s0, s5, v19, s0
	v_add_co_u32 v22, s0, v20, s4
	s_delay_alu instid0(VALU_DEP_1)
	v_add_co_ci_u32_e64 v23, s0, s5, v21, s0
	global_load_b64 v[7:8], v[7:8], off
	global_load_b64 v[18:19], v[18:19], off
	;; [unrolled: 1-line block ×4, first 2 shown]
	s_waitcnt vmcnt(2)
	ds_store_2addr_stride64_b64 v11, v[7:8], v[18:19] offset0:8 offset1:10
	s_waitcnt vmcnt(0)
	ds_store_2addr_stride64_b64 v11, v[20:21], v[22:23] offset0:12 offset1:14
.LBB102_16:
	s_or_b32 exec_lo, exec_lo, s6
	v_lshlrev_b32_e32 v7, 5, v9
	s_mov_b32 s4, exec_lo
	s_waitcnt lgkmcnt(0)
	s_waitcnt_vscnt null, 0x0
	s_barrier
	buffer_gl0_inv
	v_cmpx_lt_u32_e64 v9, v0
	s_cbranch_execz .LBB102_18
; %bb.17:
	v_add_lshl_u32 v8, v7, v0, 3
	ds_load_b64 v[18:19], v8
	s_waitcnt lgkmcnt(0)
	ds_store_b64 v11, v[18:19]
.LBB102_18:
	s_or_b32 exec_lo, exec_lo, s4
	v_sub_nc_u32_e32 v8, v9, v0
	v_add_lshl_u32 v19, v0, v7, 3
	s_mov_b32 s4, exec_lo
	s_delay_alu instid0(VALU_DEP_2) | instskip(NEXT) | instid1(VALU_DEP_1)
	v_sub_nc_u32_e32 v18, 0, v8
	v_max_i32_e32 v18, v8, v18
	s_delay_alu instid0(VALU_DEP_1)
	v_cmpx_gt_u32_e32 4, v18
	s_cbranch_execz .LBB102_20
; %bb.19:
	ds_load_b64 v[20:21], v19 offset:32
	s_waitcnt lgkmcnt(0)
	ds_store_b64 v14, v[20:21]
.LBB102_20:
	s_or_b32 exec_lo, exec_lo, s4
	s_delay_alu instid0(SALU_CYCLE_1)
	s_mov_b32 s4, exec_lo
	v_cmpx_gt_u32_e32 8, v18
	s_cbranch_execz .LBB102_22
; %bb.21:
	ds_load_b64 v[20:21], v19 offset:64
	s_waitcnt lgkmcnt(0)
	ds_store_b64 v13, v[20:21]
.LBB102_22:
	s_or_b32 exec_lo, exec_lo, s4
	s_delay_alu instid0(SALU_CYCLE_1)
	s_mov_b32 s4, exec_lo
	v_cmpx_gt_u32_e32 12, v18
	s_cbranch_execz .LBB102_24
; %bb.23:
	ds_load_b64 v[20:21], v19 offset:96
	s_waitcnt lgkmcnt(0)
	ds_store_b64 v12, v[20:21]
.LBB102_24:
	s_or_b32 exec_lo, exec_lo, s4
	v_add_nc_u32_e32 v8, 16, v0
	s_mov_b32 s4, exec_lo
	s_delay_alu instid0(VALU_DEP_1)
	v_lshlrev_b32_e32 v8, 5, v8
	v_cmpx_gt_u32_e32 16, v18
	s_cbranch_execz .LBB102_26
; %bb.25:
	ds_load_b64 v[19:20], v19 offset:128
	v_add_lshl_u32 v21, v8, v9, 3
	s_waitcnt lgkmcnt(0)
	ds_store_b64 v21, v[19:20]
.LBB102_26:
	s_or_b32 exec_lo, exec_lo, s4
	s_delay_alu instid0(SALU_CYCLE_1)
	s_mov_b32 s4, exec_lo
	v_cmpx_gt_u32_e32 20, v18
	s_cbranch_execz .LBB102_28
; %bb.27:
	v_add_lshl_u32 v17, v17, v7, 3
	ds_load_b64 v[19:20], v17 offset:128
	s_waitcnt lgkmcnt(0)
	ds_store_b64 v11, v[19:20] offset:5120
.LBB102_28:
	s_or_b32 exec_lo, exec_lo, s4
	s_delay_alu instid0(SALU_CYCLE_1)
	s_mov_b32 s4, exec_lo
	v_cmpx_gt_u32_e32 24, v18
	s_cbranch_execz .LBB102_30
; %bb.29:
	v_add_lshl_u32 v16, v16, v7, 3
	ds_load_b64 v[16:17], v16 offset:128
	s_waitcnt lgkmcnt(0)
	ds_store_b64 v11, v[16:17] offset:6144
.LBB102_30:
	s_or_b32 exec_lo, exec_lo, s4
	v_cmp_lt_u32_e64 s0, 27, v18
	v_add_nc_u32_e32 v16, 28, v0
                                        ; implicit-def: $vgpr17
	s_delay_alu instid0(VALU_DEP_2) | instskip(NEXT) | instid1(SALU_CYCLE_1)
	s_and_saveexec_b32 s4, s0
	s_xor_b32 s0, exec_lo, s4
; %bb.31:
	v_add_nc_u32_e32 v16, 28, v0
                                        ; implicit-def: $vgpr15
                                        ; implicit-def: $vgpr7
	s_delay_alu instid0(VALU_DEP_1)
	v_lshl_add_u32 v17, v16, 5, v9
; %bb.32:
	s_and_not1_saveexec_b32 s0, s0
	s_cbranch_execz .LBB102_34
; %bb.33:
	v_add_lshl_u32 v7, v15, v7, 3
	v_lshl_add_u32 v17, v16, 5, v9
	ds_load_b64 v[18:19], v7 offset:128
	v_lshlrev_b32_e32 v7, 3, v17
	s_waitcnt lgkmcnt(0)
	ds_store_b64 v7, v[18:19]
.LBB102_34:
	s_or_b32 exec_lo, exec_lo, s0
	v_lshlrev_b32_e32 v28, 3, v0
	s_waitcnt lgkmcnt(0)
	s_barrier
	buffer_gl0_inv
	v_add_lshl_u32 v8, v8, v9, 3
	v_add_nc_u32_e32 v7, 0x2800, v28
	v_lshlrev_b32_e32 v0, 5, v0
	v_lshlrev_b32_e32 v17, 3, v17
	;; [unrolled: 1-line block ×3, first 2 shown]
	ds_load_2addr_b64 v[18:21], v7 offset1:4
	ds_load_b64 v[22:23], v11
	ds_load_b64 v[14:15], v14
	;; [unrolled: 1-line block ×4, first 2 shown]
	v_add_lshl_u32 v0, v0, v9, 3
	s_waitcnt lgkmcnt(3)
	v_fma_f64 v[12:13], v[22:23], v[18:19], 0
	s_waitcnt lgkmcnt(2)
	s_delay_alu instid0(VALU_DEP_1) | instskip(SKIP_3) | instid1(VALU_DEP_1)
	v_fma_f64 v[18:19], v[14:15], v[20:21], v[12:13]
	ds_load_2addr_b64 v[12:15], v7 offset0:8 offset1:12
	s_waitcnt lgkmcnt(0)
	v_fma_f64 v[12:13], v[24:25], v[12:13], v[18:19]
	v_fma_f64 v[18:19], v[26:27], v[14:15], v[12:13]
	ds_load_2addr_b64 v[12:15], v7 offset0:16 offset1:20
	ds_load_b64 v[7:8], v8
	ds_load_b64 v[20:21], v17
	ds_load_b64 v[22:23], v16 offset:10240
	ds_load_b64 v[24:25], v28 offset:10432
	s_waitcnt lgkmcnt(3)
	v_fma_f64 v[7:8], v[7:8], v[12:13], v[18:19]
	ds_load_2addr_stride64_b64 v[16:19], v0 offset0:10 offset1:12
	s_waitcnt lgkmcnt(0)
	v_fma_f64 v[7:8], v[16:17], v[14:15], v[7:8]
	s_delay_alu instid0(VALU_DEP_1) | instskip(NEXT) | instid1(VALU_DEP_1)
	v_fma_f64 v[7:8], v[18:19], v[24:25], v[7:8]
	v_fma_f64 v[7:8], v[20:21], v[22:23], v[7:8]
	ds_store_b64 v11, v[7:8] offset:8192
	s_waitcnt lgkmcnt(0)
	s_barrier
	buffer_gl0_inv
	s_and_saveexec_b32 s0, vcc_lo
	s_cbranch_execz .LBB102_36
; %bb.35:
	v_add_nc_u32_e32 v0, 0x2000, v10
	v_cmp_neq_f64_e32 vcc_lo, 0, v[3:4]
	ds_load_2addr_b64 v[10:13], v0 offset1:32
	s_waitcnt lgkmcnt(0)
	v_add_f64 v[7:8], v[10:11], 0
	s_delay_alu instid0(VALU_DEP_1) | instskip(SKIP_3) | instid1(VALU_DEP_1)
	v_add_f64 v[7:8], v[7:8], v[12:13]
	ds_load_2addr_b64 v[10:13], v0 offset0:64 offset1:96
	s_waitcnt lgkmcnt(0)
	v_add_f64 v[7:8], v[7:8], v[10:11]
	v_add_f64 v[7:8], v[7:8], v[12:13]
	s_delay_alu instid0(VALU_DEP_1) | instskip(SKIP_2) | instid1(VALU_DEP_1)
	v_mul_f64 v[10:11], v[1:2], v[7:8]
	v_fma_f64 v[0:1], v[1:2], v[7:8], v[5:6]
	v_mad_u64_u32 v[2:3], null, v9, s2, 0
	v_mad_u64_u32 v[4:5], null, v9, s3, v[3:4]
	s_delay_alu instid0(VALU_DEP_1) | instskip(NEXT) | instid1(VALU_DEP_1)
	v_mov_b32_e32 v3, v4
	v_lshlrev_b64 v[2:3], 3, v[2:3]
	v_dual_cndmask_b32 v1, v11, v1 :: v_dual_cndmask_b32 v0, v10, v0
	s_delay_alu instid0(VALU_DEP_2) | instskip(NEXT) | instid1(VALU_DEP_3)
	v_add_co_u32 v2, vcc_lo, s1, v2
	v_add_co_ci_u32_e32 v3, vcc_lo, s8, v3, vcc_lo
	global_store_b64 v[2:3], v[0:1], off
.LBB102_36:
	s_nop 0
	s_sendmsg sendmsg(MSG_DEALLOC_VGPRS)
	s_endpgm
	.section	.rodata,"a",@progbits
	.p2align	6, 0x0
	.amdhsa_kernel _ZL50rocblas_symv_kernel_lower_double_buffered_diagonalILi32ELi4E24rocblas_internal_val_ptrIdEPKdPdEvbiT1_lT2_lllS6_lllS5_lT3_llli
		.amdhsa_group_segment_fixed_size 10496
		.amdhsa_private_segment_fixed_size 0
		.amdhsa_kernarg_size 140
		.amdhsa_user_sgpr_count 14
		.amdhsa_user_sgpr_dispatch_ptr 0
		.amdhsa_user_sgpr_queue_ptr 0
		.amdhsa_user_sgpr_kernarg_segment_ptr 1
		.amdhsa_user_sgpr_dispatch_id 0
		.amdhsa_user_sgpr_private_segment_size 0
		.amdhsa_wavefront_size32 1
		.amdhsa_uses_dynamic_stack 0
		.amdhsa_enable_private_segment 0
		.amdhsa_system_sgpr_workgroup_id_x 1
		.amdhsa_system_sgpr_workgroup_id_y 0
		.amdhsa_system_sgpr_workgroup_id_z 1
		.amdhsa_system_sgpr_workgroup_info 0
		.amdhsa_system_vgpr_workitem_id 1
		.amdhsa_next_free_vgpr 29
		.amdhsa_next_free_sgpr 32
		.amdhsa_reserve_vcc 1
		.amdhsa_float_round_mode_32 0
		.amdhsa_float_round_mode_16_64 0
		.amdhsa_float_denorm_mode_32 3
		.amdhsa_float_denorm_mode_16_64 3
		.amdhsa_dx10_clamp 1
		.amdhsa_ieee_mode 1
		.amdhsa_fp16_overflow 0
		.amdhsa_workgroup_processor_mode 1
		.amdhsa_memory_ordered 1
		.amdhsa_forward_progress 0
		.amdhsa_shared_vgpr_count 0
		.amdhsa_exception_fp_ieee_invalid_op 0
		.amdhsa_exception_fp_denorm_src 0
		.amdhsa_exception_fp_ieee_div_zero 0
		.amdhsa_exception_fp_ieee_overflow 0
		.amdhsa_exception_fp_ieee_underflow 0
		.amdhsa_exception_fp_ieee_inexact 0
		.amdhsa_exception_int_div_zero 0
	.end_amdhsa_kernel
	.section	.text._ZL50rocblas_symv_kernel_lower_double_buffered_diagonalILi32ELi4E24rocblas_internal_val_ptrIdEPKdPdEvbiT1_lT2_lllS6_lllS5_lT3_llli,"axG",@progbits,_ZL50rocblas_symv_kernel_lower_double_buffered_diagonalILi32ELi4E24rocblas_internal_val_ptrIdEPKdPdEvbiT1_lT2_lllS6_lllS5_lT3_llli,comdat
.Lfunc_end102:
	.size	_ZL50rocblas_symv_kernel_lower_double_buffered_diagonalILi32ELi4E24rocblas_internal_val_ptrIdEPKdPdEvbiT1_lT2_lllS6_lllS5_lT3_llli, .Lfunc_end102-_ZL50rocblas_symv_kernel_lower_double_buffered_diagonalILi32ELi4E24rocblas_internal_val_ptrIdEPKdPdEvbiT1_lT2_lllS6_lllS5_lT3_llli
                                        ; -- End function
	.section	.AMDGPU.csdata,"",@progbits
; Kernel info:
; codeLenInByte = 2212
; NumSgprs: 34
; NumVgprs: 29
; ScratchSize: 0
; MemoryBound: 0
; FloatMode: 240
; IeeeMode: 1
; LDSByteSize: 10496 bytes/workgroup (compile time only)
; SGPRBlocks: 4
; VGPRBlocks: 3
; NumSGPRsForWavesPerEU: 34
; NumVGPRsForWavesPerEU: 29
; Occupancy: 12
; WaveLimiterHint : 0
; COMPUTE_PGM_RSRC2:SCRATCH_EN: 0
; COMPUTE_PGM_RSRC2:USER_SGPR: 14
; COMPUTE_PGM_RSRC2:TRAP_HANDLER: 0
; COMPUTE_PGM_RSRC2:TGID_X_EN: 1
; COMPUTE_PGM_RSRC2:TGID_Y_EN: 0
; COMPUTE_PGM_RSRC2:TGID_Z_EN: 1
; COMPUTE_PGM_RSRC2:TIDIG_COMP_CNT: 1
	.section	.text._ZL54rocblas_symv_kernel_lower_double_buffered_non_diagonalILi32ELi4ELi4E24rocblas_internal_val_ptrIdEPKdPdEvbiT2_lT3_lllS6_lllT4_llli,"axG",@progbits,_ZL54rocblas_symv_kernel_lower_double_buffered_non_diagonalILi32ELi4ELi4E24rocblas_internal_val_ptrIdEPKdPdEvbiT2_lT3_lllS6_lllT4_llli,comdat
	.globl	_ZL54rocblas_symv_kernel_lower_double_buffered_non_diagonalILi32ELi4ELi4E24rocblas_internal_val_ptrIdEPKdPdEvbiT2_lT3_lllS6_lllT4_llli ; -- Begin function _ZL54rocblas_symv_kernel_lower_double_buffered_non_diagonalILi32ELi4ELi4E24rocblas_internal_val_ptrIdEPKdPdEvbiT2_lT3_lllS6_lllT4_llli
	.p2align	8
	.type	_ZL54rocblas_symv_kernel_lower_double_buffered_non_diagonalILi32ELi4ELi4E24rocblas_internal_val_ptrIdEPKdPdEvbiT2_lT3_lllS6_lllT4_llli,@function
_ZL54rocblas_symv_kernel_lower_double_buffered_non_diagonalILi32ELi4ELi4E24rocblas_internal_val_ptrIdEPKdPdEvbiT2_lT3_lllS6_lllT4_llli: ; @_ZL54rocblas_symv_kernel_lower_double_buffered_non_diagonalILi32ELi4ELi4E24rocblas_internal_val_ptrIdEPKdPdEvbiT2_lT3_lllS6_lllT4_llli
; %bb.0:
	s_clause 0x1
	s_load_b32 s2, s[0:1], 0x0
	s_load_b512 s[16:31], s[0:1], 0x8
	s_waitcnt lgkmcnt(0)
	s_bitcmp1_b32 s2, 0
	v_dual_mov_b32 v8, s16 :: v_dual_mov_b32 v9, s17
	s_cselect_b32 s2, -1, 0
	s_delay_alu instid0(SALU_CYCLE_1)
	s_and_b32 vcc_lo, exec_lo, s2
	s_cbranch_vccnz .LBB103_2
; %bb.1:
	s_mul_i32 s2, s15, s19
	s_mul_hi_u32 s3, s15, s18
	s_delay_alu instid0(SALU_CYCLE_1) | instskip(SKIP_1) | instid1(SALU_CYCLE_1)
	s_add_i32 s3, s3, s2
	s_mul_i32 s2, s15, s18
	s_lshl_b64 s[2:3], s[2:3], 3
	s_delay_alu instid0(SALU_CYCLE_1) | instskip(SKIP_1) | instid1(SALU_CYCLE_1)
	s_add_u32 s2, s16, s2
	s_addc_u32 s3, s17, s3
	v_dual_mov_b32 v1, s2 :: v_dual_mov_b32 v2, s3
	flat_load_b64 v[8:9], v[1:2]
.LBB103_2:
	s_mov_b32 s2, exec_lo
	s_waitcnt vmcnt(0) lgkmcnt(0)
	v_cmpx_neq_f64_e32 0, v[8:9]
	s_cbranch_execz .LBB103_22
; %bb.3:
	s_load_b64 s[2:3], s[0:1], 0x80
	s_waitcnt lgkmcnt(0)
	v_cvt_f32_u32_e32 v1, s3
	s_add_i32 s4, s2, -1
	s_delay_alu instid0(SALU_CYCLE_1) | instskip(NEXT) | instid1(VALU_DEP_1)
	s_cmp_eq_u32 s13, s4
	v_rcp_iflag_f32_e32 v1, v1
	s_waitcnt_depctr 0xfff
	v_mul_f32_e32 v1, 0x4f7ffffe, v1
	s_delay_alu instid0(VALU_DEP_1) | instskip(NEXT) | instid1(VALU_DEP_1)
	v_cvt_u32_f32_e32 v1, v1
	v_readfirstlane_b32 s5, v1
	s_cbranch_scc1 .LBB103_22
; %bb.4:
	s_load_b128 s[8:11], s[0:1], 0x48
	s_not_b32 s4, s13
	s_sub_i32 s6, 0, s3
	s_add_i32 s4, s2, s4
	s_mul_i32 s2, s6, s5
	v_bfe_u32 v1, v0, 10, 10
	s_mul_hi_u32 s2, s5, s2
	v_and_b32_e32 v65, 0x3ff, v0
	s_add_i32 s5, s5, s2
	s_delay_alu instid0(VALU_DEP_2)
	v_cmp_eq_u32_e32 vcc_lo, 0, v1
	s_mul_hi_u32 s5, s4, s5
	s_waitcnt lgkmcnt(0)
	s_mul_i32 s7, s15, s11
	s_mul_hi_u32 s11, s15, s10
	s_mul_i32 s6, s15, s10
	s_add_i32 s7, s11, s7
	s_delay_alu instid0(SALU_CYCLE_1) | instskip(NEXT) | instid1(SALU_CYCLE_1)
	s_lshl_b64 s[6:7], s[6:7], 3
	s_add_u32 s2, s28, s6
	s_addc_u32 s10, s29, s7
	s_lshl_b64 s[6:7], s[30:31], 3
	s_delay_alu instid0(SALU_CYCLE_1) | instskip(SKIP_2) | instid1(SALU_CYCLE_1)
	s_add_u32 s2, s2, s6
	s_addc_u32 s10, s10, s7
	s_lshl_b32 s18, s13, 5
	s_mul_i32 s6, s18, s9
	s_mul_hi_u32 s7, s18, s8
	s_ashr_i32 s19, s18, 31
	s_add_i32 s7, s7, s6
	s_mul_i32 s11, s19, s8
	s_mul_i32 s6, s18, s8
	s_add_i32 s7, s7, s11
	s_delay_alu instid0(SALU_CYCLE_1) | instskip(NEXT) | instid1(SALU_CYCLE_1)
	s_lshl_b64 s[6:7], s[6:7], 3
	s_add_u32 s16, s2, s6
	s_addc_u32 s17, s10, s7
	s_and_saveexec_b32 s6, vcc_lo
	s_cbranch_execz .LBB103_6
; %bb.5:
	v_mad_u64_u32 v[2:3], null, v65, s8, 0
	s_delay_alu instid0(VALU_DEP_1) | instskip(NEXT) | instid1(VALU_DEP_1)
	v_mov_b32_e32 v0, v3
	v_mad_u64_u32 v[3:4], null, v65, s9, v[0:1]
	v_lshlrev_b32_e32 v0, 3, v65
	s_delay_alu instid0(VALU_DEP_2) | instskip(NEXT) | instid1(VALU_DEP_1)
	v_lshlrev_b64 v[2:3], 3, v[2:3]
	v_add_co_u32 v2, s2, s16, v2
	s_delay_alu instid0(VALU_DEP_1)
	v_add_co_ci_u32_e64 v3, s2, s17, v3, s2
	global_load_b64 v[2:3], v[2:3], off
	s_waitcnt vmcnt(0)
	ds_store_b64 v0, v[2:3] offset:6144
.LBB103_6:
	s_or_b32 exec_lo, exec_lo, s6
	s_mul_i32 s2, s5, s3
	s_add_i32 s6, s5, 1
	s_sub_i32 s2, s4, s2
	s_delay_alu instid0(SALU_CYCLE_1)
	s_sub_i32 s7, s2, s3
	s_cmp_ge_u32 s2, s3
	s_cselect_b32 s5, s6, s5
	s_cselect_b32 s2, s7, s2
	s_add_i32 s6, s5, 1
	s_cmp_ge_u32 s2, s3
	s_cselect_b32 s2, s6, s5
	s_add_i32 s5, s3, -1
	s_mov_b32 s13, s2
	s_cmp_lg_u32 s14, s5
	s_cbranch_scc1 .LBB103_8
; %bb.7:
	s_mul_i32 s3, s2, s3
	s_delay_alu instid0(SALU_CYCLE_1) | instskip(NEXT) | instid1(SALU_CYCLE_1)
	s_sub_i32 s3, s4, s3
	s_add_i32 s13, s3, s2
.LBB103_8:
	s_delay_alu instid0(SALU_CYCLE_1)
	s_cmp_eq_u32 s13, 0
	s_cbranch_scc1 .LBB103_22
; %bb.9:
	s_clause 0x2
	s_load_b64 s[10:11], s[0:1], 0x70
	s_load_b128 s[4:7], s[0:1], 0x60
	s_load_b64 s[0:1], s[0:1], 0x58
	v_dual_mov_b32 v13, 0 :: v_dual_and_b32 v10, 15, v65
	v_lshl_add_u32 v0, v1, 5, v65
	v_mov_b32_e32 v14, 0
	s_waitcnt lgkmcnt(0)
	s_barrier
	buffer_gl0_inv
	v_lshrrev_b32_e32 v66, 4, v0
	v_dual_mov_b32 v16, v14 :: v_dual_mov_b32 v15, v13
	v_dual_mov_b32 v26, v14 :: v_dual_mov_b32 v25, v13
	;; [unrolled: 1-line block ×3, first 2 shown]
	s_mul_i32 s3, s15, s11
	s_mul_hi_u32 s11, s15, s10
	s_mul_i32 s10, s15, s10
	s_add_i32 s11, s11, s3
	s_mul_i32 s3, s18, s7
	s_lshl_b64 s[10:11], s[10:11], 3
	s_mul_hi_u32 s12, s18, s6
	s_add_u32 s10, s0, s10
	s_addc_u32 s11, s1, s11
	s_lshl_b64 s[0:1], s[4:5], 3
	s_mul_i32 s4, s19, s6
	s_add_u32 s10, s10, s0
	s_addc_u32 s11, s11, s1
	s_add_i32 s1, s12, s3
	s_mul_i32 s0, s18, s6
	s_add_i32 s1, s1, s4
	s_delay_alu instid0(SALU_CYCLE_1) | instskip(NEXT) | instid1(SALU_CYCLE_1)
	s_lshl_b64 s[4:5], s[0:1], 3
	s_add_u32 s1, s10, s4
	s_addc_u32 s12, s11, s5
	s_cmp_lt_i32 s13, 1
	s_cbranch_scc1 .LBB103_19
; %bb.10:
	s_mul_i32 s14, s14, s2
	v_dual_mov_b32 v11, 0 :: v_dual_lshlrev_b32 v4, 2, v66
	s_lshl_b32 s4, s14, 5
	s_mul_hi_u32 s14, s15, s26
	s_mul_i32 s0, s4, s7
	s_mul_hi_u32 s2, s4, s6
	s_ashr_i32 s5, s4, 31
	s_add_i32 s0, s2, s0
	s_mul_i32 s2, s5, s6
	s_mul_i32 s10, s4, s6
	s_add_i32 s11, s0, s2
	s_lshl_b64 s[2:3], s[8:9], 8
	s_lshl_b64 s[10:11], s[10:11], 3
	s_mul_i32 s0, s15, s27
	s_add_u32 s10, s1, s10
	s_addc_u32 s11, s12, s11
	s_add_i32 s27, s14, s0
	s_mul_i32 s26, s15, s26
	v_mad_u64_u32 v[0:1], null, v4, s24, v[10:11]
	s_lshl_b64 s[14:15], s[26:27], 3
	v_or_b32_e32 v15, 16, v10
	s_add_u32 s0, s20, s14
	s_addc_u32 s20, s21, s15
	s_lshl_b64 s[14:15], s[22:23], 3
	v_lshl_add_u32 v69, v65, 3, 0x1000
	s_add_u32 s0, s0, s14
	s_addc_u32 s20, s20, s15
	s_add_u32 s14, s24, 1
	s_addc_u32 s21, s25, 0
	s_mul_i32 s15, s14, s19
	s_mul_hi_u32 s19, s14, s18
	s_mul_i32 s21, s21, s18
	s_add_i32 s15, s19, s15
	v_mad_u64_u32 v[2:3], null, v4, s25, v[1:2]
	s_add_i32 s15, s15, s21
	s_mul_i32 s14, s14, s18
	s_mul_hi_u32 s19, s4, s8
	s_lshl_b64 s[14:15], s[14:15], 3
	v_mov_b32_e32 v30, s11
	s_add_u32 s0, s0, s14
	s_addc_u32 s18, s20, s15
	s_lshl_b64 s[14:15], s[4:5], 3
	v_mov_b32_e32 v1, v2
	s_add_u32 s0, s0, s14
	s_mul_i32 s14, s4, s9
	s_addc_u32 s18, s18, s15
	s_add_i32 s14, s19, s14
	s_mul_i32 s5, s5, s8
	s_mul_i32 s4, s4, s8
	s_add_i32 s5, s14, s5
	v_lshlrev_b64 v[11:12], 3, v[0:1]
	s_lshl_b64 s[4:5], s[4:5], 3
	s_delay_alu instid0(SALU_CYCLE_1) | instskip(SKIP_2) | instid1(VALU_DEP_1)
	s_add_u32 s14, s16, s4
	s_addc_u32 s15, s17, s5
	s_add_u32 s16, s0, 0x100
	v_add_co_u32 v0, s0, s0, v11
	s_delay_alu instid0(VALU_DEP_1)
	v_add_co_ci_u32_e64 v1, s0, s18, v12, s0
	s_addc_u32 s17, s18, 0
	s_lshl_b64 s[4:5], s[24:25], 3
	s_delay_alu instid0(VALU_DEP_2) | instid1(SALU_CYCLE_1)
	v_add_co_u32 v2, s0, v0, s4
	s_delay_alu instid0(VALU_DEP_1) | instskip(NEXT) | instid1(VALU_DEP_2)
	v_add_co_ci_u32_e64 v3, s0, s5, v1, s0
	v_add_co_u32 v4, s0, v2, s4
	s_delay_alu instid0(VALU_DEP_1) | instskip(NEXT) | instid1(VALU_DEP_2)
	v_add_co_ci_u32_e64 v5, s0, s5, v3, s0
	v_add_co_u32 v6, s0, v4, s4
	s_delay_alu instid0(VALU_DEP_1)
	v_add_co_ci_u32_e64 v7, s0, s5, v5, s0
	global_load_b64 v[19:20], v[0:1], off offset:256
	global_load_b64 v[21:22], v[2:3], off offset:256
	;; [unrolled: 1-line block ×4, first 2 shown]
	v_mad_u64_u32 v[0:1], null, v10, s8, 0
	v_mad_u64_u32 v[2:3], null, v15, s8, 0
	;; [unrolled: 1-line block ×3, first 2 shown]
	v_mov_b32_e32 v17, 0
	v_dual_mov_b32 v18, 0 :: v_dual_mov_b32 v29, s10
	s_add_i32 s10, s13, -1
	s_delay_alu instid0(VALU_DEP_4) | instskip(NEXT) | instid1(VALU_DEP_4)
	v_mad_u64_u32 v[6:7], null, v10, s9, v[1:2]
	v_mov_b32_e32 v1, v5
	v_lshlrev_b32_e32 v7, 5, v66
	v_mad_u64_u32 v[13:14], null, v15, s9, v[3:4]
	v_mov_b32_e32 v26, v18
	s_delay_alu instid0(VALU_DEP_4) | instskip(NEXT) | instid1(VALU_DEP_4)
	v_mad_u64_u32 v[14:15], null, v65, s7, v[1:2]
	v_or_b32_e32 v5, v7, v10
	v_mov_b32_e32 v1, v6
	v_mov_b32_e32 v15, v17
	v_dual_mov_b32 v3, v13 :: v_dual_add_nc_u32 v68, 0x1800, v7
	s_delay_alu instid0(VALU_DEP_4) | instskip(SKIP_2) | instid1(VALU_DEP_4)
	v_lshl_add_u32 v67, v5, 3, 0x1000
	v_mov_b32_e32 v5, v14
	v_mov_b32_e32 v13, v17
	v_lshlrev_b64 v[33:34], 3, v[2:3]
	v_dual_mov_b32 v25, v17 :: v_dual_mov_b32 v14, v18
	v_mov_b32_e32 v16, v18
	s_lshl_b64 s[8:9], s[6:7], 8
	s_mov_b32 s11, 0
	s_waitcnt vmcnt(3)
	v_mov_b32_e32 v38, v20
	v_lshlrev_b64 v[31:32], 3, v[0:1]
	s_waitcnt vmcnt(2)
	v_mov_b32_e32 v40, v22
	s_waitcnt vmcnt(1)
	v_mov_b32_e32 v42, v24
	v_lshlrev_b64 v[35:36], 3, v[4:5]
	s_waitcnt vmcnt(0)
	v_dual_mov_b32 v44, v28 :: v_dual_mov_b32 v37, v19
	v_mov_b32_e32 v39, v21
	v_mov_b32_e32 v41, v23
	;; [unrolled: 1-line block ×3, first 2 shown]
.LBB103_11:                             ; =>This Loop Header: Depth=1
                                        ;     Child Loop BB103_15 Depth 2
	v_add_co_u32 v57, s0, s16, v11
	s_delay_alu instid0(VALU_DEP_1) | instskip(SKIP_1) | instid1(VALU_DEP_2)
	v_add_co_ci_u32_e64 v58, s0, s17, v12, s0
	s_add_u32 s14, s14, s2
	v_add_co_u32 v59, s0, v57, s4
	s_delay_alu instid0(VALU_DEP_1) | instskip(SKIP_2) | instid1(VALU_DEP_1)
	v_add_co_ci_u32_e64 v60, s0, s5, v58, s0
	s_addc_u32 s15, s15, s3
	v_add_co_u32 v0, s0, s14, v31
	v_add_co_ci_u32_e64 v1, s0, s15, v32, s0
	v_add_co_u32 v61, s0, v59, s4
	s_delay_alu instid0(VALU_DEP_1) | instskip(SKIP_1) | instid1(VALU_DEP_1)
	v_add_co_ci_u32_e64 v62, s0, s5, v60, s0
	v_add_co_u32 v2, s0, s14, v33
	v_add_co_ci_u32_e64 v3, s0, s15, v34, s0
	s_delay_alu instid0(VALU_DEP_4) | instskip(NEXT) | instid1(VALU_DEP_1)
	v_add_co_u32 v63, s0, v61, s4
	v_add_co_ci_u32_e64 v64, s0, s5, v62, s0
	s_clause 0x1
	global_load_b64 v[47:48], v[0:1], off
	global_load_b64 v[45:46], v[2:3], off
	s_clause 0x3
	global_load_b64 v[49:50], v[57:58], off offset:128
	global_load_b64 v[51:52], v[59:60], off offset:128
	global_load_b64 v[53:54], v[61:62], off offset:128
	global_load_b64 v[55:56], v[63:64], off offset:128
	ds_load_b128 v[4:7], v68
	ds_load_b128 v[0:3], v68 offset:16
	s_cmp_eq_u32 s11, s10
	s_cbranch_scc1 .LBB103_13
; %bb.12:                               ;   in Loop: Header=BB103_11 Depth=1
	s_clause 0x3
	global_load_b64 v[37:38], v[57:58], off offset:256
	global_load_b64 v[39:40], v[59:60], off offset:256
	;; [unrolled: 1-line block ×4, first 2 shown]
.LBB103_13:                             ;   in Loop: Header=BB103_11 Depth=1
	s_waitcnt lgkmcnt(1)
	v_fma_f64 v[57:58], v[19:20], v[4:5], 0
	s_waitcnt vmcnt(3)
	v_fma_f64 v[4:5], v[49:50], v[4:5], 0
	s_waitcnt vmcnt(0) lgkmcnt(0)
	s_barrier
	buffer_gl0_inv
	v_fma_f64 v[57:58], v[21:22], v[6:7], v[57:58]
	v_fma_f64 v[4:5], v[51:52], v[6:7], v[4:5]
	s_delay_alu instid0(VALU_DEP_2) | instskip(NEXT) | instid1(VALU_DEP_2)
	v_fma_f64 v[6:7], v[23:24], v[0:1], v[57:58]
	v_fma_f64 v[0:1], v[53:54], v[0:1], v[4:5]
	s_delay_alu instid0(VALU_DEP_2) | instskip(NEXT) | instid1(VALU_DEP_2)
	v_fma_f64 v[4:5], v[27:28], v[2:3], v[6:7]
	v_fma_f64 v[0:1], v[55:56], v[2:3], v[0:1]
	ds_store_2addr_b64 v67, v[4:5], v[0:1] offset1:16
	s_waitcnt lgkmcnt(0)
	s_barrier
	buffer_gl0_inv
	s_and_saveexec_b32 s18, vcc_lo
	s_cbranch_execz .LBB103_17
; %bb.14:                               ;   in Loop: Header=BB103_11 Depth=1
	ds_load_2addr_b64 v[4:7], v69 offset1:32
	v_add_co_u32 v29, s0, v29, s8
	s_delay_alu instid0(VALU_DEP_1)
	v_add_co_ci_u32_e64 v30, s0, s9, v30, s0
	ds_load_2addr_b64 v[57:60], v69 offset0:64 offset1:96
	s_mov_b32 s19, 0
	s_waitcnt lgkmcnt(1)
	v_add_f64 v[0:1], v[4:5], 0
	v_add_co_u32 v4, s0, v29, v35
	s_delay_alu instid0(VALU_DEP_1) | instskip(SKIP_3) | instid1(VALU_DEP_1)
	v_add_co_ci_u32_e64 v5, s0, v30, v36, s0
	global_load_b64 v[2:3], v[4:5], off
	v_add_f64 v[0:1], v[0:1], v[6:7]
	s_waitcnt lgkmcnt(0)
	v_add_f64 v[0:1], v[0:1], v[57:58]
	s_delay_alu instid0(VALU_DEP_1) | instskip(SKIP_3) | instid1(VALU_DEP_1)
	v_add_f64 v[0:1], v[0:1], v[59:60]
	ds_load_2addr_b64 v[57:60], v69 offset0:128 offset1:160
	s_waitcnt lgkmcnt(0)
	v_add_f64 v[0:1], v[0:1], v[57:58]
	v_add_f64 v[0:1], v[0:1], v[59:60]
	ds_load_2addr_b64 v[57:60], v69 offset0:192 offset1:224
	s_waitcnt lgkmcnt(0)
	v_add_f64 v[0:1], v[0:1], v[57:58]
	s_delay_alu instid0(VALU_DEP_1) | instskip(NEXT) | instid1(VALU_DEP_1)
	v_add_f64 v[0:1], v[0:1], v[59:60]
	v_mul_f64 v[6:7], v[8:9], v[0:1]
.LBB103_15:                             ;   Parent Loop BB103_11 Depth=1
                                        ; =>  This Inner Loop Header: Depth=2
	s_waitcnt vmcnt(0)
	s_delay_alu instid0(VALU_DEP_1) | instskip(SKIP_4) | instid1(VALU_DEP_2)
	v_add_f64 v[0:1], v[2:3], v[6:7]
	global_atomic_cmpswap_b64 v[0:1], v[4:5], v[0:3], off glc
	s_waitcnt vmcnt(0)
	v_cmp_eq_u64_e64 s0, v[0:1], v[2:3]
	v_dual_mov_b32 v3, v1 :: v_dual_mov_b32 v2, v0
	s_or_b32 s19, s0, s19
	s_delay_alu instid0(SALU_CYCLE_1)
	s_and_not1_b32 exec_lo, exec_lo, s19
	s_cbranch_execnz .LBB103_15
; %bb.16:                               ;   in Loop: Header=BB103_11 Depth=1
	s_or_b32 exec_lo, exec_lo, s19
.LBB103_17:                             ;   in Loop: Header=BB103_11 Depth=1
	s_delay_alu instid0(SALU_CYCLE_1)
	s_or_b32 exec_lo, exec_lo, s18
	v_fma_f64 v[0:1], v[47:48], v[19:20], v[17:18]
	v_fma_f64 v[2:3], v[47:48], v[21:22], v[25:26]
	;; [unrolled: 1-line block ×4, first 2 shown]
	s_add_u32 s16, s16, 0x100
	s_addc_u32 s17, s17, 0
	s_add_i32 s11, s11, 1
	s_delay_alu instid0(SALU_CYCLE_1) | instskip(NEXT) | instid1(VALU_DEP_4)
	s_cmp_eq_u32 s11, s13
	v_fma_f64 v[17:18], v[45:46], v[49:50], v[0:1]
	s_delay_alu instid0(VALU_DEP_4) | instskip(NEXT) | instid1(VALU_DEP_4)
	v_fma_f64 v[25:26], v[45:46], v[51:52], v[2:3]
	v_fma_f64 v[15:16], v[45:46], v[53:54], v[4:5]
	s_delay_alu instid0(VALU_DEP_4)
	v_fma_f64 v[13:14], v[45:46], v[55:56], v[6:7]
	s_cbranch_scc1 .LBB103_19
; %bb.18:                               ;   in Loop: Header=BB103_11 Depth=1
	v_dual_mov_b32 v19, v37 :: v_dual_mov_b32 v20, v38
	v_dual_mov_b32 v21, v39 :: v_dual_mov_b32 v22, v40
	;; [unrolled: 1-line block ×4, first 2 shown]
	s_branch .LBB103_11
.LBB103_19:
	v_lshlrev_b32_e32 v0, 3, v10
	s_delay_alu instid0(VALU_DEP_1)
	v_lshl_or_b32 v0, v66, 9, v0
	ds_store_2addr_b64 v0, v[17:18], v[25:26] offset1:16
	ds_store_2addr_b64 v0, v[15:16], v[13:14] offset0:32 offset1:48
	s_waitcnt lgkmcnt(0)
	s_barrier
	buffer_gl0_inv
	s_and_b32 exec_lo, exec_lo, vcc_lo
	s_cbranch_execz .LBB103_22
; %bb.20:
	v_lshlrev_b32_e32 v16, 4, v65
	v_add_nc_u32_e32 v2, 1, v65
	v_add_nc_u32_e32 v3, 2, v65
	;; [unrolled: 1-line block ×3, first 2 shown]
	s_mov_b32 s0, 0
	v_or_b32_e32 v12, v10, v16
	v_and_or_b32 v2, v2, 15, v16
	v_and_or_b32 v3, v3, 15, v16
	;; [unrolled: 1-line block ×3, first 2 shown]
	s_delay_alu instid0(VALU_DEP_4) | instskip(NEXT) | instid1(VALU_DEP_4)
	v_lshlrev_b32_e32 v0, 3, v12
	v_lshlrev_b32_e32 v2, 3, v2
	s_delay_alu instid0(VALU_DEP_4) | instskip(NEXT) | instid1(VALU_DEP_4)
	v_lshlrev_b32_e32 v5, 3, v3
	v_lshlrev_b32_e32 v6, 3, v4
	ds_load_b64 v[0:1], v0
	ds_load_b64 v[2:3], v2
	;; [unrolled: 1-line block ×4, first 2 shown]
	s_waitcnt lgkmcnt(3)
	v_add_f64 v[0:1], v[0:1], 0
	s_waitcnt lgkmcnt(2)
	s_delay_alu instid0(VALU_DEP_1) | instskip(SKIP_1) | instid1(VALU_DEP_1)
	v_add_f64 v[0:1], v[0:1], v[2:3]
	v_add_nc_u32_e32 v2, 4, v65
	v_and_or_b32 v2, v2, 15, v16
	s_delay_alu instid0(VALU_DEP_1)
	v_lshlrev_b32_e32 v2, 3, v2
	ds_load_b64 v[2:3], v2
	s_waitcnt lgkmcnt(2)
	v_add_f64 v[0:1], v[0:1], v[4:5]
	v_add_nc_u32_e32 v4, 5, v65
	v_add_nc_u32_e32 v5, 6, v65
	s_delay_alu instid0(VALU_DEP_2) | instskip(NEXT) | instid1(VALU_DEP_2)
	v_and_or_b32 v4, v4, 15, v16
	v_and_or_b32 v5, v5, 15, v16
	s_delay_alu instid0(VALU_DEP_2) | instskip(SKIP_4) | instid1(VALU_DEP_2)
	v_lshlrev_b32_e32 v4, 3, v4
	s_waitcnt lgkmcnt(1)
	v_add_f64 v[0:1], v[0:1], v[6:7]
	v_add_nc_u32_e32 v6, 7, v65
	v_lshlrev_b32_e32 v7, 3, v5
	v_and_or_b32 v6, v6, 15, v16
	s_delay_alu instid0(VALU_DEP_1)
	v_lshlrev_b32_e32 v10, 3, v6
	ds_load_b64 v[4:5], v4
	ds_load_b64 v[6:7], v7
	ds_load_b64 v[10:11], v10
	s_waitcnt lgkmcnt(3)
	v_add_f64 v[0:1], v[0:1], v[2:3]
	v_xor_b32_e32 v2, 8, v12
	s_delay_alu instid0(VALU_DEP_1)
	v_lshlrev_b32_e32 v2, 3, v2
	ds_load_b64 v[2:3], v2
	s_waitcnt lgkmcnt(3)
	v_add_f64 v[0:1], v[0:1], v[4:5]
	v_mad_u64_u32 v[4:5], null, v65, s6, 0
	s_waitcnt lgkmcnt(2)
	s_delay_alu instid0(VALU_DEP_2) | instskip(SKIP_2) | instid1(VALU_DEP_2)
	v_add_f64 v[0:1], v[0:1], v[6:7]
	v_add_nc_u32_e32 v6, 9, v65
	v_add_nc_u32_e32 v7, 10, v65
	v_and_or_b32 v6, v6, 15, v16
	s_delay_alu instid0(VALU_DEP_2) | instskip(NEXT) | instid1(VALU_DEP_1)
	v_and_or_b32 v7, v7, 15, v16
	v_lshlrev_b32_e32 v12, 3, v7
	s_waitcnt lgkmcnt(1)
	v_add_f64 v[0:1], v[0:1], v[10:11]
	v_lshlrev_b32_e32 v11, 3, v6
	v_mad_u64_u32 v[6:7], null, v65, s7, v[5:6]
	s_delay_alu instid0(VALU_DEP_1) | instskip(NEXT) | instid1(VALU_DEP_1)
	v_dual_mov_b32 v5, v6 :: v_dual_add_nc_u32 v10, 11, v65
	v_and_or_b32 v10, v10, 15, v16
	v_add_nc_u32_e32 v6, 12, v65
	s_delay_alu instid0(VALU_DEP_2) | instskip(SKIP_4) | instid1(VALU_DEP_1)
	v_lshlrev_b32_e32 v14, 3, v10
	ds_load_b64 v[10:11], v11
	ds_load_b64 v[12:13], v12
	;; [unrolled: 1-line block ×3, first 2 shown]
	v_and_or_b32 v6, v6, 15, v16
	v_lshlrev_b32_e32 v6, 3, v6
	ds_load_b64 v[6:7], v6
	s_waitcnt lgkmcnt(4)
	v_add_f64 v[0:1], v[0:1], v[2:3]
	v_lshlrev_b64 v[2:3], 3, v[4:5]
	s_delay_alu instid0(VALU_DEP_1) | instskip(NEXT) | instid1(VALU_DEP_2)
	v_add_co_u32 v4, vcc_lo, s1, v2
	v_add_co_ci_u32_e32 v5, vcc_lo, s12, v3, vcc_lo
	global_load_b64 v[2:3], v[4:5], off
	s_waitcnt lgkmcnt(3)
	v_add_f64 v[0:1], v[0:1], v[10:11]
	v_add_nc_u32_e32 v10, 13, v65
	v_add_nc_u32_e32 v11, 14, v65
	s_delay_alu instid0(VALU_DEP_2) | instskip(NEXT) | instid1(VALU_DEP_2)
	v_and_or_b32 v10, v10, 15, v16
	v_and_or_b32 v11, v11, 15, v16
	s_delay_alu instid0(VALU_DEP_2) | instskip(SKIP_4) | instid1(VALU_DEP_2)
	v_lshlrev_b32_e32 v10, 3, v10
	s_waitcnt lgkmcnt(2)
	v_add_f64 v[0:1], v[0:1], v[12:13]
	v_add_nc_u32_e32 v12, -1, v65
	v_lshlrev_b32_e32 v13, 3, v11
	v_and_or_b32 v12, v12, 15, v16
	s_waitcnt lgkmcnt(1)
	s_delay_alu instid0(VALU_DEP_4) | instskip(NEXT) | instid1(VALU_DEP_2)
	v_add_f64 v[0:1], v[0:1], v[14:15]
	v_lshlrev_b32_e32 v14, 3, v12
	ds_load_b64 v[10:11], v10
	ds_load_b64 v[12:13], v13
	;; [unrolled: 1-line block ×3, first 2 shown]
	s_waitcnt lgkmcnt(3)
	v_add_f64 v[0:1], v[0:1], v[6:7]
	s_waitcnt lgkmcnt(2)
	s_delay_alu instid0(VALU_DEP_1) | instskip(SKIP_1) | instid1(VALU_DEP_1)
	v_add_f64 v[0:1], v[0:1], v[10:11]
	s_waitcnt lgkmcnt(1)
	v_add_f64 v[0:1], v[0:1], v[12:13]
	s_waitcnt lgkmcnt(0)
	s_delay_alu instid0(VALU_DEP_1) | instskip(NEXT) | instid1(VALU_DEP_1)
	v_add_f64 v[0:1], v[0:1], v[14:15]
	v_mul_f64 v[6:7], v[8:9], v[0:1]
.LBB103_21:                             ; =>This Inner Loop Header: Depth=1
	s_waitcnt vmcnt(0)
	s_delay_alu instid0(VALU_DEP_1)
	v_add_f64 v[0:1], v[2:3], v[6:7]
	global_atomic_cmpswap_b64 v[0:1], v[4:5], v[0:3], off glc
	s_waitcnt vmcnt(0)
	v_cmp_eq_u64_e32 vcc_lo, v[0:1], v[2:3]
	v_dual_mov_b32 v3, v1 :: v_dual_mov_b32 v2, v0
	s_or_b32 s0, vcc_lo, s0
	s_delay_alu instid0(SALU_CYCLE_1)
	s_and_not1_b32 exec_lo, exec_lo, s0
	s_cbranch_execnz .LBB103_21
.LBB103_22:
	s_endpgm
	.section	.rodata,"a",@progbits
	.p2align	6, 0x0
	.amdhsa_kernel _ZL54rocblas_symv_kernel_lower_double_buffered_non_diagonalILi32ELi4ELi4E24rocblas_internal_val_ptrIdEPKdPdEvbiT2_lT3_lllS6_lllT4_llli
		.amdhsa_group_segment_fixed_size 6400
		.amdhsa_private_segment_fixed_size 0
		.amdhsa_kernarg_size 384
		.amdhsa_user_sgpr_count 13
		.amdhsa_user_sgpr_dispatch_ptr 0
		.amdhsa_user_sgpr_queue_ptr 0
		.amdhsa_user_sgpr_kernarg_segment_ptr 1
		.amdhsa_user_sgpr_dispatch_id 0
		.amdhsa_user_sgpr_private_segment_size 0
		.amdhsa_wavefront_size32 1
		.amdhsa_uses_dynamic_stack 0
		.amdhsa_enable_private_segment 0
		.amdhsa_system_sgpr_workgroup_id_x 1
		.amdhsa_system_sgpr_workgroup_id_y 1
		.amdhsa_system_sgpr_workgroup_id_z 1
		.amdhsa_system_sgpr_workgroup_info 0
		.amdhsa_system_vgpr_workitem_id 1
		.amdhsa_next_free_vgpr 70
		.amdhsa_next_free_sgpr 32
		.amdhsa_reserve_vcc 1
		.amdhsa_float_round_mode_32 0
		.amdhsa_float_round_mode_16_64 0
		.amdhsa_float_denorm_mode_32 3
		.amdhsa_float_denorm_mode_16_64 3
		.amdhsa_dx10_clamp 1
		.amdhsa_ieee_mode 1
		.amdhsa_fp16_overflow 0
		.amdhsa_workgroup_processor_mode 1
		.amdhsa_memory_ordered 1
		.amdhsa_forward_progress 0
		.amdhsa_shared_vgpr_count 0
		.amdhsa_exception_fp_ieee_invalid_op 0
		.amdhsa_exception_fp_denorm_src 0
		.amdhsa_exception_fp_ieee_div_zero 0
		.amdhsa_exception_fp_ieee_overflow 0
		.amdhsa_exception_fp_ieee_underflow 0
		.amdhsa_exception_fp_ieee_inexact 0
		.amdhsa_exception_int_div_zero 0
	.end_amdhsa_kernel
	.section	.text._ZL54rocblas_symv_kernel_lower_double_buffered_non_diagonalILi32ELi4ELi4E24rocblas_internal_val_ptrIdEPKdPdEvbiT2_lT3_lllS6_lllT4_llli,"axG",@progbits,_ZL54rocblas_symv_kernel_lower_double_buffered_non_diagonalILi32ELi4ELi4E24rocblas_internal_val_ptrIdEPKdPdEvbiT2_lT3_lllS6_lllT4_llli,comdat
.Lfunc_end103:
	.size	_ZL54rocblas_symv_kernel_lower_double_buffered_non_diagonalILi32ELi4ELi4E24rocblas_internal_val_ptrIdEPKdPdEvbiT2_lT3_lllS6_lllT4_llli, .Lfunc_end103-_ZL54rocblas_symv_kernel_lower_double_buffered_non_diagonalILi32ELi4ELi4E24rocblas_internal_val_ptrIdEPKdPdEvbiT2_lT3_lllS6_lllT4_llli
                                        ; -- End function
	.section	.AMDGPU.csdata,"",@progbits
; Kernel info:
; codeLenInByte = 2864
; NumSgprs: 34
; NumVgprs: 70
; ScratchSize: 0
; MemoryBound: 0
; FloatMode: 240
; IeeeMode: 1
; LDSByteSize: 6400 bytes/workgroup (compile time only)
; SGPRBlocks: 4
; VGPRBlocks: 8
; NumSGPRsForWavesPerEU: 34
; NumVGPRsForWavesPerEU: 70
; Occupancy: 16
; WaveLimiterHint : 0
; COMPUTE_PGM_RSRC2:SCRATCH_EN: 0
; COMPUTE_PGM_RSRC2:USER_SGPR: 13
; COMPUTE_PGM_RSRC2:TRAP_HANDLER: 0
; COMPUTE_PGM_RSRC2:TGID_X_EN: 1
; COMPUTE_PGM_RSRC2:TGID_Y_EN: 1
; COMPUTE_PGM_RSRC2:TGID_Z_EN: 1
; COMPUTE_PGM_RSRC2:TIDIG_COMP_CNT: 1
	.section	.text._ZL58rocblas_symv_kernel_lower_double_buffered_diagonal_genericILi32ELi4E24rocblas_internal_val_ptrIdEPKdPdEvbiT1_lT2_lllS6_lllS5_lT3_lllii,"axG",@progbits,_ZL58rocblas_symv_kernel_lower_double_buffered_diagonal_genericILi32ELi4E24rocblas_internal_val_ptrIdEPKdPdEvbiT1_lT2_lllS6_lllS5_lT3_lllii,comdat
	.globl	_ZL58rocblas_symv_kernel_lower_double_buffered_diagonal_genericILi32ELi4E24rocblas_internal_val_ptrIdEPKdPdEvbiT1_lT2_lllS6_lllS5_lT3_lllii ; -- Begin function _ZL58rocblas_symv_kernel_lower_double_buffered_diagonal_genericILi32ELi4E24rocblas_internal_val_ptrIdEPKdPdEvbiT1_lT2_lllS6_lllS5_lT3_lllii
	.p2align	8
	.type	_ZL58rocblas_symv_kernel_lower_double_buffered_diagonal_genericILi32ELi4E24rocblas_internal_val_ptrIdEPKdPdEvbiT1_lT2_lllS6_lllS5_lT3_lllii,@function
_ZL58rocblas_symv_kernel_lower_double_buffered_diagonal_genericILi32ELi4E24rocblas_internal_val_ptrIdEPKdPdEvbiT1_lT2_lllS6_lllS5_lT3_lllii: ; @_ZL58rocblas_symv_kernel_lower_double_buffered_diagonal_genericILi32ELi4E24rocblas_internal_val_ptrIdEPKdPdEvbiT1_lT2_lllS6_lllS5_lT3_lllii
; %bb.0:
	s_clause 0x2
	s_load_b32 s2, s[0:1], 0x0
	s_load_b512 s[16:31], s[0:1], 0x8
	s_load_b256 s[4:11], s[0:1], 0x48
	s_waitcnt lgkmcnt(0)
	s_bitcmp1_b32 s2, 0
	v_dual_mov_b32 v3, s16 :: v_dual_mov_b32 v4, s17
	s_cselect_b32 s2, -1, 0
	s_delay_alu instid0(SALU_CYCLE_1)
	s_and_b32 vcc_lo, exec_lo, s2
	s_xor_b32 s2, s2, -1
	s_cbranch_vccnz .LBB104_2
; %bb.1:
	s_mul_i32 s3, s15, s19
	s_mul_hi_u32 s12, s15, s18
	s_delay_alu instid0(SALU_CYCLE_1) | instskip(SKIP_1) | instid1(SALU_CYCLE_1)
	s_add_i32 s13, s12, s3
	s_mul_i32 s12, s15, s18
	s_lshl_b64 s[12:13], s[12:13], 3
	s_delay_alu instid0(SALU_CYCLE_1) | instskip(SKIP_1) | instid1(SALU_CYCLE_1)
	s_add_u32 s12, s16, s12
	s_addc_u32 s13, s17, s13
	v_dual_mov_b32 v1, s12 :: v_dual_mov_b32 v2, s13
	flat_load_b64 v[3:4], v[1:2]
.LBB104_2:
	v_dual_mov_b32 v1, s8 :: v_dual_mov_b32 v2, s9
	s_and_not1_b32 vcc_lo, exec_lo, s2
	s_cbranch_vccnz .LBB104_4
; %bb.3:
	s_mul_i32 s2, s15, s11
	s_mul_hi_u32 s3, s15, s10
	s_delay_alu instid0(SALU_CYCLE_1) | instskip(SKIP_1) | instid1(SALU_CYCLE_1)
	s_add_i32 s3, s3, s2
	s_mul_i32 s2, s15, s10
	s_lshl_b64 s[2:3], s[2:3], 3
	s_delay_alu instid0(SALU_CYCLE_1) | instskip(SKIP_1) | instid1(SALU_CYCLE_1)
	s_add_u32 s2, s8, s2
	s_addc_u32 s3, s9, s3
	v_dual_mov_b32 v1, s2 :: v_dual_mov_b32 v2, s3
	flat_load_b64 v[1:2], v[1:2]
.LBB104_4:
	s_waitcnt vmcnt(0) lgkmcnt(0)
	v_cmp_neq_f64_e32 vcc_lo, 0, v[3:4]
	v_cmp_neq_f64_e64 s2, 1.0, v[1:2]
	s_delay_alu instid0(VALU_DEP_1) | instskip(NEXT) | instid1(SALU_CYCLE_1)
	s_or_b32 s2, vcc_lo, s2
	s_and_saveexec_b32 s3, s2
	s_cbranch_execz .LBB104_72
; %bb.5:
	s_clause 0x2
	s_load_b64 s[2:3], s[0:1], 0x80
	s_load_b64 s[12:13], s[0:1], 0x68
	s_load_b128 s[8:11], s[0:1], 0x70
	v_cmp_eq_f64_e32 vcc_lo, 0, v[3:4]
	s_load_b32 s16, s[0:1], 0x88
	v_and_b32_e32 v15, 0x3ff, v0
	v_bfe_u32 v0, v0, 10, 10
	s_waitcnt lgkmcnt(0)
	s_mul_i32 s3, s15, s3
	s_mul_hi_u32 s17, s15, s2
	s_mul_i32 s2, s15, s2
	s_add_i32 s3, s17, s3
	s_delay_alu instid0(SALU_CYCLE_1) | instskip(NEXT) | instid1(SALU_CYCLE_1)
	s_lshl_b64 s[2:3], s[2:3], 3
	s_add_u32 s12, s12, s2
	s_addc_u32 s13, s13, s3
	s_lshl_b64 s[2:3], s[8:9], 3
	s_delay_alu instid0(SALU_CYCLE_1) | instskip(SKIP_2) | instid1(SALU_CYCLE_1)
	s_add_u32 s12, s12, s2
	s_addc_u32 s13, s13, s3
	s_lshl_b32 s8, s14, 5
	s_mul_i32 s2, s8, s11
	s_mul_hi_u32 s3, s8, s10
	s_ashr_i32 s9, s8, 31
	s_add_i32 s2, s3, s2
	s_mul_i32 s3, s9, s10
	s_delay_alu instid0(SALU_CYCLE_1) | instskip(SKIP_1) | instid1(SALU_CYCLE_1)
	s_add_i32 s3, s2, s3
	s_mul_i32 s2, s8, s10
	s_lshl_b64 s[2:3], s[2:3], 3
	s_delay_alu instid0(SALU_CYCLE_1) | instskip(SKIP_2) | instid1(SALU_CYCLE_1)
	s_add_u32 s17, s12, s2
	s_addc_u32 s18, s13, s3
	s_and_saveexec_b32 s2, vcc_lo
	s_xor_b32 s2, exec_lo, s2
	s_cbranch_execz .LBB104_12
; %bb.6:
	s_mov_b32 s3, exec_lo
	v_cmpx_eq_u32_e32 0, v0
	s_cbranch_execz .LBB104_11
; %bb.7:
	v_cmp_gt_i32_e64 s12, s16, v15
	s_mov_b32 s13, exec_lo
	v_cmpx_le_i32_e64 s16, v15
	s_cbranch_execz .LBB104_9
; %bb.8:
	s_load_b32 s19, s[0:1], 0x90
	s_waitcnt lgkmcnt(0)
	s_add_i32 s19, s19, -1
	s_delay_alu instid0(SALU_CYCLE_1) | instskip(SKIP_3) | instid1(SALU_CYCLE_1)
	s_cmp_lt_u32 s14, s19
	s_cselect_b32 s19, -1, 0
	s_and_not1_b32 s12, s12, exec_lo
	s_and_b32 s19, s19, exec_lo
	s_or_b32 s12, s12, s19
.LBB104_9:
	s_or_b32 exec_lo, exec_lo, s13
	s_delay_alu instid0(SALU_CYCLE_1)
	s_and_b32 exec_lo, exec_lo, s12
	s_cbranch_execz .LBB104_11
; %bb.10:
	v_mad_u64_u32 v[3:4], null, v15, s10, 0
	s_delay_alu instid0(VALU_DEP_1) | instskip(NEXT) | instid1(VALU_DEP_1)
	v_mov_b32_e32 v0, v4
	v_mad_u64_u32 v[4:5], null, v15, s11, v[0:1]
	s_delay_alu instid0(VALU_DEP_1) | instskip(NEXT) | instid1(VALU_DEP_1)
	v_lshlrev_b64 v[3:4], 3, v[3:4]
	v_add_co_u32 v3, vcc_lo, s17, v3
	s_delay_alu instid0(VALU_DEP_2)
	v_add_co_ci_u32_e32 v4, vcc_lo, s18, v4, vcc_lo
	global_load_b64 v[5:6], v[3:4], off
	s_waitcnt vmcnt(0)
	v_mul_f64 v[0:1], v[1:2], v[5:6]
	global_store_b64 v[3:4], v[0:1], off
.LBB104_11:
	s_or_b32 exec_lo, exec_lo, s3
                                        ; implicit-def: $vgpr0
                                        ; implicit-def: $vgpr15
                                        ; implicit-def: $vgpr3_vgpr4
                                        ; implicit-def: $vgpr1_vgpr2
.LBB104_12:
	s_and_not1_saveexec_b32 s2, s2
	s_cbranch_execz .LBB104_72
; %bb.13:
	s_load_b32 s12, s[0:1], 0x90
	s_mul_i32 s2, s15, s7
	s_mul_hi_u32 s3, s15, s6
	s_delay_alu instid0(SALU_CYCLE_1) | instskip(SKIP_3) | instid1(SALU_CYCLE_1)
	s_add_i32 s3, s3, s2
	s_mul_i32 s2, s15, s6
	s_mul_hi_u32 s6, s8, s4
	s_lshl_b64 s[0:1], s[2:3], 3
	s_add_u32 s2, s28, s0
	s_addc_u32 s3, s29, s1
	s_lshl_b64 s[0:1], s[30:31], 3
	s_delay_alu instid0(SALU_CYCLE_1) | instskip(SKIP_4) | instid1(SALU_CYCLE_1)
	s_add_u32 s2, s2, s0
	s_mul_i32 s0, s8, s5
	s_addc_u32 s3, s3, s1
	s_add_i32 s0, s6, s0
	s_mul_i32 s1, s9, s4
	s_add_i32 s1, s0, s1
	s_mul_i32 s0, s8, s4
	s_delay_alu instid0(SALU_CYCLE_1) | instskip(NEXT) | instid1(SALU_CYCLE_1)
	s_lshl_b64 s[0:1], s[0:1], 3
	s_add_u32 s6, s2, s0
	s_addc_u32 s7, s3, s1
	s_waitcnt lgkmcnt(0)
	s_add_i32 s12, s12, -1
	v_cmp_eq_u32_e64 s0, 0, v0
	s_cmp_lg_u32 s14, s12
	s_mov_b32 s2, -1
	s_cselect_b32 s1, -1, 0
	s_delay_alu instid0(SALU_CYCLE_1)
	s_and_b32 vcc_lo, exec_lo, s1
	s_cbranch_vccz .LBB104_19
; %bb.14:
	v_mov_b32_e32 v5, 0
	v_mov_b32_e32 v6, 0
	s_and_saveexec_b32 s2, s0
	s_cbranch_execz .LBB104_18
; %bb.15:
	v_mad_u64_u32 v[5:6], null, v15, s4, 0
	s_mov_b32 s3, exec_lo
	v_lshlrev_b32_e32 v9, 3, v15
	s_delay_alu instid0(VALU_DEP_2) | instskip(NEXT) | instid1(VALU_DEP_1)
	v_mad_u64_u32 v[7:8], null, v15, s5, v[6:7]
	v_mov_b32_e32 v6, v7
	s_delay_alu instid0(VALU_DEP_1) | instskip(NEXT) | instid1(VALU_DEP_1)
	v_lshlrev_b64 v[5:6], 3, v[5:6]
	v_add_co_u32 v5, vcc_lo, s6, v5
	s_delay_alu instid0(VALU_DEP_2)
	v_add_co_ci_u32_e32 v6, vcc_lo, s7, v6, vcc_lo
	global_load_b64 v[7:8], v[5:6], off
	v_mov_b32_e32 v5, 0
	v_mov_b32_e32 v6, 0
	s_waitcnt vmcnt(0)
	ds_store_b64 v9, v[7:8] offset:10240
	v_cmpx_neq_f64_e32 0, v[1:2]
	s_cbranch_execz .LBB104_17
; %bb.16:
	v_mad_u64_u32 v[5:6], null, v15, s10, 0
	s_delay_alu instid0(VALU_DEP_1) | instskip(NEXT) | instid1(VALU_DEP_1)
	v_mad_u64_u32 v[7:8], null, v15, s11, v[6:7]
	v_mov_b32_e32 v6, v7
	s_delay_alu instid0(VALU_DEP_1) | instskip(NEXT) | instid1(VALU_DEP_1)
	v_lshlrev_b64 v[5:6], 3, v[5:6]
	v_add_co_u32 v5, vcc_lo, s17, v5
	s_delay_alu instid0(VALU_DEP_2)
	v_add_co_ci_u32_e32 v6, vcc_lo, s18, v6, vcc_lo
	global_load_b64 v[5:6], v[5:6], off
	s_waitcnt vmcnt(0)
	v_mul_f64 v[5:6], v[1:2], v[5:6]
.LBB104_17:
	s_or_b32 exec_lo, exec_lo, s3
.LBB104_18:
	s_delay_alu instid0(SALU_CYCLE_1)
	s_or_b32 exec_lo, exec_lo, s2
	s_cbranch_execz .LBB104_20
	s_branch .LBB104_29
.LBB104_19:
                                        ; implicit-def: $vgpr5_vgpr6
	s_and_not1_b32 vcc_lo, exec_lo, s2
	s_cbranch_vccnz .LBB104_29
.LBB104_20:
	v_mov_b32_e32 v5, 0
	v_mov_b32_e32 v6, 0
	s_and_saveexec_b32 s12, s0
	s_cbranch_execz .LBB104_28
; %bb.21:
	s_mov_b32 s13, exec_lo
                                        ; implicit-def: $sgpr2_sgpr3
	v_cmpx_le_i32_e64 s16, v15
	s_xor_b32 s13, exec_lo, s13
	s_cbranch_execz .LBB104_23
; %bb.22:
	v_mov_b32_e32 v5, 0
	v_lshlrev_b32_e32 v7, 3, v15
	s_mov_b64 s[2:3], 0
	s_delay_alu instid0(VALU_DEP_2)
	v_mov_b32_e32 v6, v5
	ds_store_b64 v7, v[5:6] offset:10240
.LBB104_23:
	s_or_saveexec_b32 s13, s13
	v_dual_mov_b32 v6, s3 :: v_dual_mov_b32 v5, s2
	s_xor_b32 exec_lo, exec_lo, s13
	s_cbranch_execz .LBB104_27
; %bb.24:
	v_mad_u64_u32 v[5:6], null, v15, s4, 0
	s_mov_b32 s2, exec_lo
	v_lshlrev_b32_e32 v9, 3, v15
	s_delay_alu instid0(VALU_DEP_2) | instskip(NEXT) | instid1(VALU_DEP_1)
	v_mad_u64_u32 v[7:8], null, v15, s5, v[6:7]
	v_mov_b32_e32 v6, v7
	s_delay_alu instid0(VALU_DEP_1) | instskip(NEXT) | instid1(VALU_DEP_1)
	v_lshlrev_b64 v[5:6], 3, v[5:6]
	v_add_co_u32 v5, vcc_lo, s6, v5
	s_delay_alu instid0(VALU_DEP_2)
	v_add_co_ci_u32_e32 v6, vcc_lo, s7, v6, vcc_lo
	global_load_b64 v[7:8], v[5:6], off
	v_mov_b32_e32 v5, 0
	v_mov_b32_e32 v6, 0
	s_waitcnt vmcnt(0)
	ds_store_b64 v9, v[7:8] offset:10240
	v_cmpx_neq_f64_e32 0, v[1:2]
	s_cbranch_execz .LBB104_26
; %bb.25:
	v_mad_u64_u32 v[5:6], null, v15, s10, 0
	s_delay_alu instid0(VALU_DEP_1) | instskip(NEXT) | instid1(VALU_DEP_1)
	v_mad_u64_u32 v[7:8], null, v15, s11, v[6:7]
	v_mov_b32_e32 v6, v7
	s_delay_alu instid0(VALU_DEP_1) | instskip(NEXT) | instid1(VALU_DEP_1)
	v_lshlrev_b64 v[5:6], 3, v[5:6]
	v_add_co_u32 v5, vcc_lo, s17, v5
	s_delay_alu instid0(VALU_DEP_2)
	v_add_co_ci_u32_e32 v6, vcc_lo, s18, v6, vcc_lo
	global_load_b64 v[5:6], v[5:6], off
	s_waitcnt vmcnt(0)
	v_mul_f64 v[5:6], v[1:2], v[5:6]
.LBB104_26:
	s_or_b32 exec_lo, exec_lo, s2
.LBB104_27:
	s_delay_alu instid0(SALU_CYCLE_1)
	s_or_b32 exec_lo, exec_lo, s13
.LBB104_28:
	s_delay_alu instid0(SALU_CYCLE_1)
	s_or_b32 exec_lo, exec_lo, s12
.LBB104_29:
	v_mad_u64_u32 v[7:8], null, v0, s24, 0
	s_mul_i32 s3, s15, s27
	s_mul_hi_u32 s4, s15, s26
	s_mul_i32 s2, s15, s26
	s_add_i32 s3, s4, s3
	v_lshl_add_u32 v18, v0, 5, v15
	s_lshl_b64 s[4:5], s[2:3], 3
	s_delay_alu instid0(VALU_DEP_2)
	v_mad_u64_u32 v[9:10], null, v0, s25, v[8:9]
	s_add_u32 s6, s20, s4
	s_addc_u32 s7, s21, s5
	s_lshl_b64 s[2:3], s[22:23], 3
	v_lshlrev_b32_e32 v16, 3, v15
	s_add_u32 s12, s6, s2
	s_addc_u32 s13, s7, s3
	s_add_u32 s6, s24, 1
	v_dual_mov_b32 v8, v9 :: v_dual_lshlrev_b32 v17, 3, v18
	s_addc_u32 s7, s25, 0
	s_mul_i32 s9, s6, s9
	s_mul_hi_u32 s14, s6, s8
	s_mul_i32 s7, s7, s8
	s_add_i32 s9, s14, s9
	s_mul_i32 s6, s6, s8
	s_add_i32 s7, s9, s7
	v_lshlrev_b64 v[7:8], 3, v[7:8]
	s_lshl_b64 s[6:7], s[6:7], 3
	s_mov_b32 s14, 0
	s_add_u32 s8, s12, s6
	s_addc_u32 s9, s13, s7
	s_delay_alu instid0(VALU_DEP_1) | instskip(SKIP_1) | instid1(VALU_DEP_2)
	v_add_co_u32 v19, vcc_lo, s8, v7
	v_add_co_ci_u32_e32 v20, vcc_lo, s9, v8, vcc_lo
	v_add_co_u32 v7, vcc_lo, v19, v16
	s_delay_alu instid0(VALU_DEP_2)
	v_add_co_ci_u32_e32 v8, vcc_lo, 0, v20, vcc_lo
	s_and_not1_b32 vcc_lo, exec_lo, s1
	s_cbranch_vccnz .LBB104_31
; %bb.30:
	s_lshl_b64 s[8:9], s[24:25], 5
	s_delay_alu instid0(VALU_DEP_1)
	v_mad_u64_u32 v[9:10], null, 0x60, s24, v[7:8]
	v_add_co_u32 v11, vcc_lo, v7, s8
	v_add_co_ci_u32_e32 v12, vcc_lo, s9, v8, vcc_lo
	v_mad_u64_u32 v[13:14], null, 0xa0, s24, v[7:8]
	s_clause 0x1
	global_load_b64 v[23:24], v[7:8], off
	global_load_b64 v[25:26], v[11:12], off
	v_mad_u64_u32 v[21:22], null, 0xc0, s24, v[7:8]
	v_add_co_u32 v11, vcc_lo, v11, s8
	v_add_co_ci_u32_e32 v12, vcc_lo, s9, v12, vcc_lo
	s_lshl_b64 s[8:9], s[24:25], 6
	s_delay_alu instid0(VALU_DEP_2) | instskip(SKIP_2) | instid1(VALU_DEP_2)
	v_mad_u64_u32 v[27:28], null, 0x60, s25, v[10:11]
	v_mad_u64_u32 v[28:29], null, 0xa0, s25, v[14:15]
	s_mov_b32 s14, -1
	v_mov_b32_e32 v10, v27
	s_delay_alu instid0(VALU_DEP_2) | instskip(SKIP_4) | instid1(VALU_DEP_3)
	v_mov_b32_e32 v14, v28
	s_waitcnt vmcnt(1)
	v_mad_u64_u32 v[29:30], null, 0xc0, s25, v[22:23]
	v_add_co_u32 v30, vcc_lo, v11, s8
	v_add_co_ci_u32_e32 v31, vcc_lo, s9, v12, vcc_lo
	v_mov_b32_e32 v22, v29
	global_load_b64 v[27:28], v[11:12], off
	global_load_b64 v[29:30], v[30:31], off
	s_clause 0x2
	global_load_b64 v[31:32], v[9:10], off
	global_load_b64 v[12:13], v[13:14], off
	;; [unrolled: 1-line block ×3, first 2 shown]
	v_mad_u64_u32 v[9:10], null, 0xe0, s24, v[7:8]
	v_lshlrev_b32_e32 v14, 3, v18
	s_waitcnt vmcnt(5)
	ds_store_2addr_stride64_b64 v14, v[23:24], v[25:26] offset1:2
	s_waitcnt vmcnt(2)
	ds_store_2addr_stride64_b64 v14, v[27:28], v[31:32] offset0:4 offset1:6
	s_waitcnt vmcnt(1)
	ds_store_2addr_stride64_b64 v14, v[29:30], v[12:13] offset0:8 offset1:10
	s_waitcnt vmcnt(0)
	ds_store_b64 v14, v[21:22] offset:6144
	v_mad_u64_u32 v[33:34], null, 0xe0, s25, v[10:11]
	s_delay_alu instid0(VALU_DEP_1)
	v_dual_mov_b32 v10, v33 :: v_dual_add_nc_u32 v11, 0x380, v18
	s_cbranch_execz .LBB104_32
	s_branch .LBB104_44
.LBB104_31:
                                        ; implicit-def: $vgpr9_vgpr10
                                        ; implicit-def: $vgpr11
.LBB104_32:
	s_mov_b32 s8, 0
                                        ; implicit-def: $vgpr11
	s_delay_alu instid0(SALU_CYCLE_1) | instskip(NEXT) | instid1(SALU_CYCLE_1)
	s_mov_b32 s9, s8
	v_dual_mov_b32 v10, s9 :: v_dual_mov_b32 v9, s8
	s_mov_b32 s9, exec_lo
	ds_store_2addr_stride64_b64 v17, v[9:10], v[9:10] offset1:2
	ds_store_2addr_stride64_b64 v17, v[9:10], v[9:10] offset0:4 offset1:6
	ds_store_2addr_stride64_b64 v17, v[9:10], v[9:10] offset0:8 offset1:10
	ds_store_2addr_stride64_b64 v17, v[9:10], v[9:10] offset0:12 offset1:14
                                        ; implicit-def: $vgpr9_vgpr10
	v_cmpx_gt_i32_e64 s16, v15
	s_cbranch_execz .LBB104_43
; %bb.33:
	s_cmp_lt_u32 s16, 4
	s_cbranch_scc1 .LBB104_40
; %bb.34:
	s_lshr_b32 s8, s16, 2
	s_mov_b32 s15, 0
	s_add_i32 s12, s8, -1
	s_delay_alu instid0(SALU_CYCLE_1)
	s_cmp_lt_u32 s12, 3
	s_cbranch_scc1 .LBB104_37
; %bb.35:
	v_lshlrev_b32_e32 v9, 3, v0
	s_and_b32 s15, s8, 0x3ffffffc
	s_add_u32 s12, s6, s4
	s_addc_u32 s13, s7, s5
	s_add_u32 s19, s20, s2
	v_add_nc_u32_e32 v23, 0x60, v9
	v_add_nc_u32_e32 v24, 64, v9
	s_addc_u32 s22, s21, s3
	s_add_u32 s12, s19, s12
	s_addc_u32 s13, s22, s13
	v_add_nc_u32_e32 v25, 32, v9
	v_mad_u64_u32 v[9:10], null, s24, v23, s[12:13]
	v_mad_u64_u32 v[11:12], null, s24, v24, s[12:13]
	s_delay_alu instid0(VALU_DEP_3) | instskip(SKIP_2) | instid1(VALU_DEP_2)
	v_mad_u64_u32 v[13:14], null, s24, v25, s[12:13]
	s_lshl_b64 s[12:13], s[24:25], 7
	s_mov_b32 s19, 0
	v_mad_u64_u32 v[21:22], null, s25, v23, v[10:11]
	s_delay_alu instid0(VALU_DEP_1) | instskip(SKIP_1) | instid1(VALU_DEP_4)
	v_mov_b32_e32 v10, v21
	v_mov_b32_e32 v21, v17
	v_mad_u64_u32 v[22:23], null, s25, v24, v[12:13]
	v_mad_u64_u32 v[23:24], null, s25, v25, v[14:15]
	s_delay_alu instid0(VALU_DEP_2) | instskip(NEXT) | instid1(VALU_DEP_2)
	v_mov_b32_e32 v12, v22
	v_mov_b32_e32 v14, v23
	s_set_inst_prefetch_distance 0x1
	.p2align	6
.LBB104_36:                             ; =>This Inner Loop Header: Depth=1
	v_add_co_u32 v22, vcc_lo, v19, v16
	v_add_co_ci_u32_e32 v23, vcc_lo, 0, v20, vcc_lo
	v_add_co_u32 v24, vcc_lo, v13, v16
	v_add_co_ci_u32_e32 v25, vcc_lo, 0, v14, vcc_lo
	;; [unrolled: 2-line block ×4, first 2 shown]
	global_load_b64 v[22:23], v[22:23], off
	global_load_b64 v[24:25], v[24:25], off
	;; [unrolled: 1-line block ×4, first 2 shown]
	v_add_co_u32 v9, vcc_lo, v9, s12
	v_add_co_ci_u32_e32 v10, vcc_lo, s13, v10, vcc_lo
	v_add_co_u32 v11, vcc_lo, v11, s12
	v_add_co_ci_u32_e32 v12, vcc_lo, s13, v12, vcc_lo
	;; [unrolled: 2-line block ×4, first 2 shown]
	s_add_i32 s19, s19, 4
	s_waitcnt vmcnt(2)
	ds_store_2addr_stride64_b64 v21, v[22:23], v[24:25] offset1:2
	s_waitcnt vmcnt(0)
	ds_store_2addr_stride64_b64 v21, v[26:27], v[28:29] offset0:4 offset1:6
	v_add_nc_u32_e32 v21, 0x1000, v21
	s_cmp_lg_u32 s15, s19
	s_cbranch_scc1 .LBB104_36
.LBB104_37:
	s_set_inst_prefetch_distance 0x2
	s_bfe_u32 s19, s16, 0x20002
	s_mov_b32 s13, 0
	s_cmp_eq_u32 s19, 0
	s_cbranch_scc1 .LBB104_40
; %bb.38:
	s_lshl_b32 s22, s15, 10
	s_add_u32 s6, s6, s4
	v_lshlrev_b32_e32 v9, 3, v0
	s_addc_u32 s7, s7, s5
	s_lshl_b32 s12, s15, 2
	s_delay_alu instid0(SALU_CYCLE_1) | instskip(SKIP_2) | instid1(VALU_DEP_1)
	s_lshl_b64 s[4:5], s[12:13], 3
	s_add_u32 s2, s2, s6
	v_add_co_u32 v11, s4, v9, s4
	v_add_co_ci_u32_e64 v12, null, 0, s5, s4
	s_addc_u32 s3, s3, s7
	s_delay_alu instid0(VALU_DEP_2) | instid1(SALU_CYCLE_1)
	v_mad_u64_u32 v[9:10], null, s24, v11, s[2:3]
	s_delay_alu instid0(VALU_DEP_2) | instskip(SKIP_2) | instid1(VALU_DEP_3)
	v_mul_lo_u32 v12, s24, v12
	v_mul_lo_u32 v11, s25, v11
	s_lshl_b64 s[2:3], s[24:25], 5
	v_add_co_u32 v9, vcc_lo, v9, v16
	s_delay_alu instid0(VALU_DEP_2) | instskip(SKIP_1) | instid1(VALU_DEP_2)
	v_add3_u32 v10, v11, v10, v12
	v_lshlrev_b32_e32 v11, 8, v0
	v_add_co_ci_u32_e32 v10, vcc_lo, 0, v10, vcc_lo
	s_delay_alu instid0(VALU_DEP_4) | instskip(NEXT) | instid1(VALU_DEP_3)
	v_add_co_u32 v9, vcc_lo, s20, v9
	v_add3_u32 v11, s22, v11, v16
	s_delay_alu instid0(VALU_DEP_3)
	v_add_co_ci_u32_e32 v10, vcc_lo, s21, v10, vcc_lo
.LBB104_39:                             ; =>This Inner Loop Header: Depth=1
	global_load_b64 v[12:13], v[9:10], off
	v_add_co_u32 v9, vcc_lo, v9, s2
	v_add_co_ci_u32_e32 v10, vcc_lo, s3, v10, vcc_lo
	s_add_i32 s19, s19, -1
	s_delay_alu instid0(SALU_CYCLE_1)
	s_cmp_lg_u32 s19, 0
	s_waitcnt vmcnt(0)
	ds_store_b64 v11, v[12:13]
	v_add_nc_u32_e32 v11, 0x400, v11
	s_cbranch_scc1 .LBB104_39
.LBB104_40:
	s_and_b32 s2, s16, 3
	s_mov_b32 s3, s14
	v_cmp_gt_u32_e32 vcc_lo, s2, v0
                                        ; implicit-def: $vgpr9_vgpr10
                                        ; implicit-def: $vgpr11
	s_and_saveexec_b32 s2, vcc_lo
; %bb.41:
	s_lshl_b32 s3, s8, 2
	v_lshl_add_u32 v11, s8, 7, v18
	s_mul_i32 s5, s3, s25
	s_mul_hi_u32 s6, s3, s24
	s_mul_i32 s4, s3, s24
	s_add_i32 s5, s6, s5
	s_or_b32 s3, s14, exec_lo
	s_lshl_b64 s[4:5], s[4:5], 3
	s_delay_alu instid0(SALU_CYCLE_1)
	v_add_co_u32 v9, vcc_lo, v7, s4
	v_add_co_ci_u32_e32 v10, vcc_lo, s5, v8, vcc_lo
; %bb.42:
	s_or_b32 exec_lo, exec_lo, s2
	s_delay_alu instid0(SALU_CYCLE_1) | instskip(SKIP_1) | instid1(SALU_CYCLE_1)
	s_and_not1_b32 s2, s14, exec_lo
	s_and_b32 s3, s3, exec_lo
	s_or_b32 s14, s2, s3
.LBB104_43:
	s_or_b32 exec_lo, exec_lo, s9
.LBB104_44:
	s_and_saveexec_b32 s2, s14
	s_cbranch_execz .LBB104_46
; %bb.45:
	global_load_b64 v[7:8], v[9:10], off
	v_lshlrev_b32_e32 v9, 3, v11
	s_waitcnt vmcnt(0)
	ds_store_b64 v9, v[7:8]
.LBB104_46:
	s_or_b32 exec_lo, exec_lo, s2
	v_lshlrev_b32_e32 v8, 5, v15
	s_mov_b32 s2, exec_lo
	s_waitcnt lgkmcnt(0)
	s_waitcnt_vscnt null, 0x0
	s_barrier
	buffer_gl0_inv
	v_cmpx_ge_u32_e64 v15, v0
	s_xor_b32 s2, exec_lo, s2
; %bb.47:
	v_lshlrev_b32_e32 v8, 5, v15
; %bb.48:
	s_and_not1_saveexec_b32 s2, s2
	s_cbranch_execz .LBB104_50
; %bb.49:
	s_delay_alu instid0(VALU_DEP_1)
	v_add_lshl_u32 v7, v8, v0, 3
	ds_load_b64 v[9:10], v7
	s_waitcnt lgkmcnt(0)
	ds_store_b64 v17, v[9:10]
.LBB104_50:
	s_or_b32 exec_lo, exec_lo, s2
	v_sub_nc_u32_e32 v7, v15, v0
	s_mov_b32 s2, exec_lo
	s_delay_alu instid0(VALU_DEP_1) | instskip(NEXT) | instid1(VALU_DEP_1)
	v_sub_nc_u32_e32 v9, 0, v7
	v_max_i32_e32 v10, v7, v9
	v_lshlrev_b32_e32 v7, 5, v0
	v_add_lshl_u32 v9, v8, v0, 3
	s_delay_alu instid0(VALU_DEP_3)
	v_cmpx_gt_u32_e32 4, v10
	s_cbranch_execz .LBB104_52
; %bb.51:
	ds_load_b64 v[11:12], v9 offset:32
	v_add_lshl_u32 v8, v7, v15, 3
	s_waitcnt lgkmcnt(0)
	ds_store_b64 v8, v[11:12] offset:1024
.LBB104_52:
	s_or_b32 exec_lo, exec_lo, s2
	s_delay_alu instid0(SALU_CYCLE_1)
	s_mov_b32 s2, exec_lo
	v_cmpx_gt_u32_e32 8, v10
	s_cbranch_execz .LBB104_54
; %bb.53:
	ds_load_b64 v[11:12], v9 offset:64
	v_add_lshl_u32 v8, v7, v15, 3
	s_waitcnt lgkmcnt(0)
	ds_store_b64 v8, v[11:12] offset:2048
.LBB104_54:
	s_or_b32 exec_lo, exec_lo, s2
	s_delay_alu instid0(SALU_CYCLE_1)
	s_mov_b32 s2, exec_lo
	v_cmpx_gt_u32_e32 12, v10
	s_cbranch_execz .LBB104_56
; %bb.55:
	ds_load_b64 v[11:12], v9 offset:96
	v_add_lshl_u32 v8, v7, v15, 3
	s_waitcnt lgkmcnt(0)
	ds_store_b64 v8, v[11:12] offset:3072
.LBB104_56:
	s_or_b32 exec_lo, exec_lo, s2
	v_add_nc_u32_e32 v8, 16, v0
	s_mov_b32 s2, exec_lo
	s_delay_alu instid0(VALU_DEP_1)
	v_lshlrev_b32_e32 v8, 5, v8
	v_cmpx_gt_u32_e32 16, v10
	s_cbranch_execz .LBB104_58
; %bb.57:
	ds_load_b64 v[11:12], v9 offset:128
	v_add_lshl_u32 v13, v8, v15, 3
	s_waitcnt lgkmcnt(0)
	ds_store_b64 v13, v[11:12]
.LBB104_58:
	s_or_b32 exec_lo, exec_lo, s2
	s_delay_alu instid0(SALU_CYCLE_1)
	s_mov_b32 s2, exec_lo
	v_cmpx_gt_u32_e32 20, v10
	s_cbranch_execz .LBB104_60
; %bb.59:
	ds_load_b64 v[11:12], v9 offset:160
	s_waitcnt lgkmcnt(0)
	ds_store_b64 v17, v[11:12] offset:5120
.LBB104_60:
	s_or_b32 exec_lo, exec_lo, s2
	s_delay_alu instid0(SALU_CYCLE_1)
	s_mov_b32 s2, exec_lo
	v_cmpx_gt_u32_e32 24, v10
	s_cbranch_execz .LBB104_62
; %bb.61:
	ds_load_b64 v[11:12], v9 offset:192
	s_waitcnt lgkmcnt(0)
	ds_store_b64 v17, v[11:12] offset:6144
.LBB104_62:
	s_or_b32 exec_lo, exec_lo, s2
	v_cmp_lt_u32_e32 vcc_lo, 27, v10
	v_add_nc_u32_e32 v11, 28, v0
                                        ; implicit-def: $vgpr10
	s_and_saveexec_b32 s2, vcc_lo
	s_delay_alu instid0(SALU_CYCLE_1)
	s_xor_b32 s2, exec_lo, s2
; %bb.63:
	v_add_nc_u32_e32 v11, 28, v0
                                        ; implicit-def: $vgpr9
	s_delay_alu instid0(VALU_DEP_1)
	v_lshl_add_u32 v10, v11, 5, v15
; %bb.64:
	s_and_not1_saveexec_b32 s2, s2
	s_cbranch_execz .LBB104_66
; %bb.65:
	ds_load_b64 v[12:13], v9 offset:224
	v_lshl_add_u32 v10, v11, 5, v15
	s_delay_alu instid0(VALU_DEP_1)
	v_lshlrev_b32_e32 v9, 3, v10
	s_waitcnt lgkmcnt(0)
	ds_store_b64 v9, v[12:13]
.LBB104_66:
	s_or_b32 exec_lo, exec_lo, s2
	v_lshlrev_b32_e32 v0, 3, v0
	s_waitcnt lgkmcnt(0)
	s_barrier
	buffer_gl0_inv
	v_lshlrev_b32_e32 v11, 3, v11
	v_add_nc_u32_e32 v9, 0x2800, v0
	v_add_lshl_u32 v24, v7, v15, 3
	v_add_lshl_u32 v7, v8, v15, 3
	ds_load_2addr_b64 v[18:21], v9 offset1:4
	ds_load_b64 v[12:13], v17
	ds_load_b64 v[22:23], v11 offset:10240
	s_waitcnt lgkmcnt(1)
	v_fma_f64 v[18:19], v[12:13], v[18:19], 0
	ds_load_2addr_stride64_b64 v[11:14], v24 offset0:2 offset1:4
	s_waitcnt lgkmcnt(0)
	v_fma_f64 v[11:12], v[11:12], v[20:21], v[18:19]
	ds_load_2addr_b64 v[18:21], v9 offset0:8 offset1:12
	s_waitcnt lgkmcnt(0)
	v_fma_f64 v[18:19], v[13:14], v[18:19], v[11:12]
	ds_load_2addr_stride64_b64 v[11:14], v24 offset0:6 offset1:10
	s_waitcnt lgkmcnt(0)
	v_fma_f64 v[11:12], v[11:12], v[20:21], v[18:19]
	ds_load_2addr_b64 v[18:21], v9 offset0:16 offset1:20
	ds_load_b64 v[7:8], v7
	v_lshlrev_b32_e32 v9, 3, v10
	ds_load_b64 v[9:10], v9
	ds_load_b64 v[24:25], v24 offset:6144
	s_waitcnt lgkmcnt(2)
	v_fma_f64 v[7:8], v[7:8], v[18:19], v[11:12]
	ds_load_b64 v[11:12], v0 offset:10432
	v_fma_f64 v[7:8], v[13:14], v[20:21], v[7:8]
	s_waitcnt lgkmcnt(0)
	s_delay_alu instid0(VALU_DEP_1) | instskip(NEXT) | instid1(VALU_DEP_1)
	v_fma_f64 v[7:8], v[24:25], v[11:12], v[7:8]
	v_fma_f64 v[7:8], v[9:10], v[22:23], v[7:8]
	ds_store_b64 v17, v[7:8] offset:8192
	s_waitcnt lgkmcnt(0)
	s_barrier
	buffer_gl0_inv
	s_and_saveexec_b32 s2, s0
	s_cbranch_execz .LBB104_72
; %bb.67:
	v_add_nc_u32_e32 v0, 0x2000, v16
	v_cmp_neq_f64_e32 vcc_lo, 0, v[1:2]
	s_mov_b32 s0, -1
	ds_load_2addr_b64 v[7:10], v0 offset1:32
	s_waitcnt lgkmcnt(0)
	v_add_f64 v[7:8], v[7:8], 0
	s_delay_alu instid0(VALU_DEP_1) | instskip(SKIP_3) | instid1(VALU_DEP_1)
	v_add_f64 v[11:12], v[7:8], v[9:10]
	ds_load_2addr_b64 v[7:10], v0 offset0:64 offset1:96
	s_waitcnt lgkmcnt(0)
	v_add_f64 v[7:8], v[11:12], v[7:8]
	v_add_f64 v[7:8], v[7:8], v[9:10]
	s_delay_alu instid0(VALU_DEP_1) | instskip(SKIP_1) | instid1(VALU_DEP_1)
	v_mul_f64 v[9:10], v[3:4], v[7:8]
	v_fma_f64 v[3:4], v[3:4], v[7:8], v[5:6]
	v_dual_cndmask_b32 v1, v10, v4 :: v_dual_cndmask_b32 v0, v9, v3
	s_and_b32 vcc_lo, exec_lo, s1
	s_cbranch_vccz .LBB104_69
; %bb.68:
	v_mad_u64_u32 v[2:3], null, v15, s10, 0
	s_mov_b32 s0, 0
	s_delay_alu instid0(VALU_DEP_1) | instskip(NEXT) | instid1(VALU_DEP_1)
	v_mad_u64_u32 v[4:5], null, v15, s11, v[3:4]
	v_mov_b32_e32 v3, v4
	s_delay_alu instid0(VALU_DEP_1) | instskip(NEXT) | instid1(VALU_DEP_1)
	v_lshlrev_b64 v[2:3], 3, v[2:3]
	v_add_co_u32 v2, vcc_lo, s17, v2
	s_delay_alu instid0(VALU_DEP_2)
	v_add_co_ci_u32_e32 v3, vcc_lo, s18, v3, vcc_lo
	global_store_b64 v[2:3], v[0:1], off
.LBB104_69:
	s_and_not1_b32 vcc_lo, exec_lo, s0
	s_cbranch_vccnz .LBB104_72
; %bb.70:
	v_cmp_gt_i32_e32 vcc_lo, s16, v15
	s_and_b32 exec_lo, exec_lo, vcc_lo
	s_cbranch_execz .LBB104_72
; %bb.71:
	v_mad_u64_u32 v[2:3], null, v15, s10, 0
	s_delay_alu instid0(VALU_DEP_1) | instskip(NEXT) | instid1(VALU_DEP_1)
	v_mad_u64_u32 v[4:5], null, v15, s11, v[3:4]
	v_mov_b32_e32 v3, v4
	s_delay_alu instid0(VALU_DEP_1) | instskip(NEXT) | instid1(VALU_DEP_1)
	v_lshlrev_b64 v[2:3], 3, v[2:3]
	v_add_co_u32 v2, vcc_lo, s17, v2
	s_delay_alu instid0(VALU_DEP_2)
	v_add_co_ci_u32_e32 v3, vcc_lo, s18, v3, vcc_lo
	global_store_b64 v[2:3], v[0:1], off
.LBB104_72:
	s_nop 0
	s_sendmsg sendmsg(MSG_DEALLOC_VGPRS)
	s_endpgm
	.section	.rodata,"a",@progbits
	.p2align	6, 0x0
	.amdhsa_kernel _ZL58rocblas_symv_kernel_lower_double_buffered_diagonal_genericILi32ELi4E24rocblas_internal_val_ptrIdEPKdPdEvbiT1_lT2_lllS6_lllS5_lT3_lllii
		.amdhsa_group_segment_fixed_size 10496
		.amdhsa_private_segment_fixed_size 0
		.amdhsa_kernarg_size 400
		.amdhsa_user_sgpr_count 14
		.amdhsa_user_sgpr_dispatch_ptr 0
		.amdhsa_user_sgpr_queue_ptr 0
		.amdhsa_user_sgpr_kernarg_segment_ptr 1
		.amdhsa_user_sgpr_dispatch_id 0
		.amdhsa_user_sgpr_private_segment_size 0
		.amdhsa_wavefront_size32 1
		.amdhsa_uses_dynamic_stack 0
		.amdhsa_enable_private_segment 0
		.amdhsa_system_sgpr_workgroup_id_x 1
		.amdhsa_system_sgpr_workgroup_id_y 0
		.amdhsa_system_sgpr_workgroup_id_z 1
		.amdhsa_system_sgpr_workgroup_info 0
		.amdhsa_system_vgpr_workitem_id 1
		.amdhsa_next_free_vgpr 35
		.amdhsa_next_free_sgpr 32
		.amdhsa_reserve_vcc 1
		.amdhsa_float_round_mode_32 0
		.amdhsa_float_round_mode_16_64 0
		.amdhsa_float_denorm_mode_32 3
		.amdhsa_float_denorm_mode_16_64 3
		.amdhsa_dx10_clamp 1
		.amdhsa_ieee_mode 1
		.amdhsa_fp16_overflow 0
		.amdhsa_workgroup_processor_mode 1
		.amdhsa_memory_ordered 1
		.amdhsa_forward_progress 0
		.amdhsa_shared_vgpr_count 0
		.amdhsa_exception_fp_ieee_invalid_op 0
		.amdhsa_exception_fp_denorm_src 0
		.amdhsa_exception_fp_ieee_div_zero 0
		.amdhsa_exception_fp_ieee_overflow 0
		.amdhsa_exception_fp_ieee_underflow 0
		.amdhsa_exception_fp_ieee_inexact 0
		.amdhsa_exception_int_div_zero 0
	.end_amdhsa_kernel
	.section	.text._ZL58rocblas_symv_kernel_lower_double_buffered_diagonal_genericILi32ELi4E24rocblas_internal_val_ptrIdEPKdPdEvbiT1_lT2_lllS6_lllS5_lT3_lllii,"axG",@progbits,_ZL58rocblas_symv_kernel_lower_double_buffered_diagonal_genericILi32ELi4E24rocblas_internal_val_ptrIdEPKdPdEvbiT1_lT2_lllS6_lllS5_lT3_lllii,comdat
.Lfunc_end104:
	.size	_ZL58rocblas_symv_kernel_lower_double_buffered_diagonal_genericILi32ELi4E24rocblas_internal_val_ptrIdEPKdPdEvbiT1_lT2_lllS6_lllS5_lT3_lllii, .Lfunc_end104-_ZL58rocblas_symv_kernel_lower_double_buffered_diagonal_genericILi32ELi4E24rocblas_internal_val_ptrIdEPKdPdEvbiT1_lT2_lllS6_lllS5_lT3_lllii
                                        ; -- End function
	.section	.AMDGPU.csdata,"",@progbits
; Kernel info:
; codeLenInByte = 3456
; NumSgprs: 34
; NumVgprs: 35
; ScratchSize: 0
; MemoryBound: 0
; FloatMode: 240
; IeeeMode: 1
; LDSByteSize: 10496 bytes/workgroup (compile time only)
; SGPRBlocks: 4
; VGPRBlocks: 4
; NumSGPRsForWavesPerEU: 34
; NumVGPRsForWavesPerEU: 35
; Occupancy: 12
; WaveLimiterHint : 0
; COMPUTE_PGM_RSRC2:SCRATCH_EN: 0
; COMPUTE_PGM_RSRC2:USER_SGPR: 14
; COMPUTE_PGM_RSRC2:TRAP_HANDLER: 0
; COMPUTE_PGM_RSRC2:TGID_X_EN: 1
; COMPUTE_PGM_RSRC2:TGID_Y_EN: 0
; COMPUTE_PGM_RSRC2:TGID_Z_EN: 1
; COMPUTE_PGM_RSRC2:TIDIG_COMP_CNT: 1
	.section	.text._ZL62rocblas_symv_kernel_lower_double_buffered_non_diagonal_genericILi32ELi4ELi4E24rocblas_internal_val_ptrIdEPKdPdEvbiT2_lT3_lllS6_lllT4_lllii,"axG",@progbits,_ZL62rocblas_symv_kernel_lower_double_buffered_non_diagonal_genericILi32ELi4ELi4E24rocblas_internal_val_ptrIdEPKdPdEvbiT2_lT3_lllS6_lllT4_lllii,comdat
	.globl	_ZL62rocblas_symv_kernel_lower_double_buffered_non_diagonal_genericILi32ELi4ELi4E24rocblas_internal_val_ptrIdEPKdPdEvbiT2_lT3_lllS6_lllT4_lllii ; -- Begin function _ZL62rocblas_symv_kernel_lower_double_buffered_non_diagonal_genericILi32ELi4ELi4E24rocblas_internal_val_ptrIdEPKdPdEvbiT2_lT3_lllS6_lllT4_lllii
	.p2align	8
	.type	_ZL62rocblas_symv_kernel_lower_double_buffered_non_diagonal_genericILi32ELi4ELi4E24rocblas_internal_val_ptrIdEPKdPdEvbiT2_lT3_lllS6_lllT4_lllii,@function
_ZL62rocblas_symv_kernel_lower_double_buffered_non_diagonal_genericILi32ELi4ELi4E24rocblas_internal_val_ptrIdEPKdPdEvbiT2_lT3_lllS6_lllT4_lllii: ; @_ZL62rocblas_symv_kernel_lower_double_buffered_non_diagonal_genericILi32ELi4ELi4E24rocblas_internal_val_ptrIdEPKdPdEvbiT2_lT3_lllS6_lllT4_lllii
; %bb.0:
	s_clause 0x1
	s_load_b32 s2, s[0:1], 0x0
	s_load_b512 s[16:31], s[0:1], 0x8
	s_waitcnt lgkmcnt(0)
	s_bitcmp1_b32 s2, 0
	v_dual_mov_b32 v8, s16 :: v_dual_mov_b32 v9, s17
	s_cselect_b32 s2, -1, 0
	s_delay_alu instid0(SALU_CYCLE_1)
	s_and_b32 vcc_lo, exec_lo, s2
	s_cbranch_vccnz .LBB105_2
; %bb.1:
	s_mul_i32 s2, s15, s19
	s_mul_hi_u32 s3, s15, s18
	s_delay_alu instid0(SALU_CYCLE_1) | instskip(SKIP_1) | instid1(SALU_CYCLE_1)
	s_add_i32 s3, s3, s2
	s_mul_i32 s2, s15, s18
	s_lshl_b64 s[2:3], s[2:3], 3
	s_delay_alu instid0(SALU_CYCLE_1) | instskip(SKIP_1) | instid1(SALU_CYCLE_1)
	s_add_u32 s2, s16, s2
	s_addc_u32 s3, s17, s3
	v_dual_mov_b32 v1, s2 :: v_dual_mov_b32 v2, s3
	flat_load_b64 v[8:9], v[1:2]
.LBB105_2:
	s_mov_b32 s2, exec_lo
	s_waitcnt vmcnt(0) lgkmcnt(0)
	v_cmpx_neq_f64_e32 0, v[8:9]
	s_cbranch_execz .LBB105_35
; %bb.3:
	s_load_b64 s[4:5], s[0:1], 0x80
	s_waitcnt lgkmcnt(0)
	v_cvt_f32_u32_e32 v1, s5
	s_add_i32 s16, s4, -1
	s_delay_alu instid0(SALU_CYCLE_1) | instskip(NEXT) | instid1(VALU_DEP_1)
	s_cmp_eq_u32 s13, s16
	v_rcp_iflag_f32_e32 v1, v1
	s_waitcnt_depctr 0xfff
	v_mul_f32_e32 v1, 0x4f7ffffe, v1
	s_delay_alu instid0(VALU_DEP_1) | instskip(NEXT) | instid1(VALU_DEP_1)
	v_cvt_u32_f32_e32 v1, v1
	v_readfirstlane_b32 s2, v1
	s_cbranch_scc1 .LBB105_35
; %bb.4:
	s_load_b128 s[8:11], s[0:1], 0x48
	s_not_b32 s3, s13
	s_sub_i32 s6, 0, s5
	s_add_i32 s16, s16, s3
	s_mul_i32 s3, s6, s2
	v_bfe_u32 v1, v0, 10, 10
	s_mul_hi_u32 s3, s2, s3
	v_and_b32_e32 v66, 0x3ff, v0
	s_waitcnt lgkmcnt(0)
	s_mul_i32 s7, s15, s11
	s_mul_hi_u32 s11, s15, s10
	s_mul_i32 s6, s15, s10
	s_add_i32 s7, s11, s7
	s_add_i32 s10, s2, s3
	s_lshl_b64 s[6:7], s[6:7], 3
	s_mul_hi_u32 s10, s16, s10
	s_add_u32 s6, s28, s6
	s_addc_u32 s7, s29, s7
	s_lshl_b64 s[2:3], s[30:31], 3
	s_delay_alu instid0(SALU_CYCLE_1) | instskip(SKIP_2) | instid1(SALU_CYCLE_1)
	s_add_u32 s11, s6, s2
	s_addc_u32 s17, s7, s3
	s_lshl_b32 s3, s13, 5
	s_mul_i32 s2, s3, s9
	s_mul_hi_u32 s6, s3, s8
	s_ashr_i32 s12, s3, 31
	s_add_i32 s2, s6, s2
	s_mul_i32 s7, s12, s8
	s_mul_i32 s6, s3, s8
	s_add_i32 s7, s2, s7
	v_cmp_eq_u32_e64 s2, 0, v1
	s_lshl_b64 s[6:7], s[6:7], 3
	s_delay_alu instid0(SALU_CYCLE_1) | instskip(SKIP_1) | instid1(VALU_DEP_1)
	s_add_u32 s6, s11, s6
	s_addc_u32 s7, s17, s7
	s_and_saveexec_b32 s11, s2
	s_cbranch_execz .LBB105_6
; %bb.5:
	v_mad_u64_u32 v[2:3], null, v66, s8, 0
	s_delay_alu instid0(VALU_DEP_1) | instskip(NEXT) | instid1(VALU_DEP_1)
	v_mov_b32_e32 v0, v3
	v_mad_u64_u32 v[3:4], null, v66, s9, v[0:1]
	v_lshlrev_b32_e32 v0, 3, v66
	s_delay_alu instid0(VALU_DEP_2) | instskip(NEXT) | instid1(VALU_DEP_1)
	v_lshlrev_b64 v[2:3], 3, v[2:3]
	v_add_co_u32 v2, vcc_lo, s6, v2
	s_delay_alu instid0(VALU_DEP_2)
	v_add_co_ci_u32_e32 v3, vcc_lo, s7, v3, vcc_lo
	global_load_b64 v[2:3], v[2:3], off
	s_waitcnt vmcnt(0)
	ds_store_b64 v0, v[2:3] offset:6144
.LBB105_6:
	s_or_b32 exec_lo, exec_lo, s11
	s_mul_i32 s11, s10, s5
	s_add_i32 s17, s10, 1
	s_sub_i32 s11, s16, s11
	s_delay_alu instid0(SALU_CYCLE_1)
	s_sub_i32 s18, s11, s5
	s_cmp_ge_u32 s11, s5
	s_cselect_b32 s10, s17, s10
	s_cselect_b32 s11, s18, s11
	s_add_i32 s17, s10, 1
	s_cmp_ge_u32 s11, s5
	s_cselect_b32 s10, s17, s10
	s_add_i32 s11, s5, -1
	s_mov_b32 s29, s10
	s_cmp_eq_u32 s14, s11
	s_cselect_b32 s28, -1, 0
	s_cmp_lg_u32 s14, s11
	s_cbranch_scc1 .LBB105_8
; %bb.7:
	s_mul_i32 s5, s10, s5
	s_delay_alu instid0(SALU_CYCLE_1) | instskip(NEXT) | instid1(SALU_CYCLE_1)
	s_sub_i32 s5, s16, s5
	s_add_i32 s29, s5, s10
.LBB105_8:
	s_cmp_lg_u32 s14, s11
	s_cselect_b32 s5, -1, 0
	s_cmp_eq_u32 s29, 0
	s_cselect_b32 s11, -1, 0
	s_delay_alu instid0(SALU_CYCLE_1) | instskip(NEXT) | instid1(SALU_CYCLE_1)
	s_and_b32 s5, s5, s11
	s_and_b32 vcc_lo, exec_lo, s5
	s_cbranch_vccnz .LBB105_35
; %bb.9:
	v_lshl_add_u32 v0, v1, 5, v66
	s_mul_i32 s5, s15, s27
	s_mul_hi_u32 s11, s15, s26
	s_mul_i32 s14, s14, s10
	s_add_i32 s11, s11, s5
	v_lshrrev_b32_e32 v67, 4, v0
	s_mul_i32 s10, s15, s26
	s_lshl_b32 s16, s14, 5
	s_lshl_b64 s[10:11], s[10:11], 3
	s_ashr_i32 s17, s16, 31
	s_add_u32 s5, s20, s10
	v_dual_mov_b32 v11, 0 :: v_dual_and_b32 v10, 15, v66
	v_lshlrev_b32_e32 v68, 2, v67
	s_addc_u32 s14, s21, s11
	s_lshl_b64 s[10:11], s[22:23], 3
	s_waitcnt lgkmcnt(0)
	s_add_u32 s5, s5, s10
	s_addc_u32 s14, s14, s11
	s_add_u32 s10, s24, 1
	v_mad_u64_u32 v[12:13], null, v68, s24, v[10:11]
	s_mul_i32 s11, s10, s12
	s_mul_hi_u32 s18, s10, s3
	s_addc_u32 s19, s25, 0
	s_add_i32 s11, s18, s11
	s_mul_i32 s19, s19, s3
	s_mul_i32 s10, s10, s3
	s_add_i32 s11, s11, s19
	s_load_b64 s[18:19], s[0:1], 0x58
	s_lshl_b64 s[10:11], s[10:11], 3
	v_mov_b32_e32 v0, v13
	s_add_u32 s5, s5, s10
	s_addc_u32 s14, s14, s11
	s_lshl_b64 s[10:11], s[16:17], 3
	s_waitcnt lgkmcnt(0)
	s_barrier
	s_add_u32 s20, s5, s10
	s_mul_i32 s5, s16, s9
	s_mul_hi_u32 s10, s16, s8
	v_mad_u64_u32 v[1:2], null, v68, s25, v[0:1]
	s_addc_u32 s21, s14, s11
	s_add_i32 s5, s10, s5
	s_mul_i32 s10, s17, s8
	buffer_gl0_inv
	s_add_i32 s11, s5, s10
	s_mul_i32 s10, s16, s8
	v_mov_b32_e32 v13, v1
	s_lshl_b64 s[10:11], s[10:11], 3
	s_delay_alu instid0(SALU_CYCLE_1)
	s_add_u32 s22, s6, s10
	s_addc_u32 s23, s7, s11
	s_add_i32 s4, s4, -2
	s_lshl_b64 s[10:11], s[8:9], 5
	s_cmp_ge_u32 s13, s4
	s_cbranch_scc1 .LBB105_11
; %bb.10:
	v_lshlrev_b64 v[0:1], 3, v[12:13]
	v_mad_u64_u32 v[2:3], null, v10, s8, 0
	s_lshl_b64 s[4:5], s[10:11], 3
	s_delay_alu instid0(SALU_CYCLE_1) | instskip(NEXT) | instid1(VALU_DEP_2)
	s_add_u32 s13, s22, s4
	v_add_co_u32 v0, vcc_lo, s20, v0
	s_delay_alu instid0(VALU_DEP_3) | instskip(SKIP_3) | instid1(VALU_DEP_1)
	v_add_co_ci_u32_e32 v1, vcc_lo, s21, v1, vcc_lo
	s_addc_u32 s14, s23, s5
	s_lshl_b64 s[4:5], s[24:25], 3
	s_lshl_b64 s[6:7], s[24:25], 4
	v_mad_u64_u32 v[4:5], null, s24, 24, v[0:1]
	v_add_co_u32 v14, vcc_lo, v0, s4
	v_add_co_ci_u32_e32 v15, vcc_lo, s5, v1, vcc_lo
	v_add_co_u32 v16, vcc_lo, v0, s6
	s_delay_alu instid0(VALU_DEP_4) | instskip(SKIP_1) | instid1(VALU_DEP_2)
	v_mad_u64_u32 v[6:7], null, v10, s9, v[3:4]
	v_add_co_ci_u32_e32 v17, vcc_lo, s7, v1, vcc_lo
	v_mov_b32_e32 v3, v6
	v_mad_u64_u32 v[6:7], null, s25, 24, v[5:6]
	s_delay_alu instid0(VALU_DEP_2) | instskip(NEXT) | instid1(VALU_DEP_2)
	v_lshlrev_b64 v[2:3], 3, v[2:3]
	v_mov_b32_e32 v5, v6
	s_delay_alu instid0(VALU_DEP_2) | instskip(NEXT) | instid1(VALU_DEP_3)
	v_add_co_u32 v2, vcc_lo, s13, v2
	v_add_co_ci_u32_e32 v3, vcc_lo, s14, v3, vcc_lo
	global_load_b64 v[30:31], v[0:1], off offset:256
	s_clause 0x2
	global_load_b64 v[32:33], v[14:15], off offset:256
	global_load_b64 v[34:35], v[16:17], off offset:256
	;; [unrolled: 1-line block ×3, first 2 shown]
	global_load_b64 v[28:29], v[2:3], off
	s_branch .LBB105_12
.LBB105_11:
	v_mov_b32_e32 v28, 0
	v_mov_b32_e32 v29, 0
                                        ; implicit-def: $vgpr30_vgpr31
                                        ; implicit-def: $vgpr32_vgpr33
                                        ; implicit-def: $vgpr34_vgpr35
                                        ; implicit-def: $vgpr36_vgpr37
.LBB105_12:
	s_clause 0x1
	s_load_b64 s[26:27], s[0:1], 0x70
	s_load_b128 s[4:7], s[0:1], 0x60
	v_dual_mov_b32 v18, 0 :: v_dual_lshlrev_b32 v69, 3, v10
	v_mov_b32_e32 v19, 0
	v_or_b32_e32 v11, 16, v10
	s_waitcnt lgkmcnt(0)
	s_mul_i32 s13, s15, s27
	s_mul_hi_u32 s27, s15, s26
	s_mul_i32 s14, s15, s26
	s_add_i32 s15, s27, s13
	s_mul_i32 s26, s3, s7
	s_lshl_b64 s[14:15], s[14:15], 3
	s_mul_hi_u32 s13, s3, s6
	s_add_u32 s14, s18, s14
	s_addc_u32 s15, s19, s15
	s_lshl_b64 s[4:5], s[4:5], 3
	s_mul_i32 s27, s12, s6
	s_mul_i32 s12, s3, s6
	s_add_u32 s3, s14, s4
	s_addc_u32 s14, s15, s5
	s_add_i32 s4, s13, s26
	s_mul_i32 s15, s16, s7
	s_add_i32 s13, s4, s27
	s_mul_hi_u32 s18, s16, s6
	s_lshl_b64 s[4:5], s[12:13], 3
	s_mul_i32 s12, s17, s6
	s_add_u32 s3, s3, s4
	s_addc_u32 s17, s14, s5
	s_add_i32 s5, s18, s15
	s_mul_i32 s4, s16, s6
	s_add_i32 s5, s5, s12
	s_delay_alu instid0(SALU_CYCLE_1) | instskip(NEXT) | instid1(SALU_CYCLE_1)
	s_lshl_b64 s[4:5], s[4:5], 3
	s_add_u32 s14, s3, s4
	s_addc_u32 s15, s17, s5
	s_cmp_lt_i32 s29, 1
	s_cbranch_scc1 .LBB105_22
; %bb.13:
	v_mad_u64_u32 v[0:1], null, v11, s8, 0
	v_mad_u64_u32 v[2:3], null, v10, s8, 0
	v_mad_u64_u32 v[4:5], null, v66, s6, 0
	v_lshl_or_b32 v17, v67, 8, v69
	v_lshlrev_b64 v[40:41], 3, v[12:13]
	s_waitcnt vmcnt(4)
	v_mov_b32_e32 v47, v31
	s_waitcnt vmcnt(3)
	v_mov_b32_e32 v49, v33
	v_mad_u64_u32 v[6:7], null, v11, s9, v[1:2]
	v_mad_u64_u32 v[14:15], null, v10, s9, v[3:4]
	s_waitcnt vmcnt(2)
	v_dual_mov_b32 v51, v35 :: v_dual_add_nc_u32 v70, 0x1000, v17
	s_waitcnt vmcnt(1)
	v_mov_b32_e32 v53, v37
	v_lshl_add_u32 v71, v68, 3, 0x1800
	v_mov_b32_e32 v1, v6
	v_mad_u64_u32 v[15:16], null, v66, s7, v[5:6]
	v_dual_mov_b32 v3, v14 :: v_dual_mov_b32 v16, 0
	s_waitcnt vmcnt(0)
	v_dual_mov_b32 v17, 0 :: v_dual_mov_b32 v26, v28
	v_lshlrev_b64 v[38:39], 3, v[0:1]
	s_delay_alu instid0(VALU_DEP_3) | instskip(SKIP_1) | instid1(VALU_DEP_4)
	v_lshlrev_b64 v[42:43], 3, v[2:3]
	v_dual_mov_b32 v5, v15 :: v_dual_mov_b32 v14, s14
	v_mov_b32_e32 v23, v17
	v_mov_b32_e32 v21, v17
	v_dual_mov_b32 v19, v17 :: v_dual_mov_b32 v46, v30
	s_delay_alu instid0(VALU_DEP_4)
	v_lshlrev_b64 v[44:45], 3, v[4:5]
	v_lshl_add_u32 v72, v66, 3, 0x1000
	s_lshl_b64 s[18:19], s[24:25], 4
	v_dual_mov_b32 v15, s15 :: v_dual_mov_b32 v22, v16
	v_mov_b32_e32 v20, v16
	v_dual_mov_b32 v18, v16 :: v_dual_mov_b32 v27, v29
	v_mov_b32_e32 v48, v32
	v_mov_b32_e32 v50, v34
	;; [unrolled: 1-line block ×3, first 2 shown]
	s_add_i32 s16, s29, -1
	s_lshl_b64 s[4:5], s[6:7], 8
	s_lshl_b64 s[12:13], s[24:25], 3
	s_sub_u32 s18, 0, s18
	s_subb_u32 s19, 0, s19
	s_mov_b32 s26, 0
	s_lshl_b64 s[14:15], s[10:11], 3
.LBB105_14:                             ; =>This Loop Header: Depth=1
                                        ;     Child Loop BB105_18 Depth 2
	v_add_co_u32 v62, vcc_lo, s20, v40
	v_add_co_ci_u32_e32 v63, vcc_lo, s21, v41, vcc_lo
	s_add_u32 s22, s22, s14
	s_delay_alu instid0(VALU_DEP_2) | instskip(NEXT) | instid1(VALU_DEP_2)
	v_add_co_u32 v0, vcc_lo, v62, s12
	v_add_co_ci_u32_e32 v1, vcc_lo, s13, v63, vcc_lo
	s_addc_u32 s23, s23, s15
	s_delay_alu instid0(VALU_DEP_2) | instskip(NEXT) | instid1(VALU_DEP_2)
	v_add_co_u32 v2, vcc_lo, v0, s12
	v_add_co_ci_u32_e32 v3, vcc_lo, s13, v1, vcc_lo
	v_add_co_u32 v4, vcc_lo, s22, v38
	v_add_co_ci_u32_e32 v5, vcc_lo, s23, v39, vcc_lo
	s_delay_alu instid0(VALU_DEP_4) | instskip(NEXT) | instid1(VALU_DEP_4)
	v_add_co_u32 v64, vcc_lo, v2, s12
	v_add_co_ci_u32_e32 v65, vcc_lo, s13, v3, vcc_lo
	global_load_b64 v[24:25], v[4:5], off
	s_clause 0x3
	global_load_b64 v[54:55], v[0:1], off offset:384
	global_load_b64 v[56:57], v[2:3], off offset:384
	;; [unrolled: 1-line block ×4, first 2 shown]
	ds_load_b128 v[4:7], v71
	ds_load_b128 v[0:3], v71 offset:16
	s_cmp_eq_u32 s26, s16
	s_cbranch_scc1 .LBB105_16
; %bb.15:                               ;   in Loop: Header=BB105_14 Depth=1
	v_add_co_u32 v26, vcc_lo, v64, s18
	v_add_co_ci_u32_e32 v27, vcc_lo, s19, v65, vcc_lo
	s_add_u32 s27, s22, s14
	s_delay_alu instid0(VALU_DEP_2) | instskip(NEXT) | instid1(VALU_DEP_2)
	v_add_co_u32 v50, vcc_lo, v26, s12
	v_add_co_ci_u32_e32 v51, vcc_lo, s13, v27, vcc_lo
	s_addc_u32 s30, s23, s15
	s_delay_alu instid0(VALU_DEP_2) | instskip(NEXT) | instid1(VALU_DEP_2)
	v_add_co_u32 v52, vcc_lo, v50, s12
	v_add_co_ci_u32_e32 v53, vcc_lo, s13, v51, vcc_lo
	v_add_co_u32 v64, vcc_lo, s27, v42
	v_add_co_ci_u32_e32 v65, vcc_lo, s30, v43, vcc_lo
	s_clause 0x1
	global_load_b64 v[46:47], v[62:63], off offset:512
	global_load_b64 v[48:49], v[26:27], off offset:512
	;; [unrolled: 1-line block ×4, first 2 shown]
	global_load_b64 v[26:27], v[64:65], off
.LBB105_16:                             ;   in Loop: Header=BB105_14 Depth=1
	s_waitcnt lgkmcnt(1)
	v_fma_f64 v[62:63], v[30:31], v[4:5], 0
	s_waitcnt vmcnt(1)
	v_fma_f64 v[4:5], v[58:59], v[4:5], 0
	s_waitcnt vmcnt(0) lgkmcnt(0)
	s_barrier
	buffer_gl0_inv
	v_fma_f64 v[62:63], v[32:33], v[6:7], v[62:63]
	v_fma_f64 v[4:5], v[54:55], v[6:7], v[4:5]
	s_delay_alu instid0(VALU_DEP_2) | instskip(NEXT) | instid1(VALU_DEP_2)
	v_fma_f64 v[6:7], v[34:35], v[0:1], v[62:63]
	v_fma_f64 v[0:1], v[56:57], v[0:1], v[4:5]
	s_delay_alu instid0(VALU_DEP_2) | instskip(NEXT) | instid1(VALU_DEP_2)
	v_fma_f64 v[4:5], v[36:37], v[2:3], v[6:7]
	v_fma_f64 v[0:1], v[60:61], v[2:3], v[0:1]
	ds_store_2addr_b64 v70, v[4:5], v[0:1] offset1:16
	s_waitcnt lgkmcnt(0)
	s_barrier
	buffer_gl0_inv
	s_and_saveexec_b32 s27, s2
	s_cbranch_execz .LBB105_20
; %bb.17:                               ;   in Loop: Header=BB105_14 Depth=1
	ds_load_2addr_b64 v[4:7], v72 offset1:32
	v_add_co_u32 v14, vcc_lo, v14, s4
	v_add_co_ci_u32_e32 v15, vcc_lo, s5, v15, vcc_lo
	ds_load_2addr_b64 v[62:65], v72 offset0:64 offset1:96
	s_mov_b32 s30, 0
	s_waitcnt lgkmcnt(1)
	v_add_f64 v[0:1], v[4:5], 0
	v_add_co_u32 v4, vcc_lo, v14, v44
	v_add_co_ci_u32_e32 v5, vcc_lo, v15, v45, vcc_lo
	global_load_b64 v[2:3], v[4:5], off
	v_add_f64 v[0:1], v[0:1], v[6:7]
	s_waitcnt lgkmcnt(0)
	s_delay_alu instid0(VALU_DEP_1) | instskip(NEXT) | instid1(VALU_DEP_1)
	v_add_f64 v[0:1], v[0:1], v[62:63]
	v_add_f64 v[0:1], v[0:1], v[64:65]
	ds_load_2addr_b64 v[62:65], v72 offset0:128 offset1:160
	s_waitcnt lgkmcnt(0)
	v_add_f64 v[0:1], v[0:1], v[62:63]
	s_delay_alu instid0(VALU_DEP_1) | instskip(SKIP_3) | instid1(VALU_DEP_1)
	v_add_f64 v[0:1], v[0:1], v[64:65]
	ds_load_2addr_b64 v[62:65], v72 offset0:192 offset1:224
	s_waitcnt lgkmcnt(0)
	v_add_f64 v[0:1], v[0:1], v[62:63]
	v_add_f64 v[0:1], v[0:1], v[64:65]
	s_delay_alu instid0(VALU_DEP_1)
	v_mul_f64 v[6:7], v[8:9], v[0:1]
.LBB105_18:                             ;   Parent Loop BB105_14 Depth=1
                                        ; =>  This Inner Loop Header: Depth=2
	s_waitcnt vmcnt(0)
	s_delay_alu instid0(VALU_DEP_1)
	v_add_f64 v[0:1], v[2:3], v[6:7]
	global_atomic_cmpswap_b64 v[0:1], v[4:5], v[0:3], off glc
	s_waitcnt vmcnt(0)
	v_cmp_eq_u64_e32 vcc_lo, v[0:1], v[2:3]
	v_dual_mov_b32 v3, v1 :: v_dual_mov_b32 v2, v0
	s_or_b32 s30, vcc_lo, s30
	s_delay_alu instid0(SALU_CYCLE_1)
	s_and_not1_b32 exec_lo, exec_lo, s30
	s_cbranch_execnz .LBB105_18
; %bb.19:                               ;   in Loop: Header=BB105_14 Depth=1
	s_or_b32 exec_lo, exec_lo, s30
.LBB105_20:                             ;   in Loop: Header=BB105_14 Depth=1
	s_delay_alu instid0(SALU_CYCLE_1)
	s_or_b32 exec_lo, exec_lo, s27
	v_fma_f64 v[0:1], v[28:29], v[30:31], v[16:17]
	v_fma_f64 v[2:3], v[28:29], v[32:33], v[22:23]
	;; [unrolled: 1-line block ×4, first 2 shown]
	s_add_u32 s20, s20, 0x100
	s_addc_u32 s21, s21, 0
	s_add_i32 s26, s26, 1
	s_delay_alu instid0(SALU_CYCLE_1) | instskip(NEXT) | instid1(VALU_DEP_4)
	s_cmp_eq_u32 s26, s29
	v_fma_f64 v[16:17], v[24:25], v[58:59], v[0:1]
	s_delay_alu instid0(VALU_DEP_4) | instskip(NEXT) | instid1(VALU_DEP_4)
	v_fma_f64 v[22:23], v[24:25], v[54:55], v[2:3]
	v_fma_f64 v[20:21], v[24:25], v[56:57], v[4:5]
	s_delay_alu instid0(VALU_DEP_4)
	v_fma_f64 v[18:19], v[24:25], v[60:61], v[6:7]
	s_cbranch_scc1 .LBB105_23
; %bb.21:                               ;   in Loop: Header=BB105_14 Depth=1
	v_dual_mov_b32 v29, v27 :: v_dual_mov_b32 v28, v26
	v_dual_mov_b32 v30, v46 :: v_dual_mov_b32 v31, v47
	;; [unrolled: 1-line block ×5, first 2 shown]
	s_branch .LBB105_14
.LBB105_22:
	v_dual_mov_b32 v14, s14 :: v_dual_mov_b32 v15, s15
	v_dual_mov_b32 v21, v19 :: v_dual_mov_b32 v20, v18
	;; [unrolled: 1-line block ×5, first 2 shown]
	s_waitcnt vmcnt(0)
	v_dual_mov_b32 v26, v28 :: v_dual_mov_b32 v27, v29
.LBB105_23:
	s_and_b32 vcc_lo, exec_lo, s28
	s_cbranch_vccz .LBB105_32
; %bb.24:
	s_load_b32 s0, s[0:1], 0x78
	v_mov_b32_e32 v4, 0
	v_mov_b32_e32 v5, 0
	s_lshl_b64 s[4:5], s[10:11], 3
	s_delay_alu instid0(VALU_DEP_2)
	v_mov_b32_e32 v0, v4
	v_mov_b32_e32 v2, v4
	s_add_u32 s1, s22, s4
	v_mov_b32_e32 v3, v5
	v_mov_b32_e32 v1, v5
	v_dual_mov_b32 v33, v5 :: v_dual_mov_b32 v32, v4
	v_dual_mov_b32 v35, v5 :: v_dual_mov_b32 v34, v4
	s_addc_u32 s4, s23, s5
	s_mov_b32 s5, exec_lo
	s_waitcnt lgkmcnt(0)
	v_cmpx_gt_i32_e64 s0, v10
	s_cbranch_execz .LBB105_26
; %bb.25:
	v_lshlrev_b64 v[0:1], 3, v[12:13]
	v_mad_u64_u32 v[2:3], null, v10, s8, 0
	s_lshl_b64 s[10:11], s[24:25], 3
	s_lshl_b64 s[12:13], s[24:25], 4
	s_delay_alu instid0(VALU_DEP_2) | instskip(NEXT) | instid1(VALU_DEP_3)
	v_add_co_u32 v0, vcc_lo, s20, v0
	v_add_co_ci_u32_e32 v1, vcc_lo, s21, v1, vcc_lo
	s_delay_alu instid0(VALU_DEP_3) | instskip(NEXT) | instid1(VALU_DEP_2)
	v_mad_u64_u32 v[26:27], null, v10, s9, v[3:4]
	v_mad_u64_u32 v[6:7], null, s24, 24, v[0:1]
	s_delay_alu instid0(VALU_DEP_2) | instskip(NEXT) | instid1(VALU_DEP_2)
	v_mov_b32_e32 v3, v26
	v_mad_u64_u32 v[26:27], null, s25, 24, v[7:8]
	v_add_co_u32 v27, vcc_lo, v0, s10
	s_delay_alu instid0(VALU_DEP_3) | instskip(SKIP_3) | instid1(VALU_DEP_4)
	v_lshlrev_b64 v[2:3], 3, v[2:3]
	v_add_co_ci_u32_e32 v28, vcc_lo, s11, v1, vcc_lo
	v_add_co_u32 v29, vcc_lo, v0, s12
	v_add_co_ci_u32_e32 v30, vcc_lo, s13, v1, vcc_lo
	v_add_co_u32 v36, vcc_lo, s1, v2
	v_mov_b32_e32 v7, v26
	v_add_co_ci_u32_e32 v37, vcc_lo, s4, v3, vcc_lo
	s_clause 0x3
	global_load_b64 v[0:1], v[0:1], off offset:256
	global_load_b64 v[2:3], v[27:28], off offset:256
	;; [unrolled: 1-line block ×4, first 2 shown]
	global_load_b64 v[26:27], v[36:37], off
.LBB105_26:
	s_or_b32 exec_lo, exec_lo, s5
	v_dual_mov_b32 v7, v5 :: v_dual_mov_b32 v6, v4
	v_dual_mov_b32 v29, v5 :: v_dual_mov_b32 v28, v4
	;; [unrolled: 1-line block ×3, first 2 shown]
	s_mov_b32 s5, exec_lo
	v_cmpx_gt_i32_e64 s0, v11
	s_cbranch_execz .LBB105_28
; %bb.27:
	v_lshlrev_b64 v[4:5], 3, v[12:13]
	v_mad_u64_u32 v[6:7], null, v11, s8, 0
	s_lshl_b64 s[10:11], s[24:25], 4
	s_delay_alu instid0(VALU_DEP_2) | instskip(NEXT) | instid1(VALU_DEP_3)
	v_add_co_u32 v4, vcc_lo, s20, v4
	v_add_co_ci_u32_e32 v5, vcc_lo, s21, v5, vcc_lo
	s_delay_alu instid0(VALU_DEP_3) | instskip(NEXT) | instid1(VALU_DEP_3)
	v_mad_u64_u32 v[28:29], null, v11, s9, v[7:8]
	v_add_co_u32 v12, vcc_lo, 0x100, v4
	s_delay_alu instid0(VALU_DEP_3) | instskip(SKIP_1) | instid1(VALU_DEP_3)
	v_add_co_ci_u32_e32 v13, vcc_lo, 0, v5, vcc_lo
	s_lshl_b64 s[8:9], s[24:25], 3
	v_mov_b32_e32 v7, v28
	s_delay_alu instid0(VALU_DEP_2) | instskip(NEXT) | instid1(VALU_DEP_2)
	v_mad_u64_u32 v[24:25], null, s24, 24, v[12:13]
	v_lshlrev_b64 v[6:7], 3, v[6:7]
	s_delay_alu instid0(VALU_DEP_2) | instskip(NEXT) | instid1(VALU_DEP_1)
	v_mov_b32_e32 v11, v25
	v_mad_u64_u32 v[28:29], null, s25, 24, v[11:12]
	v_add_co_u32 v29, vcc_lo, v12, s8
	v_add_co_ci_u32_e32 v30, vcc_lo, s9, v13, vcc_lo
	v_add_co_u32 v11, vcc_lo, v12, s10
	v_add_co_ci_u32_e32 v12, vcc_lo, s11, v13, vcc_lo
	v_add_co_u32 v36, vcc_lo, s1, v6
	v_mov_b32_e32 v25, v28
	v_add_co_ci_u32_e32 v37, vcc_lo, s4, v7, vcc_lo
	s_clause 0x3
	global_load_b64 v[4:5], v[4:5], off offset:384
	global_load_b64 v[6:7], v[29:30], off offset:128
	;; [unrolled: 1-line block ×4, first 2 shown]
	global_load_b64 v[24:25], v[36:37], off
.LBB105_28:
	s_or_b32 exec_lo, exec_lo, s5
	v_lshlrev_b32_e32 v11, 3, v68
	s_waitcnt vmcnt(0)
	v_fma_f64 v[22:23], v[26:27], v[2:3], v[22:23]
	v_fma_f64 v[20:21], v[26:27], v[32:33], v[20:21]
	v_fma_f64 v[18:19], v[26:27], v[34:35], v[18:19]
	v_cmp_gt_i32_e32 vcc_lo, s0, v66
	ds_load_b128 v[36:39], v11 offset:6144
	ds_load_b128 v[40:43], v11 offset:6160
	s_waitcnt lgkmcnt(0)
	s_barrier
	buffer_gl0_inv
	s_and_b32 s1, s2, vcc_lo
	v_fma_f64 v[11:12], v[4:5], v[36:37], 0
	v_fma_f64 v[36:37], v[0:1], v[36:37], 0
	s_delay_alu instid0(VALU_DEP_2) | instskip(NEXT) | instid1(VALU_DEP_2)
	v_fma_f64 v[11:12], v[6:7], v[38:39], v[11:12]
	v_fma_f64 v[36:37], v[2:3], v[38:39], v[36:37]
	s_delay_alu instid0(VALU_DEP_2) | instskip(NEXT) | instid1(VALU_DEP_2)
	v_fma_f64 v[11:12], v[28:29], v[40:41], v[11:12]
	v_fma_f64 v[36:37], v[32:33], v[40:41], v[36:37]
	s_delay_alu instid0(VALU_DEP_2) | instskip(NEXT) | instid1(VALU_DEP_2)
	v_fma_f64 v[38:39], v[30:31], v[42:43], v[11:12]
	v_fma_f64 v[36:37], v[34:35], v[42:43], v[36:37]
	;; [unrolled: 1-line block ×3, first 2 shown]
	v_lshl_or_b32 v0, v67, 8, v69
	s_delay_alu instid0(VALU_DEP_1)
	v_add_nc_u32_e32 v0, 0x1000, v0
	ds_store_2addr_b64 v0, v[36:37], v[38:39] offset1:16
	s_waitcnt lgkmcnt(0)
	s_barrier
	buffer_gl0_inv
	s_and_saveexec_b32 s0, s1
	s_cbranch_execz .LBB105_31
; %bb.29:
	v_lshlrev_b32_e32 v0, 3, v66
	s_lshl_b64 s[4:5], s[6:7], 8
	s_mov_b32 s1, 0
	s_delay_alu instid0(VALU_DEP_1) | instskip(SKIP_3) | instid1(VALU_DEP_1)
	v_add_nc_u32_e32 v26, 0x1000, v0
	v_mad_u64_u32 v[0:1], null, v66, s6, 0
	ds_load_2addr_b64 v[32:35], v26 offset1:32
	v_mad_u64_u32 v[2:3], null, v66, s7, v[1:2]
	v_mov_b32_e32 v1, v2
	v_add_co_u32 v2, vcc_lo, v14, s4
	v_add_co_ci_u32_e32 v3, vcc_lo, s5, v15, vcc_lo
	s_delay_alu instid0(VALU_DEP_3) | instskip(SKIP_2) | instid1(VALU_DEP_2)
	v_lshlrev_b64 v[0:1], 3, v[0:1]
	s_waitcnt lgkmcnt(0)
	v_add_f64 v[16:17], v[32:33], 0
	v_add_co_u32 v13, vcc_lo, v2, v0
	s_delay_alu instid0(VALU_DEP_3)
	v_add_co_ci_u32_e32 v14, vcc_lo, v3, v1, vcc_lo
	global_load_b64 v[2:3], v[13:14], off
	v_add_f64 v[0:1], v[16:17], v[34:35]
	ds_load_2addr_b64 v[32:35], v26 offset0:64 offset1:96
	s_waitcnt lgkmcnt(0)
	v_add_f64 v[0:1], v[0:1], v[32:33]
	s_delay_alu instid0(VALU_DEP_1) | instskip(SKIP_3) | instid1(VALU_DEP_1)
	v_add_f64 v[0:1], v[0:1], v[34:35]
	ds_load_2addr_b64 v[32:35], v26 offset0:128 offset1:160
	s_waitcnt lgkmcnt(0)
	v_add_f64 v[0:1], v[0:1], v[32:33]
	v_add_f64 v[0:1], v[0:1], v[34:35]
	ds_load_2addr_b64 v[32:35], v26 offset0:192 offset1:224
	s_waitcnt lgkmcnt(0)
	v_add_f64 v[0:1], v[0:1], v[32:33]
	s_delay_alu instid0(VALU_DEP_1) | instskip(NEXT) | instid1(VALU_DEP_1)
	v_add_f64 v[0:1], v[0:1], v[34:35]
	v_mul_f64 v[15:16], v[8:9], v[0:1]
.LBB105_30:                             ; =>This Inner Loop Header: Depth=1
	s_waitcnt vmcnt(0)
	s_delay_alu instid0(VALU_DEP_1)
	v_add_f64 v[0:1], v[2:3], v[15:16]
	global_atomic_cmpswap_b64 v[0:1], v[13:14], v[0:3], off glc
	s_waitcnt vmcnt(0)
	v_cmp_eq_u64_e32 vcc_lo, v[0:1], v[2:3]
	v_dual_mov_b32 v3, v1 :: v_dual_mov_b32 v2, v0
	s_or_b32 s1, vcc_lo, s1
	s_delay_alu instid0(SALU_CYCLE_1)
	s_and_not1_b32 exec_lo, exec_lo, s1
	s_cbranch_execnz .LBB105_30
.LBB105_31:
	s_or_b32 exec_lo, exec_lo, s0
	v_fma_f64 v[16:17], v[24:25], v[4:5], v[11:12]
	v_fma_f64 v[22:23], v[24:25], v[6:7], v[22:23]
	v_fma_f64 v[20:21], v[24:25], v[28:29], v[20:21]
	v_fma_f64 v[18:19], v[24:25], v[30:31], v[18:19]
.LBB105_32:
	v_lshl_or_b32 v0, v67, 9, v69
	ds_store_2addr_b64 v0, v[16:17], v[22:23] offset1:16
	ds_store_2addr_b64 v0, v[20:21], v[18:19] offset0:32 offset1:48
	s_waitcnt lgkmcnt(0)
	s_barrier
	buffer_gl0_inv
	s_and_b32 exec_lo, exec_lo, s2
	s_cbranch_execz .LBB105_35
; %bb.33:
	v_lshlrev_b32_e32 v16, 4, v66
	v_add_nc_u32_e32 v2, 1, v66
	v_add_nc_u32_e32 v3, 2, v66
	;; [unrolled: 1-line block ×3, first 2 shown]
	s_mov_b32 s0, 0
	v_or_b32_e32 v12, v10, v16
	v_and_or_b32 v2, v2, 15, v16
	v_and_or_b32 v3, v3, 15, v16
	;; [unrolled: 1-line block ×3, first 2 shown]
	s_delay_alu instid0(VALU_DEP_4) | instskip(NEXT) | instid1(VALU_DEP_4)
	v_lshlrev_b32_e32 v0, 3, v12
	v_lshlrev_b32_e32 v2, 3, v2
	s_delay_alu instid0(VALU_DEP_4) | instskip(NEXT) | instid1(VALU_DEP_4)
	v_lshlrev_b32_e32 v5, 3, v3
	v_lshlrev_b32_e32 v6, 3, v4
	ds_load_b64 v[0:1], v0
	ds_load_b64 v[2:3], v2
	;; [unrolled: 1-line block ×4, first 2 shown]
	s_waitcnt lgkmcnt(3)
	v_add_f64 v[0:1], v[0:1], 0
	s_waitcnt lgkmcnt(2)
	s_delay_alu instid0(VALU_DEP_1) | instskip(SKIP_1) | instid1(VALU_DEP_1)
	v_add_f64 v[0:1], v[0:1], v[2:3]
	v_add_nc_u32_e32 v2, 4, v66
	v_and_or_b32 v2, v2, 15, v16
	s_delay_alu instid0(VALU_DEP_1)
	v_lshlrev_b32_e32 v2, 3, v2
	ds_load_b64 v[2:3], v2
	s_waitcnt lgkmcnt(2)
	v_add_f64 v[0:1], v[0:1], v[4:5]
	v_add_nc_u32_e32 v4, 5, v66
	v_add_nc_u32_e32 v5, 6, v66
	s_delay_alu instid0(VALU_DEP_2) | instskip(NEXT) | instid1(VALU_DEP_2)
	v_and_or_b32 v4, v4, 15, v16
	v_and_or_b32 v5, v5, 15, v16
	s_delay_alu instid0(VALU_DEP_2) | instskip(SKIP_4) | instid1(VALU_DEP_2)
	v_lshlrev_b32_e32 v4, 3, v4
	s_waitcnt lgkmcnt(1)
	v_add_f64 v[0:1], v[0:1], v[6:7]
	v_add_nc_u32_e32 v6, 7, v66
	v_lshlrev_b32_e32 v7, 3, v5
	v_and_or_b32 v6, v6, 15, v16
	s_delay_alu instid0(VALU_DEP_1)
	v_lshlrev_b32_e32 v10, 3, v6
	ds_load_b64 v[4:5], v4
	ds_load_b64 v[6:7], v7
	;; [unrolled: 1-line block ×3, first 2 shown]
	s_waitcnt lgkmcnt(3)
	v_add_f64 v[0:1], v[0:1], v[2:3]
	v_xor_b32_e32 v2, 8, v12
	s_delay_alu instid0(VALU_DEP_1)
	v_lshlrev_b32_e32 v2, 3, v2
	ds_load_b64 v[2:3], v2
	s_waitcnt lgkmcnt(3)
	v_add_f64 v[0:1], v[0:1], v[4:5]
	v_mad_u64_u32 v[4:5], null, v66, s6, 0
	s_waitcnt lgkmcnt(2)
	s_delay_alu instid0(VALU_DEP_2) | instskip(SKIP_2) | instid1(VALU_DEP_2)
	v_add_f64 v[0:1], v[0:1], v[6:7]
	v_add_nc_u32_e32 v6, 9, v66
	v_add_nc_u32_e32 v7, 10, v66
	v_and_or_b32 v6, v6, 15, v16
	s_delay_alu instid0(VALU_DEP_2) | instskip(NEXT) | instid1(VALU_DEP_1)
	v_and_or_b32 v7, v7, 15, v16
	v_lshlrev_b32_e32 v12, 3, v7
	s_waitcnt lgkmcnt(1)
	v_add_f64 v[0:1], v[0:1], v[10:11]
	v_lshlrev_b32_e32 v11, 3, v6
	v_mad_u64_u32 v[6:7], null, v66, s7, v[5:6]
	s_delay_alu instid0(VALU_DEP_1) | instskip(NEXT) | instid1(VALU_DEP_1)
	v_dual_mov_b32 v5, v6 :: v_dual_add_nc_u32 v10, 11, v66
	v_and_or_b32 v10, v10, 15, v16
	v_add_nc_u32_e32 v6, 12, v66
	s_delay_alu instid0(VALU_DEP_2) | instskip(SKIP_4) | instid1(VALU_DEP_1)
	v_lshlrev_b32_e32 v14, 3, v10
	ds_load_b64 v[10:11], v11
	ds_load_b64 v[12:13], v12
	;; [unrolled: 1-line block ×3, first 2 shown]
	v_and_or_b32 v6, v6, 15, v16
	v_lshlrev_b32_e32 v6, 3, v6
	ds_load_b64 v[6:7], v6
	s_waitcnt lgkmcnt(4)
	v_add_f64 v[0:1], v[0:1], v[2:3]
	v_lshlrev_b64 v[2:3], 3, v[4:5]
	s_delay_alu instid0(VALU_DEP_1) | instskip(NEXT) | instid1(VALU_DEP_2)
	v_add_co_u32 v4, vcc_lo, s3, v2
	v_add_co_ci_u32_e32 v5, vcc_lo, s17, v3, vcc_lo
	global_load_b64 v[2:3], v[4:5], off
	s_waitcnt lgkmcnt(3)
	v_add_f64 v[0:1], v[0:1], v[10:11]
	v_add_nc_u32_e32 v10, 13, v66
	v_add_nc_u32_e32 v11, 14, v66
	s_delay_alu instid0(VALU_DEP_2) | instskip(NEXT) | instid1(VALU_DEP_2)
	v_and_or_b32 v10, v10, 15, v16
	v_and_or_b32 v11, v11, 15, v16
	s_delay_alu instid0(VALU_DEP_2) | instskip(SKIP_4) | instid1(VALU_DEP_2)
	v_lshlrev_b32_e32 v10, 3, v10
	s_waitcnt lgkmcnt(2)
	v_add_f64 v[0:1], v[0:1], v[12:13]
	v_add_nc_u32_e32 v12, -1, v66
	v_lshlrev_b32_e32 v13, 3, v11
	v_and_or_b32 v12, v12, 15, v16
	s_waitcnt lgkmcnt(1)
	s_delay_alu instid0(VALU_DEP_4) | instskip(NEXT) | instid1(VALU_DEP_2)
	v_add_f64 v[0:1], v[0:1], v[14:15]
	v_lshlrev_b32_e32 v14, 3, v12
	ds_load_b64 v[10:11], v10
	ds_load_b64 v[12:13], v13
	;; [unrolled: 1-line block ×3, first 2 shown]
	s_waitcnt lgkmcnt(3)
	v_add_f64 v[0:1], v[0:1], v[6:7]
	s_waitcnt lgkmcnt(2)
	s_delay_alu instid0(VALU_DEP_1) | instskip(SKIP_1) | instid1(VALU_DEP_1)
	v_add_f64 v[0:1], v[0:1], v[10:11]
	s_waitcnt lgkmcnt(1)
	v_add_f64 v[0:1], v[0:1], v[12:13]
	s_waitcnt lgkmcnt(0)
	s_delay_alu instid0(VALU_DEP_1) | instskip(NEXT) | instid1(VALU_DEP_1)
	v_add_f64 v[0:1], v[0:1], v[14:15]
	v_mul_f64 v[6:7], v[8:9], v[0:1]
.LBB105_34:                             ; =>This Inner Loop Header: Depth=1
	s_waitcnt vmcnt(0)
	s_delay_alu instid0(VALU_DEP_1)
	v_add_f64 v[0:1], v[2:3], v[6:7]
	global_atomic_cmpswap_b64 v[0:1], v[4:5], v[0:3], off glc
	s_waitcnt vmcnt(0)
	v_cmp_eq_u64_e32 vcc_lo, v[0:1], v[2:3]
	v_dual_mov_b32 v3, v1 :: v_dual_mov_b32 v2, v0
	s_or_b32 s0, vcc_lo, s0
	s_delay_alu instid0(SALU_CYCLE_1)
	s_and_not1_b32 exec_lo, exec_lo, s0
	s_cbranch_execnz .LBB105_34
.LBB105_35:
	s_endpgm
	.section	.rodata,"a",@progbits
	.p2align	6, 0x0
	.amdhsa_kernel _ZL62rocblas_symv_kernel_lower_double_buffered_non_diagonal_genericILi32ELi4ELi4E24rocblas_internal_val_ptrIdEPKdPdEvbiT2_lT3_lllS6_lllT4_lllii
		.amdhsa_group_segment_fixed_size 6400
		.amdhsa_private_segment_fixed_size 0
		.amdhsa_kernarg_size 384
		.amdhsa_user_sgpr_count 13
		.amdhsa_user_sgpr_dispatch_ptr 0
		.amdhsa_user_sgpr_queue_ptr 0
		.amdhsa_user_sgpr_kernarg_segment_ptr 1
		.amdhsa_user_sgpr_dispatch_id 0
		.amdhsa_user_sgpr_private_segment_size 0
		.amdhsa_wavefront_size32 1
		.amdhsa_uses_dynamic_stack 0
		.amdhsa_enable_private_segment 0
		.amdhsa_system_sgpr_workgroup_id_x 1
		.amdhsa_system_sgpr_workgroup_id_y 1
		.amdhsa_system_sgpr_workgroup_id_z 1
		.amdhsa_system_sgpr_workgroup_info 0
		.amdhsa_system_vgpr_workitem_id 1
		.amdhsa_next_free_vgpr 73
		.amdhsa_next_free_sgpr 32
		.amdhsa_reserve_vcc 1
		.amdhsa_float_round_mode_32 0
		.amdhsa_float_round_mode_16_64 0
		.amdhsa_float_denorm_mode_32 3
		.amdhsa_float_denorm_mode_16_64 3
		.amdhsa_dx10_clamp 1
		.amdhsa_ieee_mode 1
		.amdhsa_fp16_overflow 0
		.amdhsa_workgroup_processor_mode 1
		.amdhsa_memory_ordered 1
		.amdhsa_forward_progress 0
		.amdhsa_shared_vgpr_count 0
		.amdhsa_exception_fp_ieee_invalid_op 0
		.amdhsa_exception_fp_denorm_src 0
		.amdhsa_exception_fp_ieee_div_zero 0
		.amdhsa_exception_fp_ieee_overflow 0
		.amdhsa_exception_fp_ieee_underflow 0
		.amdhsa_exception_fp_ieee_inexact 0
		.amdhsa_exception_int_div_zero 0
	.end_amdhsa_kernel
	.section	.text._ZL62rocblas_symv_kernel_lower_double_buffered_non_diagonal_genericILi32ELi4ELi4E24rocblas_internal_val_ptrIdEPKdPdEvbiT2_lT3_lllS6_lllT4_lllii,"axG",@progbits,_ZL62rocblas_symv_kernel_lower_double_buffered_non_diagonal_genericILi32ELi4ELi4E24rocblas_internal_val_ptrIdEPKdPdEvbiT2_lT3_lllS6_lllT4_lllii,comdat
.Lfunc_end105:
	.size	_ZL62rocblas_symv_kernel_lower_double_buffered_non_diagonal_genericILi32ELi4ELi4E24rocblas_internal_val_ptrIdEPKdPdEvbiT2_lT3_lllS6_lllT4_lllii, .Lfunc_end105-_ZL62rocblas_symv_kernel_lower_double_buffered_non_diagonal_genericILi32ELi4ELi4E24rocblas_internal_val_ptrIdEPKdPdEvbiT2_lT3_lllS6_lllT4_lllii
                                        ; -- End function
	.section	.AMDGPU.csdata,"",@progbits
; Kernel info:
; codeLenInByte = 4064
; NumSgprs: 34
; NumVgprs: 73
; ScratchSize: 0
; MemoryBound: 0
; FloatMode: 240
; IeeeMode: 1
; LDSByteSize: 6400 bytes/workgroup (compile time only)
; SGPRBlocks: 4
; VGPRBlocks: 9
; NumSGPRsForWavesPerEU: 34
; NumVGPRsForWavesPerEU: 73
; Occupancy: 16
; WaveLimiterHint : 0
; COMPUTE_PGM_RSRC2:SCRATCH_EN: 0
; COMPUTE_PGM_RSRC2:USER_SGPR: 13
; COMPUTE_PGM_RSRC2:TRAP_HANDLER: 0
; COMPUTE_PGM_RSRC2:TGID_X_EN: 1
; COMPUTE_PGM_RSRC2:TGID_Y_EN: 1
; COMPUTE_PGM_RSRC2:TGID_Z_EN: 1
; COMPUTE_PGM_RSRC2:TIDIG_COMP_CNT: 1
	.section	.text._ZL26rocblas_hemvn_kernel_lowerILb0ELi64ELi4ELi33ELi32ELi16ElPKdS1_PdEviT6_lT7_lT5_lS4_lS5_lS3_lT8_i,"axG",@progbits,_ZL26rocblas_hemvn_kernel_lowerILb0ELi64ELi4ELi33ELi32ELi16ElPKdS1_PdEviT6_lT7_lT5_lS4_lS5_lS3_lT8_i,comdat
	.globl	_ZL26rocblas_hemvn_kernel_lowerILb0ELi64ELi4ELi33ELi32ELi16ElPKdS1_PdEviT6_lT7_lT5_lS4_lS5_lS3_lT8_i ; -- Begin function _ZL26rocblas_hemvn_kernel_lowerILb0ELi64ELi4ELi33ELi32ELi16ElPKdS1_PdEviT6_lT7_lT5_lS4_lS5_lS3_lT8_i
	.p2align	8
	.type	_ZL26rocblas_hemvn_kernel_lowerILb0ELi64ELi4ELi33ELi32ELi16ElPKdS1_PdEviT6_lT7_lT5_lS4_lS5_lS3_lT8_i,@function
_ZL26rocblas_hemvn_kernel_lowerILb0ELi64ELi4ELi33ELi32ELi16ElPKdS1_PdEviT6_lT7_lT5_lS4_lS5_lS3_lT8_i: ; @_ZL26rocblas_hemvn_kernel_lowerILb0ELi64ELi4ELi33ELi32ELi16ElPKdS1_PdEviT6_lT7_lT5_lS4_lS5_lS3_lT8_i
; %bb.0:
	s_load_b64 s[4:5], s[0:1], 0x84
	s_add_u32 s2, s0, 0x78
	s_addc_u32 s3, s1, 0
	s_waitcnt lgkmcnt(0)
	s_lshr_b32 s6, s4, 16
	s_and_b32 s4, s4, 0xffff
	s_and_b32 s5, s5, 0xffff
	s_mul_i32 s4, s6, s4
	s_delay_alu instid0(SALU_CYCLE_1) | instskip(NEXT) | instid1(SALU_CYCLE_1)
	s_mul_i32 s4, s4, s5
	s_cmpk_lg_i32 s4, 0x100
	s_cbranch_scc1 .LBB106_76
; %bb.1:
	s_clause 0x1
	s_load_b512 s[16:31], s[0:1], 0x8
	s_load_b256 s[36:43], s[0:1], 0x48
	s_waitcnt lgkmcnt(0)
	s_mul_i32 s5, s15, s19
	s_mul_hi_u32 s6, s15, s18
	s_mul_i32 s4, s15, s18
	s_add_i32 s5, s6, s5
	s_mul_i32 s6, s15, s43
	s_lshl_b64 s[4:5], s[4:5], 3
	s_mul_hi_u32 s7, s15, s42
	s_add_u32 s4, s16, s4
	s_addc_u32 s5, s17, s5
	s_add_i32 s7, s7, s6
	s_mul_i32 s6, s15, s42
	s_delay_alu instid0(SALU_CYCLE_1) | instskip(NEXT) | instid1(SALU_CYCLE_1)
	s_lshl_b64 s[6:7], s[6:7], 3
	s_add_u32 s6, s40, s6
	s_addc_u32 s7, s41, s7
	s_load_b64 s[4:5], s[4:5], 0x0
	s_load_b64 s[6:7], s[6:7], 0x0
	s_waitcnt lgkmcnt(0)
	v_cmp_eq_f64_e64 s4, s[4:5], 0
	v_cmp_eq_f64_e64 s5, s[6:7], 1.0
	s_delay_alu instid0(VALU_DEP_1) | instskip(NEXT) | instid1(SALU_CYCLE_1)
	s_and_b32 s5, s4, s5
	s_and_b32 vcc_lo, exec_lo, s5
	s_cbranch_vccnz .LBB106_76
; %bb.2:
	s_and_b32 vcc_lo, exec_lo, s4
	s_cbranch_vccnz .LBB106_76
; %bb.3:
	s_mul_i32 s5, s15, s39
	s_mul_hi_u32 s6, s15, s38
	s_mul_i32 s4, s15, s38
	s_add_i32 s5, s6, s5
	v_and_b32_e32 v26, 0x3ff, v0
	s_lshl_b64 s[4:5], s[4:5], 3
	s_clause 0x1
	s_load_b32 s33, s[0:1], 0x0
	s_load_b64 s[16:17], s[0:1], 0x68
	s_add_u32 s6, s28, s4
	s_addc_u32 s7, s29, s5
	s_lshl_b64 s[4:5], s[30:31], 3
	s_load_b32 s28, s[2:3], 0x0
	s_add_u32 s4, s6, s4
	s_addc_u32 s5, s7, s5
	s_lshl_b32 s10, s14, 6
	v_bfe_u32 v72, v0, 10, 10
	v_add_nc_u32_e32 v16, s10, v26
	s_delay_alu instid0(VALU_DEP_1) | instskip(SKIP_2) | instid1(VALU_DEP_3)
	v_ashrrev_i32_e32 v17, 31, v16
	v_mul_lo_u32 v3, v16, s37
	v_mad_u64_u32 v[1:2], null, v16, s36, 0
	v_mul_lo_u32 v4, v17, s36
	s_waitcnt lgkmcnt(0)
	s_ashr_i32 s29, s33, 31
	s_delay_alu instid0(SALU_CYCLE_1) | instskip(NEXT) | instid1(SALU_CYCLE_1)
	s_lshr_b32 s0, s29, 26
	s_add_i32 s1, s33, s0
	s_add_i32 s2, s28, -1
	s_and_not1_b32 s1, s1, 63
	s_delay_alu instid0(VALU_DEP_1)
	v_add3_u32 v2, v2, v3, v4
	v_cmp_ne_u32_e64 s0, 0, v72
	s_sub_i32 s3, s33, s1
	v_cmp_eq_u32_e64 s1, 0, v72
	s_cmp_eq_u32 s14, s2
	v_lshlrev_b64 v[0:1], 3, v[1:2]
	s_cselect_b32 s12, s3, 0
	s_delay_alu instid0(VALU_DEP_1) | instskip(NEXT) | instid1(VALU_DEP_2)
	v_add_co_u32 v20, vcc_lo, s4, v0
	v_add_co_ci_u32_e32 v21, vcc_lo, s5, v1, vcc_lo
	s_and_saveexec_b32 s2, s1
	s_cbranch_execz .LBB106_7
; %bb.4:
	v_cmp_gt_i32_e32 vcc_lo, s12, v26
	s_cmp_eq_u32 s12, 0
	v_mov_b32_e32 v0, 0
	v_mov_b32_e32 v1, 0
	s_cselect_b32 s3, -1, 0
	s_delay_alu instid0(SALU_CYCLE_1) | instskip(NEXT) | instid1(SALU_CYCLE_1)
	s_or_b32 s4, s3, vcc_lo
	s_and_saveexec_b32 s3, s4
	s_cbranch_execz .LBB106_6
; %bb.5:
	global_load_b64 v[0:1], v[20:21], off
.LBB106_6:
	s_or_b32 exec_lo, exec_lo, s3
	v_lshlrev_b32_e32 v2, 3, v26
	s_waitcnt vmcnt(0)
	ds_store_b64 v2, v[0:1] offset:9088
.LBB106_7:
	s_or_b32 exec_lo, exec_lo, s2
	v_lshl_add_u32 v27, v72, 6, v26
	v_dual_mov_b32 v1, 0 :: v_dual_and_b32 v0, 31, v26
	s_mul_i32 s3, s15, s27
	s_mul_hi_u32 s4, s15, s26
	s_delay_alu instid0(VALU_DEP_2)
	v_lshrrev_b32_e32 v11, 5, v27
	s_mul_i32 s2, s15, s26
	s_add_i32 s3, s4, s3
	s_mul_i32 s6, s10, s25
	s_lshl_b64 s[2:3], s[2:3], 3
	v_mad_u64_u32 v[2:3], null, v11, s24, v[0:1]
	s_add_u32 s4, s20, s2
	s_addc_u32 s5, s21, s3
	s_lshl_b64 s[2:3], s[22:23], 3
	s_mul_hi_u32 s7, s10, s24
	s_add_u32 s4, s4, s2
	s_addc_u32 s5, s5, s3
	s_delay_alu instid0(VALU_DEP_1) | instskip(SKIP_1) | instid1(SALU_CYCLE_1)
	v_mov_b32_e32 v1, v3
	s_ashr_i32 s11, s10, 31
	s_lshl_b64 s[2:3], s[10:11], 3
	s_mul_i32 s8, s11, s24
	s_delay_alu instid0(VALU_DEP_1)
	v_mad_u64_u32 v[3:4], null, v11, s25, v[1:2]
	s_add_u32 s4, s4, s2
	s_addc_u32 s5, s5, s3
	s_add_i32 s3, s7, s6
	s_mul_i32 s2, s10, s24
	s_add_i32 s3, s3, s8
	s_delay_alu instid0(SALU_CYCLE_1) | instskip(NEXT) | instid1(VALU_DEP_1)
	s_lshl_b64 s[18:19], s[2:3], 3
	v_lshlrev_b64 v[22:23], 3, v[2:3]
	s_add_u32 s2, s18, s4
	s_addc_u32 s3, s19, s5
	s_cmp_lg_u32 s12, 0
	s_cselect_b32 s22, -1, 0
	s_delay_alu instid0(VALU_DEP_1)
	v_add_co_u32 v1, vcc_lo, s2, v22
	v_add_co_ci_u32_e32 v2, vcc_lo, s3, v23, vcc_lo
	s_cmp_eq_u32 s12, 0
	s_mov_b32 s2, 0
	s_cselect_b32 s7, -1, 0
	s_and_b32 vcc_lo, exec_lo, s22
	s_cbranch_vccnz .LBB106_9
; %bb.8:
	v_mad_u64_u32 v[3:4], null, 0xc0, s24, v[1:2]
	s_lshl_b64 s[4:5], s[24:25], 6
	s_delay_alu instid0(VALU_DEP_1) | instskip(SKIP_2) | instid1(VALU_DEP_2)
	v_mad_u64_u32 v[5:6], null, 0xc0, s25, v[4:5]
	v_add_co_u32 v6, vcc_lo, v1, s4
	v_add_co_ci_u32_e32 v7, vcc_lo, s5, v2, vcc_lo
	v_add_co_u32 v8, vcc_lo, v6, s4
	s_delay_alu instid0(VALU_DEP_2)
	v_add_co_ci_u32_e32 v9, vcc_lo, s5, v7, vcc_lo
	v_mov_b32_e32 v4, v5
	s_clause 0x1
	global_load_b64 v[12:13], v[1:2], off
	global_load_b64 v[5:6], v[6:7], off
	global_load_b64 v[7:8], v[8:9], off
	global_load_b64 v[3:4], v[3:4], off
	v_mul_u32_u24_e32 v9, 33, v11
	s_delay_alu instid0(VALU_DEP_1)
	v_add_lshl_u32 v9, v9, v0, 3
	s_waitcnt vmcnt(3)
	ds_store_b64 v9, v[12:13]
	s_waitcnt vmcnt(2)
	ds_store_b64 v9, v[5:6] offset:2112
	s_waitcnt vmcnt(1)
	ds_store_b64 v9, v[7:8] offset:4224
	;; [unrolled: 2-line block ×3, first 2 shown]
	s_and_not1_b32 vcc_lo, exec_lo, s2
	s_cbranch_vccz .LBB106_10
	s_branch .LBB106_19
.LBB106_9:
.LBB106_10:
	v_dual_mov_b32 v5, 0 :: v_dual_lshlrev_b32 v12, 3, v0
	s_ashr_i32 s13, s12, 31
	s_mov_b32 s3, exec_lo
	s_lshl_b64 s[4:5], s[12:13], 3
	s_delay_alu instid0(VALU_DEP_1) | instskip(SKIP_1) | instid1(VALU_DEP_2)
	v_sub_co_u32 v3, vcc_lo, v1, v12
	v_subrev_co_ci_u32_e32 v4, vcc_lo, 0, v2, vcc_lo
	v_add_co_u32 v3, vcc_lo, v3, s4
	s_delay_alu instid0(VALU_DEP_2) | instskip(NEXT) | instid1(VALU_DEP_2)
	v_add_co_ci_u32_e32 v4, vcc_lo, s5, v4, vcc_lo
	v_add_co_u32 v3, vcc_lo, v3, -8
	s_delay_alu instid0(VALU_DEP_2) | instskip(SKIP_1) | instid1(VALU_DEP_3)
	v_add_co_ci_u32_e32 v4, vcc_lo, -1, v4, vcc_lo
	v_cmp_gt_i32_e32 vcc_lo, s12, v0
	v_dual_mov_b32 v6, 0 :: v_dual_cndmask_b32 v3, v3, v1
	s_delay_alu instid0(VALU_DEP_1) | instskip(NEXT) | instid1(VALU_DEP_4)
	v_mov_b32_e32 v8, v6
	v_dual_cndmask_b32 v4, v4, v2 :: v_dual_mov_b32 v7, v5
	v_cmpx_gt_i32_e64 s12, v11
	s_cbranch_execz .LBB106_12
; %bb.11:
	global_load_b64 v[7:8], v[3:4], off
.LBB106_12:
	s_or_b32 exec_lo, exec_lo, s3
	v_mul_u32_u24_e32 v9, 33, v11
	v_add_nc_u32_e32 v10, 8, v11
	s_mov_b32 s3, exec_lo
	s_delay_alu instid0(VALU_DEP_2)
	v_add_lshl_u32 v13, v9, v0, 3
	s_waitcnt vmcnt(0)
	ds_store_b64 v13, v[7:8]
	v_cmpx_gt_i32_e64 s12, v10
	s_cbranch_execz .LBB106_14
; %bb.13:
	s_lshl_b64 s[8:9], s[24:25], 6
	s_delay_alu instid0(SALU_CYCLE_1) | instskip(NEXT) | instid1(VALU_DEP_1)
	v_add_co_u32 v5, s2, v3, s8
	v_add_co_ci_u32_e64 v6, s2, s9, v4, s2
	global_load_b64 v[5:6], v[5:6], off
.LBB106_14:
	s_or_b32 exec_lo, exec_lo, s3
	v_mov_b32_e32 v7, 0
	v_dual_mov_b32 v8, 0 :: v_dual_add_nc_u32 v9, 16, v11
	s_waitcnt vmcnt(0)
	ds_store_b64 v13, v[5:6] offset:2112
	v_cmp_gt_i32_e64 s2, s12, v9
	v_dual_mov_b32 v10, v8 :: v_dual_mov_b32 v9, v7
	s_delay_alu instid0(VALU_DEP_2)
	s_and_saveexec_b32 s3, s2
	s_cbranch_execz .LBB106_16
; %bb.15:
	s_lshl_b64 s[8:9], s[24:25], 7
	s_delay_alu instid0(SALU_CYCLE_1) | instskip(NEXT) | instid1(VALU_DEP_1)
	v_add_co_u32 v5, s2, v3, s8
	v_add_co_ci_u32_e64 v6, s2, s9, v4, s2
	global_load_b64 v[9:10], v[5:6], off
.LBB106_16:
	s_or_b32 exec_lo, exec_lo, s3
	v_add_nc_u32_e32 v5, 24, v11
	s_mov_b32 s3, exec_lo
	s_waitcnt vmcnt(0)
	ds_store_b64 v13, v[9:10] offset:4224
	v_cmpx_gt_i32_e64 s12, v5
	s_cbranch_execz .LBB106_18
; %bb.17:
	v_mad_u64_u32 v[5:6], null, 0xc0, s24, v[3:4]
	s_delay_alu instid0(VALU_DEP_1) | instskip(NEXT) | instid1(VALU_DEP_1)
	v_mad_u64_u32 v[7:8], null, 0xc0, s25, v[6:7]
	v_mov_b32_e32 v6, v7
	global_load_b64 v[7:8], v[5:6], off
.LBB106_18:
	s_or_b32 exec_lo, exec_lo, s3
	v_add_co_u32 v3, s2, v3, v12
	s_delay_alu instid0(VALU_DEP_1) | instskip(SKIP_3) | instid1(VALU_DEP_1)
	v_add_co_ci_u32_e64 v4, s2, 0, v4, s2
	s_waitcnt vmcnt(0)
	ds_store_b64 v13, v[7:8] offset:6336
	v_sub_co_u32 v3, s2, v3, s4
	v_subrev_co_ci_u32_e64 v4, s2, s5, v4, s2
	s_delay_alu instid0(VALU_DEP_2) | instskip(NEXT) | instid1(VALU_DEP_1)
	v_add_co_u32 v3, s2, v3, 8
	v_add_co_ci_u32_e64 v4, s2, 0, v4, s2
	s_delay_alu instid0(VALU_DEP_1)
	v_dual_cndmask_b32 v1, v3, v1 :: v_dual_cndmask_b32 v2, v4, v2
.LBB106_19:
	v_lshlrev_b32_e32 v3, 2, v11
	v_mul_u32_u24_e32 v28, 33, v0
	v_mul_u32_u24_e32 v4, 0x84, v11
	s_waitcnt lgkmcnt(0)
	s_barrier
	v_cmp_lt_u32_e64 s3, v3, v0
	v_add_lshl_u32 v30, v3, v28, 3
	buffer_gl0_inv
	s_and_saveexec_b32 s2, s3
	s_cbranch_execz .LBB106_21
; %bb.20:
	v_add_lshl_u32 v5, v4, v0, 3
	ds_load_b64 v[5:6], v5
	s_waitcnt lgkmcnt(0)
	ds_store_b64 v30, v[5:6]
.LBB106_21:
	s_or_b32 exec_lo, exec_lo, s2
	v_or_b32_e32 v5, 1, v3
	s_delay_alu instid0(VALU_DEP_1) | instskip(NEXT) | instid1(VALU_DEP_1)
	v_cmp_lt_u32_e64 s4, v5, v0
	s_and_saveexec_b32 s2, s4
	s_cbranch_execz .LBB106_23
; %bb.22:
	v_mul_u32_u24_e32 v5, 33, v5
	s_delay_alu instid0(VALU_DEP_1)
	v_add_lshl_u32 v5, v5, v0, 3
	ds_load_b64 v[5:6], v5
	s_waitcnt lgkmcnt(0)
	ds_store_b64 v30, v[5:6] offset:8
.LBB106_23:
	s_or_b32 exec_lo, exec_lo, s2
	v_or_b32_e32 v5, 2, v3
	s_delay_alu instid0(VALU_DEP_1) | instskip(NEXT) | instid1(VALU_DEP_1)
	v_cmp_lt_u32_e64 s5, v5, v0
	s_and_saveexec_b32 s2, s5
	s_cbranch_execz .LBB106_25
; %bb.24:
	v_mul_u32_u24_e32 v5, 33, v5
	s_delay_alu instid0(VALU_DEP_1)
	v_add_lshl_u32 v5, v5, v0, 3
	ds_load_b64 v[5:6], v5
	s_waitcnt lgkmcnt(0)
	ds_store_b64 v30, v[5:6] offset:16
.LBB106_25:
	s_or_b32 exec_lo, exec_lo, s2
	v_or_b32_e32 v5, 3, v3
	s_delay_alu instid0(VALU_DEP_1) | instskip(SKIP_1) | instid1(VALU_DEP_2)
	v_mad_u32_u24 v6, v5, 33, v0
	v_cmp_lt_u32_e64 s6, v5, v0
	v_lshlrev_b32_e32 v9, 3, v6
	s_delay_alu instid0(VALU_DEP_2)
	s_and_saveexec_b32 s2, s6
	s_cbranch_execz .LBB106_27
; %bb.26:
	ds_load_b64 v[5:6], v9
	s_waitcnt lgkmcnt(0)
	ds_store_b64 v30, v[5:6] offset:24
.LBB106_27:
	s_or_b32 exec_lo, exec_lo, s2
	v_add_lshl_u32 v10, v4, v0, 3
	v_lshlrev_b32_e32 v12, 3, v3
	v_dual_mov_b32 v18, 0 :: v_dual_add_nc_u32 v13, 0xfffffdf0, v9
	s_waitcnt lgkmcnt(0)
	s_barrier
	buffer_gl0_inv
	v_mov_b32_e32 v19, 0
	ds_load_b64 v[7:8], v10
	ds_load_b128 v[3:6], v12 offset:9088
	ds_load_2addr_b64 v[31:34], v13 offset1:33
	v_add_lshl_u32 v29, v11, v28, 3
	v_cmp_gt_u32_e64 s2, 32, v27
	s_waitcnt lgkmcnt(1)
	v_fma_f64 v[3:4], v[7:8], v[3:4], 0
	s_waitcnt lgkmcnt(0)
	s_delay_alu instid0(VALU_DEP_1)
	v_fma_f64 v[7:8], v[31:32], v[5:6], v[3:4]
	ds_load_b128 v[3:6], v12 offset:9104
	ds_load_b64 v[14:15], v9
	s_waitcnt lgkmcnt(0)
	s_barrier
	buffer_gl0_inv
	v_fma_f64 v[3:4], v[33:34], v[3:4], v[7:8]
	s_delay_alu instid0(VALU_DEP_1)
	v_fma_f64 v[3:4], v[14:15], v[5:6], v[3:4]
	ds_store_b64 v29, v[3:4]
	s_waitcnt lgkmcnt(0)
	s_barrier
	buffer_gl0_inv
	s_and_saveexec_b32 s8, s2
	s_cbranch_execz .LBB106_29
; %bb.28:
	v_lshlrev_b32_e32 v14, 3, v28
	ds_load_2addr_b64 v[3:6], v14 offset1:1
	ds_load_2addr_b64 v[31:34], v14 offset0:2 offset1:3
	s_waitcnt lgkmcnt(1)
	v_add_f64 v[3:4], v[3:4], v[5:6]
	s_waitcnt lgkmcnt(0)
	s_delay_alu instid0(VALU_DEP_1) | instskip(NEXT) | instid1(VALU_DEP_1)
	v_add_f64 v[3:4], v[3:4], v[31:32]
	v_add_f64 v[7:8], v[3:4], v[33:34]
	ds_load_2addr_b64 v[3:6], v14 offset0:4 offset1:5
	ds_load_2addr_b64 v[31:34], v14 offset0:6 offset1:7
	s_waitcnt lgkmcnt(1)
	v_add_f64 v[3:4], v[7:8], v[3:4]
	s_delay_alu instid0(VALU_DEP_1) | instskip(SKIP_1) | instid1(VALU_DEP_1)
	v_add_f64 v[3:4], v[3:4], v[5:6]
	s_waitcnt lgkmcnt(0)
	v_add_f64 v[3:4], v[3:4], v[31:32]
	s_delay_alu instid0(VALU_DEP_1)
	v_add_f64 v[18:19], v[3:4], v[33:34]
.LBB106_29:
	s_or_b32 exec_lo, exec_lo, s8
	s_lshl_b64 s[8:9], s[24:25], 8
	v_cndmask_b32_e64 v14, 0, 1, s7
	v_add_co_u32 v1, vcc_lo, v1, s8
	v_add_co_ci_u32_e32 v2, vcc_lo, s9, v2, vcc_lo
	s_delay_alu instid0(VALU_DEP_2) | instskip(NEXT) | instid1(VALU_DEP_2)
	v_add_co_u32 v15, vcc_lo, 0x100, v1
	v_add_co_ci_u32_e32 v25, vcc_lo, 0, v2, vcc_lo
	s_and_not1_b32 vcc_lo, exec_lo, s7
	s_barrier
	buffer_gl0_inv
	s_cbranch_vccnz .LBB106_31
; %bb.30:
	v_mad_u64_u32 v[3:4], null, 0xc0, s24, v[1:2]
	s_lshl_b64 s[20:21], s[24:25], 6
	v_mul_u32_u24_e32 v24, 33, v11
	s_delay_alu instid0(VALU_DEP_1) | instskip(NEXT) | instid1(VALU_DEP_3)
	v_add_lshl_u32 v24, v24, v0, 3
	v_mad_u64_u32 v[5:6], null, 0xc0, s25, v[4:5]
	v_add_co_u32 v6, vcc_lo, v1, s20
	v_add_co_ci_u32_e32 v7, vcc_lo, s21, v2, vcc_lo
	s_delay_alu instid0(VALU_DEP_2) | instskip(NEXT) | instid1(VALU_DEP_2)
	v_add_co_u32 v31, vcc_lo, v6, s20
	v_add_co_ci_u32_e32 v32, vcc_lo, s21, v7, vcc_lo
	v_mov_b32_e32 v4, v5
	s_clause 0x3
	global_load_b64 v[1:2], v[1:2], off offset:256
	global_load_b64 v[5:6], v[6:7], off offset:256
	;; [unrolled: 1-line block ×4, first 2 shown]
	s_waitcnt vmcnt(3)
	ds_store_b64 v24, v[1:2]
	s_waitcnt vmcnt(2)
	ds_store_b64 v24, v[5:6] offset:2112
	s_waitcnt vmcnt(1)
	ds_store_b64 v24, v[7:8] offset:4224
	;; [unrolled: 2-line block ×3, first 2 shown]
	s_cbranch_execz .LBB106_32
	s_branch .LBB106_41
.LBB106_31:
.LBB106_32:
	v_dual_mov_b32 v5, 0 :: v_dual_lshlrev_b32 v24, 3, v0
	s_ashr_i32 s13, s12, 31
	v_or_b32_e32 v3, 32, v0
	s_lshl_b64 s[20:21], s[12:13], 3
	s_delay_alu instid0(VALU_DEP_2) | instskip(SKIP_2) | instid1(VALU_DEP_2)
	v_sub_co_u32 v1, vcc_lo, v15, v24
	v_subrev_co_ci_u32_e32 v2, vcc_lo, 0, v25, vcc_lo
	s_sub_i32 s13, s12, 32
	v_add_co_u32 v1, vcc_lo, v1, s20
	s_delay_alu instid0(VALU_DEP_2) | instskip(SKIP_1) | instid1(VALU_DEP_2)
	v_add_co_ci_u32_e32 v2, vcc_lo, s21, v2, vcc_lo
	s_mov_b32 s23, exec_lo
	v_add_co_u32 v1, vcc_lo, 0xfffffef8, v1
	s_delay_alu instid0(VALU_DEP_2) | instskip(SKIP_1) | instid1(VALU_DEP_3)
	v_add_co_ci_u32_e32 v2, vcc_lo, -1, v2, vcc_lo
	v_cmp_gt_i32_e32 vcc_lo, s12, v3
	v_dual_mov_b32 v6, 0 :: v_dual_cndmask_b32 v1, v1, v15
	s_delay_alu instid0(VALU_DEP_3) | instskip(NEXT) | instid1(VALU_DEP_2)
	v_dual_cndmask_b32 v2, v2, v25 :: v_dual_mov_b32 v3, v5
	v_mov_b32_e32 v4, v6
	v_cmpx_gt_i32_e64 s13, v11
	s_cbranch_execz .LBB106_34
; %bb.33:
	global_load_b64 v[3:4], v[1:2], off
.LBB106_34:
	s_or_b32 exec_lo, exec_lo, s23
	v_mul_u32_u24_e32 v7, 33, v11
	v_add_nc_u32_e32 v8, 8, v11
	s_mov_b32 s23, exec_lo
	s_delay_alu instid0(VALU_DEP_2)
	v_add_lshl_u32 v31, v7, v0, 3
	s_waitcnt vmcnt(0)
	ds_store_b64 v31, v[3:4]
	v_cmpx_gt_i32_e64 s13, v8
	s_cbranch_execz .LBB106_36
; %bb.35:
	s_lshl_b64 s[26:27], s[24:25], 6
	s_delay_alu instid0(SALU_CYCLE_1) | instskip(NEXT) | instid1(VALU_DEP_1)
	v_add_co_u32 v3, s7, v1, s26
	v_add_co_ci_u32_e64 v4, s7, s27, v2, s7
	global_load_b64 v[5:6], v[3:4], off
.LBB106_36:
	s_or_b32 exec_lo, exec_lo, s23
	v_mov_b32_e32 v3, 0
	v_dual_mov_b32 v4, 0 :: v_dual_add_nc_u32 v7, 16, v11
	s_waitcnt vmcnt(0)
	ds_store_b64 v31, v[5:6] offset:2112
	v_cmp_gt_i32_e64 s7, s13, v7
	v_dual_mov_b32 v8, v4 :: v_dual_mov_b32 v7, v3
	s_delay_alu instid0(VALU_DEP_2)
	s_and_saveexec_b32 s23, s7
	s_cbranch_execz .LBB106_38
; %bb.37:
	s_lshl_b64 s[26:27], s[24:25], 7
	s_delay_alu instid0(SALU_CYCLE_1) | instskip(NEXT) | instid1(VALU_DEP_1)
	v_add_co_u32 v5, s7, v1, s26
	v_add_co_ci_u32_e64 v6, s7, s27, v2, s7
	global_load_b64 v[7:8], v[5:6], off
.LBB106_38:
	s_or_b32 exec_lo, exec_lo, s23
	v_add_nc_u32_e32 v5, 24, v11
	s_waitcnt vmcnt(0)
	ds_store_b64 v31, v[7:8] offset:4224
	v_cmp_gt_i32_e64 s7, s13, v5
	s_delay_alu instid0(VALU_DEP_1)
	s_and_saveexec_b32 s13, s7
	s_cbranch_execz .LBB106_40
; %bb.39:
	v_mad_u64_u32 v[3:4], null, 0xc0, s24, v[1:2]
	s_delay_alu instid0(VALU_DEP_1) | instskip(NEXT) | instid1(VALU_DEP_1)
	v_mad_u64_u32 v[5:6], null, 0xc0, s25, v[4:5]
	v_mov_b32_e32 v4, v5
	global_load_b64 v[3:4], v[3:4], off
.LBB106_40:
	s_or_b32 exec_lo, exec_lo, s13
	v_add_co_u32 v1, s7, v1, v24
	s_delay_alu instid0(VALU_DEP_1) | instskip(SKIP_3) | instid1(VALU_DEP_1)
	v_add_co_ci_u32_e64 v2, s7, 0, v2, s7
	s_waitcnt vmcnt(0)
	ds_store_b64 v31, v[3:4] offset:6336
	v_sub_co_u32 v1, s7, v1, s20
	v_subrev_co_ci_u32_e64 v2, s7, s21, v2, s7
	s_delay_alu instid0(VALU_DEP_2) | instskip(NEXT) | instid1(VALU_DEP_1)
	v_add_co_u32 v1, s7, 0x108, v1
	v_add_co_ci_u32_e64 v2, s7, 0, v2, s7
	s_delay_alu instid0(VALU_DEP_2) | instskip(NEXT) | instid1(VALU_DEP_2)
	v_cndmask_b32_e32 v15, v1, v15, vcc_lo
	v_cndmask_b32_e32 v25, v2, v25, vcc_lo
.LBB106_41:
	v_add_nc_u32_e32 v12, 0x2380, v12
	s_lshl_b64 s[20:21], s[24:25], 5
	s_waitcnt lgkmcnt(0)
	s_barrier
	buffer_gl0_inv
	s_and_saveexec_b32 s7, s3
	s_cbranch_execnz .LBB106_50
; %bb.42:
	s_or_b32 exec_lo, exec_lo, s7
	s_and_saveexec_b32 s3, s4
	s_cbranch_execnz .LBB106_51
.LBB106_43:
	s_or_b32 exec_lo, exec_lo, s3
	s_and_saveexec_b32 s3, s5
	s_cbranch_execnz .LBB106_52
.LBB106_44:
	s_or_b32 exec_lo, exec_lo, s3
	s_and_saveexec_b32 s3, s6
	s_cbranch_execz .LBB106_46
.LBB106_45:
	ds_load_b64 v[1:2], v9
	s_waitcnt lgkmcnt(0)
	ds_store_b64 v30, v[1:2] offset:24
.LBB106_46:
	s_or_b32 exec_lo, exec_lo, s3
	s_waitcnt lgkmcnt(0)
	s_barrier
	buffer_gl0_inv
	ds_load_b64 v[5:6], v10
	ds_load_b128 v[1:4], v12 offset:256
	v_cmp_eq_u32_e64 s3, 1, v11
	s_waitcnt lgkmcnt(0)
	v_fma_f64 v[1:2], v[5:6], v[1:2], 0
	ds_load_2addr_b64 v[5:8], v13 offset1:33
	s_waitcnt lgkmcnt(0)
	v_fma_f64 v[5:6], v[5:6], v[3:4], v[1:2]
	ds_load_b128 v[1:4], v12 offset:272
	ds_load_b64 v[9:10], v9
	s_waitcnt lgkmcnt(0)
	s_barrier
	buffer_gl0_inv
	v_fma_f64 v[1:2], v[7:8], v[1:2], v[5:6]
	s_delay_alu instid0(VALU_DEP_1)
	v_fma_f64 v[1:2], v[9:10], v[3:4], v[1:2]
	ds_store_b64 v29, v[1:2]
	s_waitcnt lgkmcnt(0)
	s_barrier
	buffer_gl0_inv
	s_and_saveexec_b32 s4, s3
	s_cbranch_execz .LBB106_48
; %bb.47:
	v_lshlrev_b32_e32 v13, 3, v28
	ds_load_2addr_b64 v[1:4], v13 offset1:1
	ds_load_2addr_b64 v[5:8], v13 offset0:2 offset1:3
	s_waitcnt lgkmcnt(1)
	v_add_f64 v[1:2], v[1:2], v[3:4]
	s_waitcnt lgkmcnt(0)
	s_delay_alu instid0(VALU_DEP_1) | instskip(NEXT) | instid1(VALU_DEP_1)
	v_add_f64 v[1:2], v[1:2], v[5:6]
	v_add_f64 v[9:10], v[1:2], v[7:8]
	ds_load_2addr_b64 v[1:4], v13 offset0:4 offset1:5
	ds_load_2addr_b64 v[5:8], v13 offset0:6 offset1:7
	s_waitcnt lgkmcnt(1)
	v_add_f64 v[1:2], v[9:10], v[1:2]
	s_delay_alu instid0(VALU_DEP_1) | instskip(SKIP_1) | instid1(VALU_DEP_1)
	v_add_f64 v[1:2], v[1:2], v[3:4]
	s_waitcnt lgkmcnt(0)
	v_add_f64 v[1:2], v[1:2], v[5:6]
	s_delay_alu instid0(VALU_DEP_1)
	v_add_f64 v[18:19], v[1:2], v[7:8]
.LBB106_48:
	s_or_b32 exec_lo, exec_lo, s4
	s_lshl_b64 s[4:5], s[20:21], 3
	v_cmp_ne_u32_e32 vcc_lo, 1, v14
	v_sub_co_u32 v24, s4, v15, s4
	s_delay_alu instid0(VALU_DEP_1)
	v_subrev_co_ci_u32_e64 v25, s4, s5, v25, s4
	s_barrier
	buffer_gl0_inv
	s_cbranch_vccnz .LBB106_53
; %bb.49:
	v_mad_u64_u32 v[1:2], null, 0xc0, s24, v[24:25]
	s_lshl_b64 s[4:5], s[24:25], 6
	v_mad_u32_u24 v10, v11, 33, v0
	v_add_nc_u32_e32 v9, 8, v11
	v_add_nc_u32_e32 v13, 16, v11
	s_delay_alu instid0(VALU_DEP_4) | instskip(SKIP_3) | instid1(VALU_DEP_3)
	v_mad_u64_u32 v[3:4], null, 0xc0, s25, v[2:3]
	v_add_co_u32 v4, vcc_lo, v24, s4
	v_add_co_ci_u32_e32 v5, vcc_lo, s5, v25, vcc_lo
	v_lshlrev_b32_e32 v33, 3, v10
	v_add_co_u32 v6, vcc_lo, v4, s4
	s_delay_alu instid0(VALU_DEP_3)
	v_add_co_ci_u32_e32 v7, vcc_lo, s5, v5, vcc_lo
	v_mov_b32_e32 v2, v3
	s_clause 0x3
	global_load_b64 v[14:15], v[24:25], off
	global_load_b64 v[3:4], v[4:5], off
	;; [unrolled: 1-line block ×4, first 2 shown]
	v_add_nc_u32_e32 v6, 0x108, v10
	v_add_nc_u32_e32 v1, 0x210, v10
	;; [unrolled: 1-line block ×4, first 2 shown]
	s_waitcnt vmcnt(3)
	ds_store_b64 v33, v[14:15]
	s_waitcnt vmcnt(2)
	ds_store_b64 v33, v[3:4] offset:2112
	s_waitcnt vmcnt(1)
	ds_store_b64 v33, v[7:8] offset:4224
	;; [unrolled: 2-line block ×3, first 2 shown]
	s_cbranch_execz .LBB106_54
	s_branch .LBB106_63
.LBB106_50:
	ds_load_b64 v[1:2], v10
	s_waitcnt lgkmcnt(0)
	ds_store_b64 v30, v[1:2]
	s_or_b32 exec_lo, exec_lo, s7
	s_and_saveexec_b32 s3, s4
	s_cbranch_execz .LBB106_43
.LBB106_51:
	ds_load_b64 v[1:2], v13
	s_waitcnt lgkmcnt(0)
	ds_store_b64 v30, v[1:2] offset:8
	s_or_b32 exec_lo, exec_lo, s3
	s_and_saveexec_b32 s3, s5
	s_cbranch_execz .LBB106_44
.LBB106_52:
	ds_load_b64 v[1:2], v13 offset:264
	s_waitcnt lgkmcnt(0)
	ds_store_b64 v30, v[1:2] offset:16
	s_or_b32 exec_lo, exec_lo, s3
	s_and_saveexec_b32 s3, s6
	s_cbranch_execnz .LBB106_45
	s_branch .LBB106_46
.LBB106_53:
                                        ; implicit-def: $vgpr10
                                        ; implicit-def: $vgpr9
                                        ; implicit-def: $vgpr6
                                        ; implicit-def: $vgpr13
                                        ; implicit-def: $vgpr1
                                        ; implicit-def: $vgpr5
                                        ; implicit-def: $vgpr2
.LBB106_54:
	v_dual_mov_b32 v5, 0 :: v_dual_lshlrev_b32 v14, 3, v0
	s_ashr_i32 s13, s12, 31
	v_or_b32_e32 v3, 32, v0
	s_lshl_b64 s[6:7], s[12:13], 3
	s_delay_alu instid0(VALU_DEP_2) | instskip(SKIP_2) | instid1(VALU_DEP_2)
	v_sub_co_u32 v1, vcc_lo, v24, v14
	v_subrev_co_ci_u32_e32 v2, vcc_lo, 0, v25, vcc_lo
	s_mov_b32 s5, exec_lo
	v_add_co_u32 v1, vcc_lo, v1, s6
	s_delay_alu instid0(VALU_DEP_2) | instskip(NEXT) | instid1(VALU_DEP_2)
	v_add_co_ci_u32_e32 v2, vcc_lo, s7, v2, vcc_lo
	v_add_co_u32 v1, vcc_lo, 0xfffffef8, v1
	s_delay_alu instid0(VALU_DEP_2) | instskip(SKIP_1) | instid1(VALU_DEP_3)
	v_add_co_ci_u32_e32 v2, vcc_lo, -1, v2, vcc_lo
	v_cmp_gt_i32_e32 vcc_lo, s12, v3
	v_dual_mov_b32 v6, 0 :: v_dual_cndmask_b32 v1, v1, v24
	s_delay_alu instid0(VALU_DEP_3) | instskip(NEXT) | instid1(VALU_DEP_2)
	v_dual_cndmask_b32 v2, v2, v25 :: v_dual_mov_b32 v3, v5
	v_mov_b32_e32 v4, v6
	v_cmpx_gt_i32_e64 s12, v11
	s_cbranch_execz .LBB106_56
; %bb.55:
	global_load_b64 v[3:4], v[1:2], off
.LBB106_56:
	s_or_b32 exec_lo, exec_lo, s5
	v_mad_u32_u24 v10, v11, 33, v0
	v_add_nc_u32_e32 v9, 8, v11
	s_mov_b32 s5, exec_lo
	s_delay_alu instid0(VALU_DEP_2)
	v_lshlrev_b32_e32 v0, 3, v10
	s_waitcnt vmcnt(0)
	ds_store_b64 v0, v[3:4]
	v_cmpx_gt_i32_e64 s12, v9
	s_cbranch_execz .LBB106_58
; %bb.57:
	s_lshl_b64 s[20:21], s[24:25], 6
	s_delay_alu instid0(SALU_CYCLE_1) | instskip(NEXT) | instid1(VALU_DEP_1)
	v_add_co_u32 v3, s4, v1, s20
	v_add_co_ci_u32_e64 v4, s4, s21, v2, s4
	global_load_b64 v[5:6], v[3:4], off
.LBB106_58:
	s_or_b32 exec_lo, exec_lo, s5
	v_mov_b32_e32 v3, 0
	v_dual_mov_b32 v4, 0 :: v_dual_add_nc_u32 v13, 16, v11
	s_mov_b32 s5, exec_lo
	s_waitcnt vmcnt(0)
	ds_store_b64 v0, v[5:6] offset:2112
	v_dual_mov_b32 v8, v4 :: v_dual_mov_b32 v7, v3
	v_cmpx_gt_i32_e64 s12, v13
	s_cbranch_execz .LBB106_60
; %bb.59:
	s_lshl_b64 s[20:21], s[24:25], 7
	s_delay_alu instid0(SALU_CYCLE_1) | instskip(NEXT) | instid1(VALU_DEP_1)
	v_add_co_u32 v5, s4, v1, s20
	v_add_co_ci_u32_e64 v6, s4, s21, v2, s4
	global_load_b64 v[7:8], v[5:6], off
.LBB106_60:
	s_or_b32 exec_lo, exec_lo, s5
	v_add_nc_u32_e32 v5, 24, v11
	s_mov_b32 s5, exec_lo
	s_waitcnt vmcnt(0)
	ds_store_b64 v0, v[7:8] offset:4224
	v_cmpx_gt_i32_e64 s12, v5
	s_cbranch_execz .LBB106_62
; %bb.61:
	v_mad_u64_u32 v[3:4], null, 0xc0, s24, v[1:2]
	s_delay_alu instid0(VALU_DEP_1) | instskip(NEXT) | instid1(VALU_DEP_1)
	v_mad_u64_u32 v[6:7], null, 0xc0, s25, v[4:5]
	v_mov_b32_e32 v4, v6
	global_load_b64 v[3:4], v[3:4], off
.LBB106_62:
	s_or_b32 exec_lo, exec_lo, s5
	v_add_co_u32 v1, s4, v1, v14
	s_delay_alu instid0(VALU_DEP_1) | instskip(SKIP_3) | instid1(VALU_DEP_1)
	v_add_co_ci_u32_e64 v2, s4, 0, v2, s4
	s_waitcnt vmcnt(0)
	ds_store_b64 v0, v[3:4] offset:6336
	v_sub_co_u32 v1, s4, v1, s6
	v_subrev_co_ci_u32_e64 v2, s4, s7, v2, s4
	s_delay_alu instid0(VALU_DEP_2) | instskip(NEXT) | instid1(VALU_DEP_1)
	v_add_co_u32 v7, s4, 0x108, v1
	v_add_co_ci_u32_e64 v8, s4, 0, v2, s4
	v_add_nc_u32_e32 v6, 0x108, v10
	s_delay_alu instid0(VALU_DEP_3) | instskip(NEXT) | instid1(VALU_DEP_3)
	v_dual_cndmask_b32 v24, v7, v24 :: v_dual_add_nc_u32 v1, 0x210, v10
	v_dual_cndmask_b32 v25, v8, v25 :: v_dual_add_nc_u32 v2, 0x318, v10
.LBB106_63:
	v_lshlrev_b32_e32 v0, 3, v10
	v_lshlrev_b32_e32 v7, 3, v11
	s_waitcnt lgkmcnt(0)
	s_barrier
	buffer_gl0_inv
	ds_load_b64 v[3:4], v0
	ds_load_b64 v[7:8], v7 offset:9088
	v_lshlrev_b32_e32 v0, 3, v6
	v_lshlrev_b32_e32 v6, 3, v9
	;; [unrolled: 1-line block ×4, first 2 shown]
	ds_load_b64 v[9:10], v0
	ds_load_b64 v[14:15], v6 offset:9088
	v_lshlrev_b32_e32 v0, 3, v1
	v_lshlrev_b32_e32 v6, 3, v13
	s_waitcnt lgkmcnt(2)
	v_fma_f64 v[3:4], v[3:4], v[7:8], 0
	ds_load_b64 v[0:1], v0
	ds_load_b64 v[6:7], v6 offset:9088
	s_waitcnt lgkmcnt(2)
	v_fma_f64 v[3:4], v[9:10], v[14:15], v[3:4]
	ds_load_b64 v[8:9], v2
	ds_load_b64 v[10:11], v5 offset:9088
	s_waitcnt lgkmcnt(2)
	v_fma_f64 v[0:1], v[0:1], v[6:7], v[3:4]
	s_waitcnt lgkmcnt(0)
	s_delay_alu instid0(VALU_DEP_1)
	v_fma_f64 v[31:32], v[8:9], v[10:11], v[0:1]
	ds_load_b128 v[8:11], v12 offset:256
	ds_load_b128 v[0:3], v12 offset:272
	ds_load_2addr_b64 v[12:15], v30 offset1:1
	ds_load_2addr_b64 v[4:7], v30 offset0:2 offset1:3
	s_waitcnt lgkmcnt(0)
	s_barrier
	buffer_gl0_inv
	ds_store_b64 v29, v[31:32]
	s_waitcnt lgkmcnt(0)
	s_barrier
	buffer_gl0_inv
	s_and_saveexec_b32 s4, s3
	s_cbranch_execz .LBB106_65
; %bb.64:
	v_lshlrev_b32_e32 v38, 3, v28
	ds_load_2addr_b64 v[30:33], v38 offset1:1
	ds_load_2addr_b64 v[34:37], v38 offset0:2 offset1:3
	s_waitcnt lgkmcnt(1)
	v_add_f64 v[18:19], v[18:19], v[30:31]
	s_delay_alu instid0(VALU_DEP_1) | instskip(SKIP_1) | instid1(VALU_DEP_1)
	v_add_f64 v[18:19], v[18:19], v[32:33]
	s_waitcnt lgkmcnt(0)
	v_add_f64 v[18:19], v[18:19], v[34:35]
	s_delay_alu instid0(VALU_DEP_1) | instskip(SKIP_4) | instid1(VALU_DEP_1)
	v_add_f64 v[18:19], v[18:19], v[36:37]
	ds_load_2addr_b64 v[30:33], v38 offset0:4 offset1:5
	ds_load_2addr_b64 v[34:37], v38 offset0:6 offset1:7
	s_waitcnt lgkmcnt(1)
	v_add_f64 v[18:19], v[18:19], v[30:31]
	v_add_f64 v[18:19], v[18:19], v[32:33]
	s_waitcnt lgkmcnt(0)
	s_delay_alu instid0(VALU_DEP_1) | instskip(NEXT) | instid1(VALU_DEP_1)
	v_add_f64 v[18:19], v[18:19], v[34:35]
	v_add_f64 v[18:19], v[18:19], v[36:37]
.LBB106_65:
	s_or_b32 exec_lo, exec_lo, s4
	v_fma_f64 v[8:9], v[12:13], v[8:9], 0
	s_barrier
	buffer_gl0_inv
	v_fma_f64 v[8:9], v[14:15], v[10:11], v[8:9]
	s_delay_alu instid0(VALU_DEP_1) | instskip(NEXT) | instid1(VALU_DEP_1)
	v_fma_f64 v[0:1], v[4:5], v[0:1], v[8:9]
	v_fma_f64 v[0:1], v[6:7], v[2:3], v[0:1]
	ds_store_b64 v29, v[0:1]
	s_waitcnt lgkmcnt(0)
	s_barrier
	buffer_gl0_inv
	s_and_saveexec_b32 s3, s2
	s_cbranch_execz .LBB106_67
; %bb.66:
	v_lshlrev_b32_e32 v10, 3, v28
	ds_load_2addr_b64 v[0:3], v10 offset1:1
	ds_load_2addr_b64 v[4:7], v10 offset0:2 offset1:3
	s_waitcnt lgkmcnt(1)
	v_add_f64 v[0:1], v[18:19], v[0:1]
	s_delay_alu instid0(VALU_DEP_1) | instskip(SKIP_1) | instid1(VALU_DEP_1)
	v_add_f64 v[0:1], v[0:1], v[2:3]
	s_waitcnt lgkmcnt(0)
	v_add_f64 v[0:1], v[0:1], v[4:5]
	s_delay_alu instid0(VALU_DEP_1) | instskip(SKIP_4) | instid1(VALU_DEP_1)
	v_add_f64 v[8:9], v[0:1], v[6:7]
	ds_load_2addr_b64 v[0:3], v10 offset0:4 offset1:5
	ds_load_2addr_b64 v[4:7], v10 offset0:6 offset1:7
	s_waitcnt lgkmcnt(1)
	v_add_f64 v[0:1], v[8:9], v[0:1]
	v_add_f64 v[0:1], v[0:1], v[2:3]
	s_waitcnt lgkmcnt(0)
	s_delay_alu instid0(VALU_DEP_1) | instskip(NEXT) | instid1(VALU_DEP_1)
	v_add_f64 v[0:1], v[0:1], v[4:5]
	v_add_f64 v[18:19], v[0:1], v[6:7]
.LBB106_67:
	s_or_b32 exec_lo, exec_lo, s3
	s_mul_hi_u32 s2, s33, s15
	s_mul_i32 s29, s29, s15
	s_mul_i32 s3, s33, s15
	s_add_i32 s2, s2, s29
	s_mul_hi_u32 s5, s3, s28
	s_mul_i32 s4, s2, s28
	s_mul_i32 s2, s3, s28
	s_add_i32 s3, s5, s4
	s_mul_i32 s4, s14, s33
	s_lshl_b64 s[2:3], s[2:3], 3
	v_cmp_le_i32_e32 vcc_lo, s12, v26
	s_add_u32 s6, s16, s2
	s_addc_u32 s7, s17, s3
	s_ashr_i32 s5, s4, 31
	v_lshlrev_b32_e32 v73, 3, v26
	s_lshl_b64 s[2:3], s[4:5], 3
	s_delay_alu instid0(SALU_CYCLE_1)
	s_add_u32 s15, s6, s2
	s_addc_u32 s16, s7, s3
	s_and_b32 vcc_lo, s22, vcc_lo
	s_cmp_lt_i32 s14, 1
	s_barrier
	buffer_gl0_inv
	s_cbranch_scc1 .LBB106_74
; %bb.68:
	v_lshlrev_b32_e32 v4, 2, v72
	s_mul_i32 s3, s10, s37
	s_mul_hi_u32 s5, s10, s36
	s_mul_i32 s11, s11, s36
	s_mul_i32 s4, s10, s36
	v_mad_u64_u32 v[0:1], null, v4, s24, 0
	s_ashr_i32 s13, s12, 31
	v_and_b32_e32 v7, 48, v26
	s_lshl_b64 s[6:7], s[12:13], 3
	s_mul_hi_u32 s12, s24, 24
	v_and_b32_e32 v5, 15, v26
	v_lshrrev_b32_e32 v6, 4, v27
	s_delay_alu instid0(VALU_DEP_4) | instskip(SKIP_1) | instid1(VALU_DEP_1)
	v_mad_u64_u32 v[2:3], null, v4, s25, v[1:2]
	v_sub_co_u32 v3, s2, v24, s18
	v_subrev_co_ci_u32_e64 v4, s2, s19, v25, s2
	s_add_i32 s2, s5, s3
	s_mul_i32 s3, s25, 24
	s_delay_alu instid0(VALU_DEP_3) | instskip(SKIP_2) | instid1(VALU_DEP_1)
	v_mov_b32_e32 v1, v2
	s_add_i32 s5, s2, s11
	v_sub_co_u32 v2, s2, v3, v22
	v_sub_co_ci_u32_e64 v3, s2, v4, v23, s2
	s_delay_alu instid0(VALU_DEP_3)
	v_lshlrev_b64 v[0:1], 3, v[0:1]
	s_lshl_b64 s[4:5], s[4:5], 3
	s_add_i32 s17, s12, s3
	s_mul_i32 s3, s25, 0x90
	s_mul_hi_u32 s12, s24, 0x90
	v_lshlrev_b32_e32 v8, 5, v6
	v_add_co_u32 v0, s2, v2, v0
	s_delay_alu instid0(VALU_DEP_1) | instskip(SKIP_1) | instid1(VALU_DEP_1)
	v_add_co_ci_u32_e64 v1, s2, v3, v1, s2
	v_sub_co_u32 v74, s2, v20, s4
	v_subrev_co_ci_u32_e64 v75, s2, s5, v21, s2
	s_delay_alu instid0(VALU_DEP_4) | instskip(NEXT) | instid1(VALU_DEP_1)
	v_add_co_u32 v2, s2, v0, s6
	v_add_co_ci_u32_e64 v3, s2, s7, v1, s2
	v_add_co_u32 v0, s2, v0, v73
	s_delay_alu instid0(VALU_DEP_1) | instskip(NEXT) | instid1(VALU_DEP_4)
	v_add_co_ci_u32_e64 v1, s2, 0, v1, s2
	v_add_co_u32 v2, s2, 0xfffffef8, v2
	s_delay_alu instid0(VALU_DEP_1) | instskip(NEXT) | instid1(VALU_DEP_4)
	v_add_co_ci_u32_e64 v3, s2, -1, v3, s2
	v_add_co_u32 v0, s2, 0xffffff00, v0
	s_add_i32 s19, s12, s3
	s_mul_i32 s3, s25, 0x98
	s_mul_hi_u32 s12, s24, 0x98
	v_add_co_ci_u32_e64 v4, s2, -1, v1, s2
	s_add_i32 s21, s12, s3
	s_mul_i32 s3, s25, 0x110
	s_mul_hi_u32 s12, s24, 0x110
	v_dual_mov_b32 v1, 0 :: v_dual_cndmask_b32 v2, v0, v2
	s_add_i32 s23, s12, s3
	s_mul_i32 s3, s25, 0x118
	s_mul_hi_u32 s12, s24, 0x118
	v_lshlrev_b32_e32 v0, 3, v7
	s_add_i32 s27, s12, s3
	s_mul_i32 s3, s25, 0x190
	s_mul_hi_u32 s12, s24, 0x190
	v_dual_cndmask_b32 v3, v4, v3 :: v_dual_add_nc_u32 v76, 0x2180, v73
	s_add_i32 s29, s12, s3
	s_mul_i32 s3, s25, 0x198
	s_mul_hi_u32 s12, s24, 0x198
	v_or_b32_e32 v4, 0x78, v73
	v_mad_u32_u24 v78, 0x218, v5, v0
	v_lshlrev_b32_e32 v0, 3, v6
	s_add_i32 s31, s12, s3
	s_mul_i32 s3, s25, 0x188
	s_mul_hi_u32 s12, s24, 0x188
	v_add_nc_u32_e32 v77, 0x2380, v73
	s_add_i32 s34, s12, s3
	s_mul_i32 s3, s25, 0x180
	s_mul_hi_u32 s12, s24, 0x180
	v_cmp_gt_u32_e64 s2, 64, v27
	s_add_i32 s38, s12, s3
	s_mul_i32 s3, s25, 0x108
	s_mul_hi_u32 s12, s24, 0x108
	v_mad_u32_u24 v79, 0x218, v5, v4
	v_mad_u32_u24 v80, 0x218, v5, v8
	v_lshl_add_u32 v81, v72, 5, 0x2180
	v_mad_u32_u24 v82, 0x860, v72, v73
	v_mad_u32_u24 v83, 0x218, v5, v0
	v_or_b32_e32 v84, v7, v5
	s_add_i32 s40, s12, s3
	s_mul_i32 s3, s25, 0x88
	s_mul_hi_u32 s12, s24, 0x88
	s_lshl_b64 s[4:5], s[24:25], 3
	s_lshl_b64 s[6:7], s[24:25], 9
	s_lshl_b64 s[10:11], s[24:25], 4
	s_mul_i32 s18, s24, 24
	s_mul_i32 s20, s24, 0x90
	;; [unrolled: 1-line block ×10, first 2 shown]
	s_add_i32 s42, s12, s3
	s_mul_i32 s43, s24, 0x88
	s_lshl_b64 s[12:13], s[24:25], 7
	s_mov_b32 s24, 0
	s_branch .LBB106_70
.LBB106_69:                             ;   in Loop: Header=BB106_70 Depth=1
	s_or_b32 exec_lo, exec_lo, s25
	v_fma_f64 v[4:5], v[4:5], v[12:13], v[18:19]
	v_add_co_u32 v2, s3, v2, s6
	s_delay_alu instid0(VALU_DEP_1)
	v_add_co_ci_u32_e64 v3, s3, s7, v3, s3
	s_add_i32 s14, s14, -1
	s_add_i32 s24, s24, 64
	s_cmp_eq_u32 s14, 0
	s_waitcnt_vscnt null, 0x0
	s_barrier
	buffer_gl0_inv
	v_fma_f64 v[4:5], v[6:7], v[14:15], v[4:5]
	s_delay_alu instid0(VALU_DEP_1) | instskip(NEXT) | instid1(VALU_DEP_1)
	v_fma_f64 v[4:5], v[8:9], v[20:21], v[4:5]
	v_fma_f64 v[4:5], v[10:11], v[22:23], v[4:5]
	s_delay_alu instid0(VALU_DEP_1) | instskip(NEXT) | instid1(VALU_DEP_1)
	v_fma_f64 v[4:5], v[24:25], v[32:33], v[4:5]
	;; [unrolled: 3-line block ×7, first 2 shown]
	v_fma_f64 v[18:19], v[62:63], v[70:71], v[4:5]
	s_cbranch_scc1 .LBB106_74
.LBB106_70:                             ; =>This Inner Loop Header: Depth=1
	s_and_saveexec_b32 s25, s1
	s_cbranch_execz .LBB106_72
; %bb.71:                               ;   in Loop: Header=BB106_70 Depth=1
	s_mul_i32 s3, s24, s37
	s_mul_hi_u32 s45, s24, s36
	s_mul_i32 s44, s24, s36
	s_add_i32 s45, s45, s3
	s_delay_alu instid0(SALU_CYCLE_1) | instskip(NEXT) | instid1(SALU_CYCLE_1)
	s_lshl_b64 s[44:45], s[44:45], 3
	v_add_co_u32 v4, s3, v74, s44
	s_delay_alu instid0(VALU_DEP_1)
	v_add_co_ci_u32_e64 v5, s3, s45, v75, s3
	global_load_b64 v[4:5], v[4:5], off
	s_waitcnt vmcnt(0)
	ds_store_b64 v76, v[4:5]
.LBB106_72:                             ;   in Loop: Header=BB106_70 Depth=1
	s_or_b32 exec_lo, exec_lo, s25
	v_add_co_u32 v6, s3, v2, s4
	s_delay_alu instid0(VALU_DEP_1) | instskip(SKIP_1) | instid1(VALU_DEP_1)
	v_add_co_ci_u32_e64 v7, s3, s5, v3, s3
	v_add_co_u32 v8, s3, v2, s10
	v_add_co_ci_u32_e64 v9, s3, s11, v3, s3
	v_add_co_u32 v10, s3, v2, s18
	s_waitcnt lgkmcnt(0)
	s_barrier
	buffer_gl0_inv
	global_load_b64 v[4:5], v[2:3], off
	v_add_co_ci_u32_e64 v11, s3, s17, v3, s3
	s_clause 0x2
	global_load_b64 v[6:7], v[6:7], off
	global_load_b64 v[8:9], v[8:9], off
	;; [unrolled: 1-line block ×3, first 2 shown]
	ds_load_b64 v[14:15], v77
	ds_load_b64 v[12:13], v81
	v_add_co_u32 v28, s3, v2, s12
	s_delay_alu instid0(VALU_DEP_1) | instskip(SKIP_1) | instid1(VALU_DEP_1)
	v_add_co_ci_u32_e64 v29, s3, s13, v3, s3
	v_add_co_u32 v30, s3, v2, s43
	v_add_co_ci_u32_e64 v31, s3, s42, v3, s3
	v_add_co_u32 v32, s3, v2, s20
	s_delay_alu instid0(VALU_DEP_1) | instskip(SKIP_1) | instid1(VALU_DEP_1)
	v_add_co_ci_u32_e64 v33, s3, s19, v3, s3
	v_add_co_u32 v34, s3, v2, s22
	v_add_co_ci_u32_e64 v35, s3, s21, v3, s3
	;; [unrolled: 5-line block ×6, first 2 shown]
	s_waitcnt vmcnt(3) lgkmcnt(1)
	v_mul_f64 v[20:21], v[4:5], v[14:15]
	s_waitcnt vmcnt(2)
	v_mul_f64 v[22:23], v[6:7], v[14:15]
	s_waitcnt vmcnt(1)
	;; [unrolled: 2-line block ×3, first 2 shown]
	v_mul_f64 v[26:27], v[10:11], v[14:15]
	ds_store_b64 v82, v[20:21]
	ds_load_b64 v[14:15], v81 offset:8
	ds_store_b64 v82, v[22:23] offset:536
	ds_load_b64 v[20:21], v81 offset:16
	ds_store_b64 v82, v[24:25] offset:1072
	ds_load_b64 v[22:23], v81 offset:24
	ds_store_b64 v82, v[26:27] offset:1608
	s_waitcnt lgkmcnt(0)
	s_barrier
	buffer_gl0_inv
	ds_load_2addr_b64 v[85:88], v80 offset1:1
	ds_load_2addr_b64 v[89:92], v80 offset0:2 offset1:3
	s_waitcnt lgkmcnt(0)
	s_barrier
	buffer_gl0_inv
	s_clause 0x3
	global_load_b64 v[24:25], v[28:29], off
	global_load_b64 v[26:27], v[30:31], off
	global_load_b64 v[28:29], v[32:33], off
	global_load_b64 v[30:31], v[34:35], off
	ds_load_b64 v[34:35], v77
	ds_load_b64 v[32:33], v81 offset:128
	v_add_f64 v[85:86], v[85:86], 0
	s_delay_alu instid0(VALU_DEP_1) | instskip(NEXT) | instid1(VALU_DEP_1)
	v_add_f64 v[85:86], v[85:86], v[87:88]
	v_add_f64 v[85:86], v[85:86], v[89:90]
	s_delay_alu instid0(VALU_DEP_1)
	v_add_f64 v[85:86], v[85:86], v[91:92]
	s_waitcnt vmcnt(2) lgkmcnt(1)
	v_mul_f64 v[38:39], v[26:27], v[34:35]
	v_mul_f64 v[36:37], v[24:25], v[34:35]
	s_waitcnt vmcnt(1)
	v_mul_f64 v[40:41], v[28:29], v[34:35]
	s_waitcnt vmcnt(0)
	v_mul_f64 v[42:43], v[30:31], v[34:35]
	ds_store_b64 v82, v[36:37]
	ds_load_b64 v[34:35], v81 offset:136
	ds_store_b64 v82, v[38:39] offset:536
	ds_load_b64 v[36:37], v81 offset:144
	ds_store_b64 v82, v[40:41] offset:1072
	ds_load_b64 v[38:39], v81 offset:152
	ds_store_b64 v82, v[42:43] offset:1608
	s_waitcnt lgkmcnt(0)
	s_barrier
	buffer_gl0_inv
	ds_load_2addr_b64 v[93:96], v80 offset1:1
	ds_load_2addr_b64 v[97:100], v80 offset0:2 offset1:3
	s_waitcnt lgkmcnt(0)
	s_barrier
	buffer_gl0_inv
	s_clause 0x3
	global_load_b64 v[40:41], v[44:45], off
	global_load_b64 v[42:43], v[46:47], off
	global_load_b64 v[44:45], v[48:49], off
	global_load_b64 v[46:47], v[50:51], off
	ds_load_b64 v[50:51], v77
	ds_load_b64 v[48:49], v81 offset:256
	v_add_f64 v[93:94], v[93:94], 0
	s_delay_alu instid0(VALU_DEP_1) | instskip(NEXT) | instid1(VALU_DEP_1)
	v_add_f64 v[87:88], v[93:94], v[95:96]
	v_add_f64 v[87:88], v[87:88], v[97:98]
	s_delay_alu instid0(VALU_DEP_1)
	v_add_f64 v[87:88], v[87:88], v[99:100]
	s_waitcnt vmcnt(2) lgkmcnt(1)
	v_mul_f64 v[54:55], v[42:43], v[50:51]
	v_mul_f64 v[52:53], v[40:41], v[50:51]
	s_waitcnt vmcnt(1)
	v_mul_f64 v[56:57], v[44:45], v[50:51]
	s_waitcnt vmcnt(0)
	;; [unrolled: 35-line block ×3, first 2 shown]
	v_mul_f64 v[111:112], v[62:63], v[66:67]
	ds_store_b64 v82, v[68:69]
	ds_load_b64 v[66:67], v81 offset:392
	ds_store_b64 v82, v[70:71] offset:536
	ds_load_b64 v[68:69], v81 offset:400
	ds_store_b64 v82, v[109:110] offset:1072
	;; [unrolled: 2-line block ×3, first 2 shown]
	s_waitcnt lgkmcnt(0)
	s_barrier
	buffer_gl0_inv
	ds_load_2addr_b64 v[109:112], v80 offset1:1
	ds_load_2addr_b64 v[113:116], v80 offset0:2 offset1:3
	s_waitcnt lgkmcnt(0)
	s_barrier
	buffer_gl0_inv
	v_add_f64 v[109:110], v[109:110], 0
	s_delay_alu instid0(VALU_DEP_1) | instskip(NEXT) | instid1(VALU_DEP_1)
	v_add_f64 v[95:96], v[109:110], v[111:112]
	v_add_f64 v[93:94], v[95:96], v[113:114]
	s_delay_alu instid0(VALU_DEP_1)
	v_add_f64 v[91:92], v[93:94], v[115:116]
	ds_store_2addr_b64 v83, v[85:86], v[87:88] offset1:16
	ds_store_2addr_b64 v83, v[89:90], v[91:92] offset0:32 offset1:48
	s_waitcnt lgkmcnt(0)
	s_barrier
	buffer_gl0_inv
	s_and_saveexec_b32 s25, s2
	s_cbranch_execz .LBB106_69
; %bb.73:                               ;   in Loop: Header=BB106_70 Depth=1
	ds_load_2addr_b64 v[85:88], v78 offset1:1
	ds_load_2addr_b64 v[89:92], v78 offset0:2 offset1:3
	v_add_nc_u32_e32 v0, s24, v84
	s_waitcnt lgkmcnt(1)
	v_add_f64 v[85:86], v[85:86], v[87:88]
	s_waitcnt lgkmcnt(0)
	s_delay_alu instid0(VALU_DEP_1) | instskip(NEXT) | instid1(VALU_DEP_1)
	v_add_f64 v[85:86], v[85:86], v[89:90]
	v_add_f64 v[93:94], v[85:86], v[91:92]
	ds_load_2addr_b64 v[85:88], v78 offset0:4 offset1:5
	ds_load_2addr_b64 v[89:92], v78 offset0:6 offset1:7
	s_waitcnt lgkmcnt(1)
	v_add_f64 v[85:86], v[93:94], v[85:86]
	s_delay_alu instid0(VALU_DEP_1) | instskip(SKIP_1) | instid1(VALU_DEP_1)
	v_add_f64 v[85:86], v[85:86], v[87:88]
	s_waitcnt lgkmcnt(0)
	v_add_f64 v[85:86], v[85:86], v[89:90]
	s_delay_alu instid0(VALU_DEP_1) | instskip(SKIP_4) | instid1(VALU_DEP_1)
	v_add_f64 v[93:94], v[85:86], v[91:92]
	ds_load_2addr_b64 v[85:88], v78 offset0:8 offset1:9
	ds_load_2addr_b64 v[89:92], v78 offset0:10 offset1:11
	s_waitcnt lgkmcnt(1)
	v_add_f64 v[85:86], v[93:94], v[85:86]
	v_add_f64 v[85:86], v[85:86], v[87:88]
	s_waitcnt lgkmcnt(0)
	s_delay_alu instid0(VALU_DEP_1) | instskip(NEXT) | instid1(VALU_DEP_1)
	v_add_f64 v[85:86], v[85:86], v[89:90]
	v_add_f64 v[89:90], v[85:86], v[91:92]
	ds_load_2addr_b64 v[85:88], v78 offset0:12 offset1:13
	ds_load_b64 v[91:92], v78 offset:112
	s_waitcnt lgkmcnt(1)
	v_add_f64 v[85:86], v[89:90], v[85:86]
	s_delay_alu instid0(VALU_DEP_1) | instskip(SKIP_4) | instid1(VALU_DEP_1)
	v_add_f64 v[85:86], v[85:86], v[87:88]
	ds_load_b64 v[87:88], v79
	s_waitcnt lgkmcnt(1)
	v_add_f64 v[85:86], v[85:86], v[91:92]
	s_waitcnt lgkmcnt(0)
	v_add_f64 v[85:86], v[85:86], v[87:88]
	v_lshlrev_b64 v[87:88], 3, v[0:1]
	s_delay_alu instid0(VALU_DEP_1) | instskip(NEXT) | instid1(VALU_DEP_1)
	v_add_co_u32 v87, s3, s15, v87
	v_add_co_ci_u32_e64 v88, s3, s16, v88, s3
	global_store_b64 v[87:88], v[85:86], off
	s_branch .LBB106_69
.LBB106_74:
	v_mad_u32_u24 v0, 0x218, v72, v73
	s_or_b32 s0, s0, vcc_lo
	s_delay_alu instid0(SALU_CYCLE_1)
	s_xor_b32 s0, s0, -1
	ds_store_b64 v0, v[18:19]
	s_waitcnt lgkmcnt(0)
	s_barrier
	buffer_gl0_inv
	s_and_saveexec_b32 s1, s0
	s_cbranch_execz .LBB106_76
; %bb.75:
	ds_load_2addr_b64 v[0:3], v73 offset1:67
	s_waitcnt lgkmcnt(0)
	v_add_f64 v[4:5], v[0:1], v[2:3]
	ds_load_2addr_b64 v[0:3], v73 offset0:134 offset1:201
	s_waitcnt lgkmcnt(0)
	v_add_f64 v[0:1], v[4:5], v[0:1]
	s_delay_alu instid0(VALU_DEP_1) | instskip(SKIP_1) | instid1(VALU_DEP_1)
	v_add_f64 v[0:1], v[0:1], v[2:3]
	v_lshlrev_b64 v[2:3], 3, v[16:17]
	v_add_co_u32 v2, vcc_lo, s15, v2
	s_delay_alu instid0(VALU_DEP_2)
	v_add_co_ci_u32_e32 v3, vcc_lo, s16, v3, vcc_lo
	global_store_b64 v[2:3], v[0:1], off
.LBB106_76:
	s_nop 0
	s_sendmsg sendmsg(MSG_DEALLOC_VGPRS)
	s_endpgm
	.section	.rodata,"a",@progbits
	.p2align	6, 0x0
	.amdhsa_kernel _ZL26rocblas_hemvn_kernel_lowerILb0ELi64ELi4ELi33ELi32ELi16ElPKdS1_PdEviT6_lT7_lT5_lS4_lS5_lS3_lT8_i
		.amdhsa_group_segment_fixed_size 9600
		.amdhsa_private_segment_fixed_size 0
		.amdhsa_kernarg_size 376
		.amdhsa_user_sgpr_count 14
		.amdhsa_user_sgpr_dispatch_ptr 0
		.amdhsa_user_sgpr_queue_ptr 0
		.amdhsa_user_sgpr_kernarg_segment_ptr 1
		.amdhsa_user_sgpr_dispatch_id 0
		.amdhsa_user_sgpr_private_segment_size 0
		.amdhsa_wavefront_size32 1
		.amdhsa_uses_dynamic_stack 0
		.amdhsa_enable_private_segment 0
		.amdhsa_system_sgpr_workgroup_id_x 1
		.amdhsa_system_sgpr_workgroup_id_y 0
		.amdhsa_system_sgpr_workgroup_id_z 1
		.amdhsa_system_sgpr_workgroup_info 0
		.amdhsa_system_vgpr_workitem_id 1
		.amdhsa_next_free_vgpr 117
		.amdhsa_next_free_sgpr 46
		.amdhsa_reserve_vcc 1
		.amdhsa_float_round_mode_32 0
		.amdhsa_float_round_mode_16_64 0
		.amdhsa_float_denorm_mode_32 3
		.amdhsa_float_denorm_mode_16_64 3
		.amdhsa_dx10_clamp 1
		.amdhsa_ieee_mode 1
		.amdhsa_fp16_overflow 0
		.amdhsa_workgroup_processor_mode 1
		.amdhsa_memory_ordered 1
		.amdhsa_forward_progress 0
		.amdhsa_shared_vgpr_count 0
		.amdhsa_exception_fp_ieee_invalid_op 0
		.amdhsa_exception_fp_denorm_src 0
		.amdhsa_exception_fp_ieee_div_zero 0
		.amdhsa_exception_fp_ieee_overflow 0
		.amdhsa_exception_fp_ieee_underflow 0
		.amdhsa_exception_fp_ieee_inexact 0
		.amdhsa_exception_int_div_zero 0
	.end_amdhsa_kernel
	.section	.text._ZL26rocblas_hemvn_kernel_lowerILb0ELi64ELi4ELi33ELi32ELi16ElPKdS1_PdEviT6_lT7_lT5_lS4_lS5_lS3_lT8_i,"axG",@progbits,_ZL26rocblas_hemvn_kernel_lowerILb0ELi64ELi4ELi33ELi32ELi16ElPKdS1_PdEviT6_lT7_lT5_lS4_lS5_lS3_lT8_i,comdat
.Lfunc_end106:
	.size	_ZL26rocblas_hemvn_kernel_lowerILb0ELi64ELi4ELi33ELi32ELi16ElPKdS1_PdEviT6_lT7_lT5_lS4_lS5_lS3_lT8_i, .Lfunc_end106-_ZL26rocblas_hemvn_kernel_lowerILb0ELi64ELi4ELi33ELi32ELi16ElPKdS1_PdEviT6_lT7_lT5_lS4_lS5_lS3_lT8_i
                                        ; -- End function
	.section	.AMDGPU.csdata,"",@progbits
; Kernel info:
; codeLenInByte = 7232
; NumSgprs: 48
; NumVgprs: 117
; ScratchSize: 0
; MemoryBound: 0
; FloatMode: 240
; IeeeMode: 1
; LDSByteSize: 9600 bytes/workgroup (compile time only)
; SGPRBlocks: 5
; VGPRBlocks: 14
; NumSGPRsForWavesPerEU: 48
; NumVGPRsForWavesPerEU: 117
; Occupancy: 12
; WaveLimiterHint : 0
; COMPUTE_PGM_RSRC2:SCRATCH_EN: 0
; COMPUTE_PGM_RSRC2:USER_SGPR: 14
; COMPUTE_PGM_RSRC2:TRAP_HANDLER: 0
; COMPUTE_PGM_RSRC2:TGID_X_EN: 1
; COMPUTE_PGM_RSRC2:TGID_Y_EN: 0
; COMPUTE_PGM_RSRC2:TGID_Z_EN: 1
; COMPUTE_PGM_RSRC2:TIDIG_COMP_CNT: 1
	.section	.text._ZL36rocblas_hemvn_kernel_lower_block_sumILi64ElPKdPddEviT1_lS3_lT2_lT0_lPT3_i,"axG",@progbits,_ZL36rocblas_hemvn_kernel_lower_block_sumILi64ElPKdPddEviT1_lS3_lT2_lT0_lPT3_i,comdat
	.globl	_ZL36rocblas_hemvn_kernel_lower_block_sumILi64ElPKdPddEviT1_lS3_lT2_lT0_lPT3_i ; -- Begin function _ZL36rocblas_hemvn_kernel_lower_block_sumILi64ElPKdPddEviT1_lS3_lT2_lT0_lPT3_i
	.p2align	8
	.type	_ZL36rocblas_hemvn_kernel_lower_block_sumILi64ElPKdPddEviT1_lS3_lT2_lT0_lPT3_i,@function
_ZL36rocblas_hemvn_kernel_lower_block_sumILi64ElPKdPddEviT1_lS3_lT2_lT0_lPT3_i: ; @_ZL36rocblas_hemvn_kernel_lower_block_sumILi64ElPKdPddEviT1_lS3_lT2_lT0_lPT3_i
; %bb.0:
	s_load_b256 s[4:11], s[0:1], 0x8
	s_waitcnt lgkmcnt(0)
	s_mul_i32 s3, s15, s7
	s_mul_hi_u32 s7, s15, s6
	s_mul_i32 s2, s15, s6
	s_add_i32 s3, s7, s3
	s_mul_i32 s6, s15, s11
	s_lshl_b64 s[2:3], s[2:3], 3
	s_mul_hi_u32 s7, s15, s10
	s_add_u32 s2, s4, s2
	s_addc_u32 s3, s5, s3
	s_add_i32 s5, s7, s6
	s_mul_i32 s4, s15, s10
	s_delay_alu instid0(SALU_CYCLE_1) | instskip(NEXT) | instid1(SALU_CYCLE_1)
	s_lshl_b64 s[4:5], s[4:5], 3
	s_add_u32 s4, s8, s4
	s_addc_u32 s5, s9, s5
	s_load_b64 s[8:9], s[2:3], 0x0
	s_load_b64 s[10:11], s[4:5], 0x0
	s_waitcnt lgkmcnt(0)
	v_cmp_eq_f64_e64 s2, s[8:9], 0
	v_cmp_eq_f64_e64 s3, s[10:11], 1.0
	s_delay_alu instid0(VALU_DEP_1) | instskip(NEXT) | instid1(SALU_CYCLE_1)
	s_and_b32 s2, s2, s3
	s_and_b32 vcc_lo, exec_lo, s2
	s_cbranch_vccnz .LBB107_19
; %bb.1:
	v_cmp_neq_f64_e64 s13, s[8:9], 0
	s_clause 0x3
	s_load_b64 s[2:3], s[0:1], 0x40
	s_load_b64 s[16:17], s[0:1], 0x28
	s_load_b128 s[4:7], s[0:1], 0x30
	s_load_b32 s12, s[0:1], 0x0
	v_lshl_or_b32 v0, s14, 6, v0
	s_waitcnt lgkmcnt(0)
	s_mul_i32 s3, s15, s3
	s_mul_hi_u32 s18, s15, s2
	s_mul_i32 s2, s15, s2
	s_add_i32 s3, s18, s3
	s_delay_alu instid0(SALU_CYCLE_1) | instskip(NEXT) | instid1(SALU_CYCLE_1)
	s_lshl_b64 s[2:3], s[2:3], 3
	s_add_u32 s2, s16, s2
	s_addc_u32 s16, s17, s3
	s_lshl_b64 s[4:5], s[4:5], 3
	s_delay_alu instid0(SALU_CYCLE_1) | instskip(SKIP_3) | instid1(VALU_DEP_3)
	s_add_u32 s3, s2, s4
	v_cmp_gt_i32_e64 s2, s12, v0
	s_addc_u32 s4, s16, s5
	s_mov_b32 s5, 0
	s_and_b32 vcc_lo, exec_lo, s13
	s_cbranch_vccnz .LBB107_6
; %bb.2:
	s_mov_b32 s13, 0
                                        ; implicit-def: $vgpr3_vgpr4
                                        ; implicit-def: $vgpr1_vgpr2
	s_and_saveexec_b32 s16, s2
	s_cbranch_execz .LBB107_7
; %bb.3:
	v_cmp_eq_f64_e64 s2, s[10:11], 0
	v_ashrrev_i32_e32 v1, 31, v0
	v_mul_lo_u32 v3, v0, s7
	s_delay_alu instid0(VALU_DEP_2) | instskip(SKIP_1) | instid1(VALU_DEP_1)
	v_mul_lo_u32 v4, v1, s6
	v_mad_u64_u32 v[1:2], null, v0, s6, 0
	v_add3_u32 v2, v2, v3, v4
	v_mov_b32_e32 v3, 0
	v_mov_b32_e32 v4, 0
	s_and_b32 vcc_lo, exec_lo, s2
	s_cbranch_vccnz .LBB107_5
; %bb.4:
	s_delay_alu instid0(VALU_DEP_4) | instskip(NEXT) | instid1(VALU_DEP_1)
	v_lshlrev_b64 v[3:4], 3, v[1:2]
	v_add_co_u32 v3, vcc_lo, s3, v3
	s_delay_alu instid0(VALU_DEP_2)
	v_add_co_ci_u32_e32 v4, vcc_lo, s4, v4, vcc_lo
	global_load_b64 v[3:4], v[3:4], off
	s_waitcnt vmcnt(0)
	v_mul_f64 v[3:4], s[10:11], v[3:4]
.LBB107_5:
	s_mov_b32 s5, exec_lo
	s_or_b32 exec_lo, exec_lo, s16
	s_delay_alu instid0(SALU_CYCLE_1)
	s_and_b32 vcc_lo, exec_lo, s13
	s_cbranch_vccnz .LBB107_8
	s_branch .LBB107_17
.LBB107_6:
                                        ; implicit-def: $vgpr3_vgpr4
                                        ; implicit-def: $vgpr1_vgpr2
	s_cbranch_execnz .LBB107_8
	s_branch .LBB107_17
.LBB107_7:
	s_or_b32 exec_lo, exec_lo, s16
	s_delay_alu instid0(SALU_CYCLE_1)
	s_and_b32 vcc_lo, exec_lo, s13
	s_cbranch_vccz .LBB107_17
.LBB107_8:
	s_mov_b32 s2, exec_lo
                                        ; implicit-def: $vgpr3_vgpr4
                                        ; implicit-def: $vgpr1_vgpr2
	v_cmpx_gt_i32_e64 s12, v0
	s_cbranch_execz .LBB107_16
; %bb.9:
	s_load_b32 s16, s[0:1], 0x58
	v_mov_b32_e32 v5, 0
	v_mov_b32_e32 v6, 0
	s_waitcnt lgkmcnt(0)
	s_cmp_ge_i32 s14, s16
	s_cbranch_scc1 .LBB107_12
; %bb.10:
	s_load_b64 s[0:1], s[0:1], 0x48
	v_mad_u64_u32 v[1:2], null, s14, s12, v[0:1]
	s_ashr_i32 s13, s12, 31
	s_mul_hi_u32 s17, s12, s15
	s_mul_i32 s18, s13, s15
	s_mul_i32 s15, s12, s15
	s_add_i32 s17, s17, s18
	s_mul_hi_u32 s19, s15, s16
	s_delay_alu instid0(VALU_DEP_1)
	v_ashrrev_i32_e32 v2, 31, v1
	s_mul_i32 s17, s17, s16
	s_mul_i32 s18, s15, s16
	s_add_i32 s19, s19, s17
	v_mov_b32_e32 v5, 0
	v_lshlrev_b64 v[1:2], 3, v[1:2]
	s_lshl_b64 s[18:19], s[18:19], 3
	v_mov_b32_e32 v6, 0
	s_waitcnt lgkmcnt(0)
	s_add_u32 s0, s0, s18
	s_addc_u32 s1, s1, s19
	v_add_co_u32 v1, vcc_lo, s0, v1
	v_add_co_ci_u32_e32 v2, vcc_lo, s1, v2, vcc_lo
	s_lshl_b64 s[0:1], s[12:13], 3
.LBB107_11:                             ; =>This Inner Loop Header: Depth=1
	global_load_b64 v[3:4], v[1:2], off
	v_add_co_u32 v1, vcc_lo, v1, s0
	v_add_co_ci_u32_e32 v2, vcc_lo, s1, v2, vcc_lo
	s_add_i32 s14, s14, 1
	s_delay_alu instid0(SALU_CYCLE_1)
	s_cmp_ge_i32 s14, s16
	s_waitcnt vmcnt(0)
	v_add_f64 v[5:6], v[5:6], v[3:4]
	s_cbranch_scc0 .LBB107_11
.LBB107_12:
	v_cmp_eq_f64_e64 s0, s[10:11], 0
	v_ashrrev_i32_e32 v1, 31, v0
	v_mul_lo_u32 v7, v0, s7
	s_delay_alu instid0(VALU_DEP_2) | instskip(NEXT) | instid1(VALU_DEP_4)
	v_mul_lo_u32 v8, v1, s6
	s_and_b32 vcc_lo, exec_lo, s0
	s_cbranch_vccz .LBB107_20
; %bb.13:
	v_mad_u64_u32 v[1:2], null, v0, s6, 0
	v_mul_f64 v[3:4], s[8:9], v[5:6]
	s_delay_alu instid0(VALU_DEP_2)
	v_add3_u32 v2, v2, v7, v8
	s_cbranch_execnz .LBB107_15
.LBB107_14:
	v_mad_u64_u32 v[1:2], null, v0, s6, 0
	s_delay_alu instid0(VALU_DEP_1) | instskip(NEXT) | instid1(VALU_DEP_1)
	v_add3_u32 v2, v2, v7, v8
	v_lshlrev_b64 v[3:4], 3, v[1:2]
	s_delay_alu instid0(VALU_DEP_1) | instskip(NEXT) | instid1(VALU_DEP_2)
	v_add_co_u32 v3, vcc_lo, s3, v3
	v_add_co_ci_u32_e32 v4, vcc_lo, s4, v4, vcc_lo
	global_load_b64 v[3:4], v[3:4], off
	s_waitcnt vmcnt(0)
	v_mul_f64 v[3:4], s[10:11], v[3:4]
	s_delay_alu instid0(VALU_DEP_1)
	v_fma_f64 v[3:4], s[8:9], v[5:6], v[3:4]
.LBB107_15:
	s_or_b32 s5, s5, exec_lo
.LBB107_16:
	s_or_b32 exec_lo, exec_lo, s2
.LBB107_17:
	s_and_saveexec_b32 s0, s5
	s_cbranch_execz .LBB107_19
; %bb.18:
	v_lshlrev_b64 v[0:1], 3, v[1:2]
	s_delay_alu instid0(VALU_DEP_1) | instskip(NEXT) | instid1(VALU_DEP_2)
	v_add_co_u32 v0, vcc_lo, s3, v0
	v_add_co_ci_u32_e32 v1, vcc_lo, s4, v1, vcc_lo
	global_store_b64 v[0:1], v[3:4], off
.LBB107_19:
	s_nop 0
	s_sendmsg sendmsg(MSG_DEALLOC_VGPRS)
	s_endpgm
.LBB107_20:
                                        ; implicit-def: $vgpr3_vgpr4
                                        ; implicit-def: $vgpr1_vgpr2
	s_branch .LBB107_14
	.section	.rodata,"a",@progbits
	.p2align	6, 0x0
	.amdhsa_kernel _ZL36rocblas_hemvn_kernel_lower_block_sumILi64ElPKdPddEviT1_lS3_lT2_lT0_lPT3_i
		.amdhsa_group_segment_fixed_size 0
		.amdhsa_private_segment_fixed_size 0
		.amdhsa_kernarg_size 344
		.amdhsa_user_sgpr_count 14
		.amdhsa_user_sgpr_dispatch_ptr 0
		.amdhsa_user_sgpr_queue_ptr 0
		.amdhsa_user_sgpr_kernarg_segment_ptr 1
		.amdhsa_user_sgpr_dispatch_id 0
		.amdhsa_user_sgpr_private_segment_size 0
		.amdhsa_wavefront_size32 1
		.amdhsa_uses_dynamic_stack 0
		.amdhsa_enable_private_segment 0
		.amdhsa_system_sgpr_workgroup_id_x 1
		.amdhsa_system_sgpr_workgroup_id_y 0
		.amdhsa_system_sgpr_workgroup_id_z 1
		.amdhsa_system_sgpr_workgroup_info 0
		.amdhsa_system_vgpr_workitem_id 0
		.amdhsa_next_free_vgpr 9
		.amdhsa_next_free_sgpr 20
		.amdhsa_reserve_vcc 1
		.amdhsa_float_round_mode_32 0
		.amdhsa_float_round_mode_16_64 0
		.amdhsa_float_denorm_mode_32 3
		.amdhsa_float_denorm_mode_16_64 3
		.amdhsa_dx10_clamp 1
		.amdhsa_ieee_mode 1
		.amdhsa_fp16_overflow 0
		.amdhsa_workgroup_processor_mode 1
		.amdhsa_memory_ordered 1
		.amdhsa_forward_progress 0
		.amdhsa_shared_vgpr_count 0
		.amdhsa_exception_fp_ieee_invalid_op 0
		.amdhsa_exception_fp_denorm_src 0
		.amdhsa_exception_fp_ieee_div_zero 0
		.amdhsa_exception_fp_ieee_overflow 0
		.amdhsa_exception_fp_ieee_underflow 0
		.amdhsa_exception_fp_ieee_inexact 0
		.amdhsa_exception_int_div_zero 0
	.end_amdhsa_kernel
	.section	.text._ZL36rocblas_hemvn_kernel_lower_block_sumILi64ElPKdPddEviT1_lS3_lT2_lT0_lPT3_i,"axG",@progbits,_ZL36rocblas_hemvn_kernel_lower_block_sumILi64ElPKdPddEviT1_lS3_lT2_lT0_lPT3_i,comdat
.Lfunc_end107:
	.size	_ZL36rocblas_hemvn_kernel_lower_block_sumILi64ElPKdPddEviT1_lS3_lT2_lT0_lPT3_i, .Lfunc_end107-_ZL36rocblas_hemvn_kernel_lower_block_sumILi64ElPKdPddEviT1_lS3_lT2_lT0_lPT3_i
                                        ; -- End function
	.section	.AMDGPU.csdata,"",@progbits
; Kernel info:
; codeLenInByte = 832
; NumSgprs: 22
; NumVgprs: 9
; ScratchSize: 0
; MemoryBound: 0
; FloatMode: 240
; IeeeMode: 1
; LDSByteSize: 0 bytes/workgroup (compile time only)
; SGPRBlocks: 2
; VGPRBlocks: 1
; NumSGPRsForWavesPerEU: 22
; NumVGPRsForWavesPerEU: 9
; Occupancy: 16
; WaveLimiterHint : 0
; COMPUTE_PGM_RSRC2:SCRATCH_EN: 0
; COMPUTE_PGM_RSRC2:USER_SGPR: 14
; COMPUTE_PGM_RSRC2:TRAP_HANDLER: 0
; COMPUTE_PGM_RSRC2:TGID_X_EN: 1
; COMPUTE_PGM_RSRC2:TGID_Y_EN: 0
; COMPUTE_PGM_RSRC2:TGID_Z_EN: 1
; COMPUTE_PGM_RSRC2:TIDIG_COMP_CNT: 0
	.section	.text._ZL26rocblas_hemvn_kernel_lowerILb0ELi64ELi4ELi33ELi32ELi16EiPKdS1_PdEviT6_lT7_lT5_lS4_lS5_lS3_lT8_i,"axG",@progbits,_ZL26rocblas_hemvn_kernel_lowerILb0ELi64ELi4ELi33ELi32ELi16EiPKdS1_PdEviT6_lT7_lT5_lS4_lS5_lS3_lT8_i,comdat
	.globl	_ZL26rocblas_hemvn_kernel_lowerILb0ELi64ELi4ELi33ELi32ELi16EiPKdS1_PdEviT6_lT7_lT5_lS4_lS5_lS3_lT8_i ; -- Begin function _ZL26rocblas_hemvn_kernel_lowerILb0ELi64ELi4ELi33ELi32ELi16EiPKdS1_PdEviT6_lT7_lT5_lS4_lS5_lS3_lT8_i
	.p2align	8
	.type	_ZL26rocblas_hemvn_kernel_lowerILb0ELi64ELi4ELi33ELi32ELi16EiPKdS1_PdEviT6_lT7_lT5_lS4_lS5_lS3_lT8_i,@function
_ZL26rocblas_hemvn_kernel_lowerILb0ELi64ELi4ELi33ELi32ELi16EiPKdS1_PdEviT6_lT7_lT5_lS4_lS5_lS3_lT8_i: ; @_ZL26rocblas_hemvn_kernel_lowerILb0ELi64ELi4ELi33ELi32ELi16EiPKdS1_PdEviT6_lT7_lT5_lS4_lS5_lS3_lT8_i
; %bb.0:
	s_load_b64 s[4:5], s[0:1], 0x84
	s_add_u32 s2, s0, 0x78
	s_addc_u32 s3, s1, 0
	s_waitcnt lgkmcnt(0)
	s_lshr_b32 s6, s4, 16
	s_and_b32 s4, s4, 0xffff
	s_and_b32 s5, s5, 0xffff
	s_mul_i32 s4, s6, s4
	s_delay_alu instid0(SALU_CYCLE_1) | instskip(NEXT) | instid1(SALU_CYCLE_1)
	s_mul_i32 s4, s4, s5
	s_cmpk_lg_i32 s4, 0x100
	s_cbranch_scc1 .LBB108_76
; %bb.1:
	s_clause 0x1
	s_load_b256 s[16:23], s[0:1], 0x8
	s_load_b256 s[4:11], s[0:1], 0x50
	s_waitcnt lgkmcnt(0)
	s_mul_i32 s13, s15, s19
	s_mul_hi_u32 s19, s15, s18
	s_mul_i32 s12, s15, s18
	s_add_i32 s13, s19, s13
	s_mul_i32 s9, s15, s9
	s_lshl_b64 s[12:13], s[12:13], 3
	s_mul_hi_u32 s18, s15, s8
	s_add_u32 s12, s16, s12
	s_addc_u32 s13, s17, s13
	s_add_i32 s9, s18, s9
	s_mul_i32 s8, s15, s8
	s_delay_alu instid0(SALU_CYCLE_1) | instskip(NEXT) | instid1(SALU_CYCLE_1)
	s_lshl_b64 s[8:9], s[8:9], 3
	s_add_u32 s6, s6, s8
	s_addc_u32 s7, s7, s9
	s_load_b64 s[8:9], s[12:13], 0x0
	s_load_b64 s[12:13], s[6:7], 0x0
	s_waitcnt lgkmcnt(0)
	v_cmp_eq_f64_e64 s6, s[8:9], 0
	v_cmp_eq_f64_e64 s7, s[12:13], 1.0
	s_delay_alu instid0(VALU_DEP_1) | instskip(NEXT) | instid1(SALU_CYCLE_1)
	s_and_b32 s7, s6, s7
	s_and_b32 vcc_lo, exec_lo, s7
	s_cbranch_vccnz .LBB108_76
; %bb.2:
	s_and_b32 vcc_lo, exec_lo, s6
	s_cbranch_vccnz .LBB108_76
; %bb.3:
	s_clause 0x2
	s_load_b128 s[16:19], s[0:1], 0x30
	s_load_b64 s[6:7], s[0:1], 0x40
	s_load_b32 s24, s[0:1], 0x48
	s_mul_i32 s5, s15, s5
	s_mul_hi_u32 s8, s15, s4
	s_mul_i32 s4, s15, s4
	s_add_i32 s5, s8, s5
	v_and_b32_e32 v25, 0x3ff, v0
	s_lshl_b64 s[4:5], s[4:5], 3
	s_load_b32 s25, s[0:1], 0x0
	s_load_b32 s26, s[2:3], 0x0
	v_bfe_u32 v71, v0, 10, 10
	s_waitcnt lgkmcnt(0)
	s_add_u32 s8, s18, s4
	s_addc_u32 s9, s19, s5
	s_lshl_b64 s[4:5], s[6:7], 3
	s_delay_alu instid0(SALU_CYCLE_1) | instskip(SKIP_2) | instid1(SALU_CYCLE_1)
	s_add_u32 s4, s8, s4
	s_addc_u32 s5, s9, s5
	s_lshl_b32 s12, s14, 6
	v_add_nc_u32_e32 v16, s12, v25
	s_ashr_i32 s27, s25, 31
	s_add_i32 s6, s26, -1
	s_lshr_b32 s2, s27, 26
	s_delay_alu instid0(VALU_DEP_1) | instskip(SKIP_3) | instid1(SALU_CYCLE_1)
	v_mul_lo_u32 v1, v16, s24
	s_add_i32 s3, s25, s2
	v_cmp_ne_u32_e64 s2, 0, v71
	s_and_not1_b32 s3, s3, 63
	s_sub_i32 s7, s25, s3
	v_cmp_eq_u32_e64 s3, 0, v71
	s_cmp_eq_u32 s14, s6
	s_delay_alu instid0(VALU_DEP_3) | instskip(SKIP_1) | instid1(VALU_DEP_1)
	v_ashrrev_i32_e32 v2, 31, v1
	s_cselect_b32 s18, s7, 0
	v_lshlrev_b64 v[0:1], 3, v[1:2]
	s_delay_alu instid0(VALU_DEP_1) | instskip(NEXT) | instid1(VALU_DEP_2)
	v_add_co_u32 v19, vcc_lo, s4, v0
	v_add_co_ci_u32_e32 v20, vcc_lo, s5, v1, vcc_lo
	s_and_saveexec_b32 s4, s3
	s_cbranch_execz .LBB108_7
; %bb.4:
	v_cmp_gt_i32_e32 vcc_lo, s18, v25
	s_cmp_eq_u32 s18, 0
	v_mov_b32_e32 v0, 0
	v_mov_b32_e32 v1, 0
	s_cselect_b32 s5, -1, 0
	s_delay_alu instid0(SALU_CYCLE_1) | instskip(NEXT) | instid1(SALU_CYCLE_1)
	s_or_b32 s6, s5, vcc_lo
	s_and_saveexec_b32 s5, s6
	s_cbranch_execz .LBB108_6
; %bb.5:
	global_load_b64 v[0:1], v[19:20], off
.LBB108_6:
	s_or_b32 exec_lo, exec_lo, s5
	v_lshlrev_b32_e32 v2, 3, v25
	s_waitcnt vmcnt(0)
	ds_store_b64 v2, v[0:1] offset:9088
.LBB108_7:
	s_or_b32 exec_lo, exec_lo, s4
	s_load_b32 s8, s[0:1], 0x28
	v_lshl_add_u32 v26, v71, 6, v25
	v_and_b32_e32 v0, 31, v25
	s_mul_i32 s1, s15, s17
	s_mul_hi_u32 s4, s15, s16
	s_mul_i32 s0, s15, s16
	v_lshrrev_b32_e32 v11, 5, v26
	s_add_i32 s1, s4, s1
	s_delay_alu instid0(SALU_CYCLE_1) | instskip(NEXT) | instid1(SALU_CYCLE_1)
	s_lshl_b64 s[0:1], s[0:1], 3
	s_add_u32 s4, s20, s0
	s_addc_u32 s5, s21, s1
	s_lshl_b64 s[0:1], s[22:23], 3
	s_delay_alu instid0(SALU_CYCLE_1) | instskip(SKIP_2) | instid1(SALU_CYCLE_1)
	s_add_u32 s4, s4, s0
	s_addc_u32 s5, s5, s1
	s_ashr_i32 s13, s12, 31
	s_lshl_b64 s[0:1], s[12:13], 3
	s_waitcnt lgkmcnt(0)
	v_mad_u64_u32 v[1:2], null, v11, s8, v[0:1]
	s_add_u32 s4, s4, s0
	s_mul_i32 s0, s12, s8
	s_addc_u32 s5, s5, s1
	s_ashr_i32 s1, s0, 31
	s_delay_alu instid0(SALU_CYCLE_1) | instskip(NEXT) | instid1(VALU_DEP_1)
	s_lshl_b64 s[16:17], s[0:1], 3
	v_ashrrev_i32_e32 v2, 31, v1
	s_add_u32 s0, s16, s4
	s_addc_u32 s1, s17, s5
	s_cmp_lg_u32 s18, 0
	s_cselect_b32 s13, -1, 0
	v_lshlrev_b64 v[21:22], 3, v[1:2]
	s_cmp_eq_u32 s18, 0
	s_cselect_b32 s7, -1, 0
	s_delay_alu instid0(VALU_DEP_1) | instskip(NEXT) | instid1(VALU_DEP_2)
	v_add_co_u32 v1, vcc_lo, s0, v21
	v_add_co_ci_u32_e32 v2, vcc_lo, s1, v22, vcc_lo
	s_and_b32 vcc_lo, exec_lo, s13
	s_mov_b32 s0, 0
	s_cbranch_vccnz .LBB108_9
; %bb.8:
	s_lshl_b32 s4, s8, 3
	s_ashr_i32 s9, s8, 31
	s_ashr_i32 s5, s4, 31
	v_mul_u32_u24_e32 v12, 33, v11
	s_lshl_b64 s[4:5], s[4:5], 3
	s_delay_alu instid0(SALU_CYCLE_1) | instskip(SKIP_3) | instid1(VALU_DEP_3)
	v_add_co_u32 v3, vcc_lo, v1, s4
	v_add_co_ci_u32_e32 v4, vcc_lo, s5, v2, vcc_lo
	s_lshl_b64 s[4:5], s[8:9], 6
	v_add_lshl_u32 v12, v12, v0, 3
	v_add_co_u32 v5, vcc_lo, v3, s4
	s_delay_alu instid0(VALU_DEP_3) | instskip(NEXT) | instid1(VALU_DEP_2)
	v_add_co_ci_u32_e32 v6, vcc_lo, s5, v4, vcc_lo
	v_add_co_u32 v7, vcc_lo, v5, s4
	s_delay_alu instid0(VALU_DEP_2)
	v_add_co_ci_u32_e32 v8, vcc_lo, s5, v6, vcc_lo
	s_clause 0x1
	global_load_b64 v[9:10], v[1:2], off
	global_load_b64 v[3:4], v[3:4], off
	;; [unrolled: 1-line block ×4, first 2 shown]
	s_waitcnt vmcnt(3)
	ds_store_b64 v12, v[9:10]
	s_waitcnt vmcnt(2)
	ds_store_b64 v12, v[3:4] offset:2112
	s_waitcnt vmcnt(1)
	ds_store_b64 v12, v[5:6] offset:4224
	;; [unrolled: 2-line block ×3, first 2 shown]
	s_and_not1_b32 vcc_lo, exec_lo, s0
	s_cbranch_vccz .LBB108_10
	s_branch .LBB108_19
.LBB108_9:
.LBB108_10:
	v_dual_mov_b32 v7, 0 :: v_dual_lshlrev_b32 v12, 3, v0
	s_ashr_i32 s19, s18, 31
	s_mov_b32 s1, exec_lo
	s_lshl_b64 s[4:5], s[18:19], 3
	s_delay_alu instid0(VALU_DEP_1) | instskip(SKIP_1) | instid1(VALU_DEP_2)
	v_sub_co_u32 v3, vcc_lo, v1, v12
	v_subrev_co_ci_u32_e32 v4, vcc_lo, 0, v2, vcc_lo
	v_add_co_u32 v3, vcc_lo, v3, s4
	s_delay_alu instid0(VALU_DEP_2) | instskip(NEXT) | instid1(VALU_DEP_2)
	v_add_co_ci_u32_e32 v4, vcc_lo, s5, v4, vcc_lo
	v_add_co_u32 v3, vcc_lo, v3, -8
	s_delay_alu instid0(VALU_DEP_2) | instskip(SKIP_1) | instid1(VALU_DEP_3)
	v_add_co_ci_u32_e32 v4, vcc_lo, -1, v4, vcc_lo
	v_cmp_gt_i32_e32 vcc_lo, s18, v0
	v_dual_mov_b32 v8, 0 :: v_dual_cndmask_b32 v3, v3, v1
	s_delay_alu instid0(VALU_DEP_3) | instskip(NEXT) | instid1(VALU_DEP_2)
	v_dual_cndmask_b32 v4, v4, v2 :: v_dual_mov_b32 v5, v7
	v_mov_b32_e32 v6, v8
	v_cmpx_gt_i32_e64 s18, v11
	s_cbranch_execz .LBB108_12
; %bb.11:
	global_load_b64 v[5:6], v[3:4], off
.LBB108_12:
	s_or_b32 exec_lo, exec_lo, s1
	v_mul_u32_u24_e32 v9, 33, v11
	v_add_nc_u32_e32 v10, 8, v11
	s_mov_b32 s1, exec_lo
	s_delay_alu instid0(VALU_DEP_2)
	v_add_lshl_u32 v13, v9, v0, 3
	s_waitcnt vmcnt(0)
	ds_store_b64 v13, v[5:6]
	v_cmpx_gt_i32_e64 s18, v10
	s_cbranch_execz .LBB108_14
; %bb.13:
	s_lshl_b32 s20, s8, 3
	s_delay_alu instid0(SALU_CYCLE_1) | instskip(NEXT) | instid1(SALU_CYCLE_1)
	s_ashr_i32 s21, s20, 31
	s_lshl_b64 s[20:21], s[20:21], 3
	s_delay_alu instid0(SALU_CYCLE_1) | instskip(NEXT) | instid1(VALU_DEP_1)
	v_add_co_u32 v5, s0, v3, s20
	v_add_co_ci_u32_e64 v6, s0, s21, v4, s0
	global_load_b64 v[7:8], v[5:6], off
.LBB108_14:
	s_or_b32 exec_lo, exec_lo, s1
	v_mov_b32_e32 v5, 0
	v_dual_mov_b32 v6, 0 :: v_dual_add_nc_u32 v9, 16, v11
	s_waitcnt vmcnt(0)
	ds_store_b64 v13, v[7:8] offset:2112
	v_cmp_gt_i32_e64 s0, s18, v9
	v_dual_mov_b32 v10, v6 :: v_dual_mov_b32 v9, v5
	s_delay_alu instid0(VALU_DEP_2)
	s_and_saveexec_b32 s1, s0
	s_cbranch_execz .LBB108_16
; %bb.15:
	s_lshl_b32 s20, s8, 4
	s_delay_alu instid0(SALU_CYCLE_1) | instskip(NEXT) | instid1(SALU_CYCLE_1)
	s_ashr_i32 s21, s20, 31
	s_lshl_b64 s[20:21], s[20:21], 3
	s_delay_alu instid0(SALU_CYCLE_1) | instskip(NEXT) | instid1(VALU_DEP_1)
	v_add_co_u32 v7, s0, v3, s20
	v_add_co_ci_u32_e64 v8, s0, s21, v4, s0
	global_load_b64 v[9:10], v[7:8], off
.LBB108_16:
	s_or_b32 exec_lo, exec_lo, s1
	v_add_nc_u32_e32 v7, 24, v11
	s_mov_b32 s1, exec_lo
	s_waitcnt vmcnt(0)
	ds_store_b64 v13, v[9:10] offset:4224
	v_cmpx_gt_i32_e64 s18, v7
	s_cbranch_execz .LBB108_18
; %bb.17:
	s_mul_i32 s20, s8, 24
	s_delay_alu instid0(SALU_CYCLE_1) | instskip(NEXT) | instid1(SALU_CYCLE_1)
	s_ashr_i32 s21, s20, 31
	s_lshl_b64 s[20:21], s[20:21], 3
	s_delay_alu instid0(SALU_CYCLE_1) | instskip(NEXT) | instid1(VALU_DEP_1)
	v_add_co_u32 v5, s0, v3, s20
	v_add_co_ci_u32_e64 v6, s0, s21, v4, s0
	global_load_b64 v[5:6], v[5:6], off
.LBB108_18:
	s_or_b32 exec_lo, exec_lo, s1
	v_add_co_u32 v3, s0, v3, v12
	s_delay_alu instid0(VALU_DEP_1) | instskip(SKIP_3) | instid1(VALU_DEP_1)
	v_add_co_ci_u32_e64 v4, s0, 0, v4, s0
	s_waitcnt vmcnt(0)
	ds_store_b64 v13, v[5:6] offset:6336
	v_sub_co_u32 v3, s0, v3, s4
	v_subrev_co_ci_u32_e64 v4, s0, s5, v4, s0
	s_delay_alu instid0(VALU_DEP_2) | instskip(NEXT) | instid1(VALU_DEP_1)
	v_add_co_u32 v3, s0, v3, 8
	v_add_co_ci_u32_e64 v4, s0, 0, v4, s0
	s_delay_alu instid0(VALU_DEP_1)
	v_dual_cndmask_b32 v1, v3, v1 :: v_dual_cndmask_b32 v2, v4, v2
.LBB108_19:
	v_lshlrev_b32_e32 v3, 2, v11
	v_mul_u32_u24_e32 v27, 33, v0
	v_mul_u32_u24_e32 v4, 0x84, v11
	s_waitcnt lgkmcnt(0)
	s_barrier
	v_cmp_lt_u32_e64 s1, v3, v0
	v_add_lshl_u32 v29, v3, v27, 3
	buffer_gl0_inv
	s_and_saveexec_b32 s0, s1
	s_cbranch_execz .LBB108_21
; %bb.20:
	v_add_lshl_u32 v5, v4, v0, 3
	ds_load_b64 v[5:6], v5
	s_waitcnt lgkmcnt(0)
	ds_store_b64 v29, v[5:6]
.LBB108_21:
	s_or_b32 exec_lo, exec_lo, s0
	v_or_b32_e32 v5, 1, v3
	s_delay_alu instid0(VALU_DEP_1) | instskip(NEXT) | instid1(VALU_DEP_1)
	v_cmp_lt_u32_e64 s4, v5, v0
	s_and_saveexec_b32 s0, s4
	s_cbranch_execz .LBB108_23
; %bb.22:
	v_mul_u32_u24_e32 v5, 33, v5
	s_delay_alu instid0(VALU_DEP_1)
	v_add_lshl_u32 v5, v5, v0, 3
	ds_load_b64 v[5:6], v5
	s_waitcnt lgkmcnt(0)
	ds_store_b64 v29, v[5:6] offset:8
.LBB108_23:
	s_or_b32 exec_lo, exec_lo, s0
	v_or_b32_e32 v5, 2, v3
	s_delay_alu instid0(VALU_DEP_1) | instskip(NEXT) | instid1(VALU_DEP_1)
	v_cmp_lt_u32_e64 s5, v5, v0
	s_and_saveexec_b32 s0, s5
	s_cbranch_execz .LBB108_25
; %bb.24:
	v_mul_u32_u24_e32 v5, 33, v5
	s_delay_alu instid0(VALU_DEP_1)
	v_add_lshl_u32 v5, v5, v0, 3
	ds_load_b64 v[5:6], v5
	s_waitcnt lgkmcnt(0)
	ds_store_b64 v29, v[5:6] offset:16
.LBB108_25:
	s_or_b32 exec_lo, exec_lo, s0
	v_or_b32_e32 v5, 3, v3
	s_delay_alu instid0(VALU_DEP_1) | instskip(SKIP_1) | instid1(VALU_DEP_2)
	v_mad_u32_u24 v6, v5, 33, v0
	v_cmp_lt_u32_e64 s6, v5, v0
	v_lshlrev_b32_e32 v9, 3, v6
	s_delay_alu instid0(VALU_DEP_2)
	s_and_saveexec_b32 s0, s6
	s_cbranch_execz .LBB108_27
; %bb.26:
	ds_load_b64 v[5:6], v9
	s_waitcnt lgkmcnt(0)
	ds_store_b64 v29, v[5:6] offset:24
.LBB108_27:
	s_or_b32 exec_lo, exec_lo, s0
	v_add_lshl_u32 v10, v4, v0, 3
	v_dual_mov_b32 v17, 0 :: v_dual_lshlrev_b32 v12, 3, v3
	s_waitcnt lgkmcnt(0)
	s_barrier
	buffer_gl0_inv
	ds_load_b64 v[7:8], v10
	ds_load_b128 v[3:6], v12 offset:9088
	v_dual_mov_b32 v18, 0 :: v_dual_add_nc_u32 v13, 0xfffffdf0, v9
	v_add_lshl_u32 v28, v11, v27, 3
	v_cmp_gt_u32_e64 s0, 32, v26
	ds_load_2addr_b64 v[30:33], v13 offset1:33
	s_waitcnt lgkmcnt(1)
	v_fma_f64 v[3:4], v[7:8], v[3:4], 0
	s_waitcnt lgkmcnt(0)
	s_delay_alu instid0(VALU_DEP_1)
	v_fma_f64 v[7:8], v[30:31], v[5:6], v[3:4]
	ds_load_b128 v[3:6], v12 offset:9104
	ds_load_b64 v[14:15], v9
	s_waitcnt lgkmcnt(0)
	s_barrier
	buffer_gl0_inv
	v_fma_f64 v[3:4], v[32:33], v[3:4], v[7:8]
	s_delay_alu instid0(VALU_DEP_1)
	v_fma_f64 v[3:4], v[14:15], v[5:6], v[3:4]
	ds_store_b64 v28, v[3:4]
	s_waitcnt lgkmcnt(0)
	s_barrier
	buffer_gl0_inv
	s_and_saveexec_b32 s9, s0
	s_cbranch_execz .LBB108_29
; %bb.28:
	v_lshlrev_b32_e32 v14, 3, v27
	ds_load_2addr_b64 v[3:6], v14 offset1:1
	ds_load_2addr_b64 v[30:33], v14 offset0:2 offset1:3
	s_waitcnt lgkmcnt(1)
	v_add_f64 v[3:4], v[3:4], v[5:6]
	s_waitcnt lgkmcnt(0)
	s_delay_alu instid0(VALU_DEP_1) | instskip(NEXT) | instid1(VALU_DEP_1)
	v_add_f64 v[3:4], v[3:4], v[30:31]
	v_add_f64 v[7:8], v[3:4], v[32:33]
	ds_load_2addr_b64 v[3:6], v14 offset0:4 offset1:5
	ds_load_2addr_b64 v[30:33], v14 offset0:6 offset1:7
	s_waitcnt lgkmcnt(1)
	v_add_f64 v[3:4], v[7:8], v[3:4]
	s_delay_alu instid0(VALU_DEP_1) | instskip(SKIP_1) | instid1(VALU_DEP_1)
	v_add_f64 v[3:4], v[3:4], v[5:6]
	s_waitcnt lgkmcnt(0)
	v_add_f64 v[3:4], v[3:4], v[30:31]
	s_delay_alu instid0(VALU_DEP_1)
	v_add_f64 v[17:18], v[3:4], v[32:33]
.LBB108_29:
	s_or_b32 exec_lo, exec_lo, s9
	s_lshl_b32 s20, s8, 5
	v_cndmask_b32_e64 v14, 0, 1, s7
	s_ashr_i32 s21, s20, 31
	s_delay_alu instid0(SALU_CYCLE_1)
	s_lshl_b64 s[20:21], s[20:21], 3
	s_barrier
	v_add_co_u32 v1, vcc_lo, v1, s20
	v_add_co_ci_u32_e32 v2, vcc_lo, s21, v2, vcc_lo
	buffer_gl0_inv
	v_add_co_u32 v15, vcc_lo, 0x100, v1
	v_add_co_ci_u32_e32 v24, vcc_lo, 0, v2, vcc_lo
	s_and_not1_b32 vcc_lo, exec_lo, s7
	s_cbranch_vccnz .LBB108_31
; %bb.30:
	s_lshl_b32 s22, s8, 3
	s_ashr_i32 s9, s8, 31
	s_ashr_i32 s23, s22, 31
	v_mul_u32_u24_e32 v23, 33, v11
	s_lshl_b64 s[22:23], s[22:23], 3
	s_delay_alu instid0(SALU_CYCLE_1) | instskip(SKIP_3) | instid1(VALU_DEP_3)
	v_add_co_u32 v3, vcc_lo, v1, s22
	v_add_co_ci_u32_e32 v4, vcc_lo, s23, v2, vcc_lo
	s_lshl_b64 s[22:23], s[8:9], 6
	v_add_lshl_u32 v23, v23, v0, 3
	v_add_co_u32 v5, vcc_lo, v3, s22
	s_delay_alu instid0(VALU_DEP_3) | instskip(NEXT) | instid1(VALU_DEP_2)
	v_add_co_ci_u32_e32 v6, vcc_lo, s23, v4, vcc_lo
	v_add_co_u32 v7, vcc_lo, v5, s22
	s_delay_alu instid0(VALU_DEP_2)
	v_add_co_ci_u32_e32 v8, vcc_lo, s23, v6, vcc_lo
	s_clause 0x3
	global_load_b64 v[1:2], v[1:2], off offset:256
	global_load_b64 v[3:4], v[3:4], off offset:256
	;; [unrolled: 1-line block ×4, first 2 shown]
	s_waitcnt vmcnt(3)
	ds_store_b64 v23, v[1:2]
	s_waitcnt vmcnt(2)
	ds_store_b64 v23, v[3:4] offset:2112
	s_waitcnt vmcnt(1)
	ds_store_b64 v23, v[5:6] offset:4224
	;; [unrolled: 2-line block ×3, first 2 shown]
	s_cbranch_execz .LBB108_32
	s_branch .LBB108_41
.LBB108_31:
.LBB108_32:
	v_lshlrev_b32_e32 v23, 3, v0
	v_mov_b32_e32 v5, 0
	v_mov_b32_e32 v6, 0
	s_ashr_i32 s19, s18, 31
	v_or_b32_e32 v3, 32, v0
	v_sub_co_u32 v1, vcc_lo, v15, v23
	v_subrev_co_ci_u32_e32 v2, vcc_lo, 0, v24, vcc_lo
	s_lshl_b64 s[22:23], s[18:19], 3
	s_sub_i32 s9, s18, 32
	s_delay_alu instid0(VALU_DEP_2) | instskip(NEXT) | instid1(VALU_DEP_2)
	v_add_co_u32 v1, vcc_lo, v1, s22
	v_add_co_ci_u32_e32 v2, vcc_lo, s23, v2, vcc_lo
	s_mov_b32 s19, exec_lo
	s_delay_alu instid0(VALU_DEP_2) | instskip(NEXT) | instid1(VALU_DEP_2)
	v_add_co_u32 v1, vcc_lo, 0xfffffef8, v1
	v_add_co_ci_u32_e32 v2, vcc_lo, -1, v2, vcc_lo
	v_cmp_gt_i32_e32 vcc_lo, s18, v3
	v_dual_mov_b32 v3, v5 :: v_dual_mov_b32 v4, v6
	s_delay_alu instid0(VALU_DEP_3)
	v_dual_cndmask_b32 v2, v2, v24 :: v_dual_cndmask_b32 v1, v1, v15
	v_cmpx_gt_i32_e64 s9, v11
	s_cbranch_execz .LBB108_34
; %bb.33:
	global_load_b64 v[3:4], v[1:2], off
.LBB108_34:
	s_or_b32 exec_lo, exec_lo, s19
	v_mul_u32_u24_e32 v7, 33, v11
	v_add_nc_u32_e32 v8, 8, v11
	s_mov_b32 s19, exec_lo
	s_delay_alu instid0(VALU_DEP_2)
	v_add_lshl_u32 v30, v7, v0, 3
	s_waitcnt vmcnt(0)
	ds_store_b64 v30, v[3:4]
	v_cmpx_gt_i32_e64 s9, v8
	s_cbranch_execz .LBB108_36
; %bb.35:
	s_lshl_b32 s28, s8, 3
	s_delay_alu instid0(SALU_CYCLE_1) | instskip(NEXT) | instid1(SALU_CYCLE_1)
	s_ashr_i32 s29, s28, 31
	s_lshl_b64 s[28:29], s[28:29], 3
	s_delay_alu instid0(SALU_CYCLE_1) | instskip(NEXT) | instid1(VALU_DEP_1)
	v_add_co_u32 v3, s7, v1, s28
	v_add_co_ci_u32_e64 v4, s7, s29, v2, s7
	global_load_b64 v[5:6], v[3:4], off
.LBB108_36:
	s_or_b32 exec_lo, exec_lo, s19
	v_mov_b32_e32 v3, 0
	v_dual_mov_b32 v4, 0 :: v_dual_add_nc_u32 v7, 16, v11
	s_waitcnt vmcnt(0)
	ds_store_b64 v30, v[5:6] offset:2112
	v_cmp_gt_i32_e64 s7, s9, v7
	v_dual_mov_b32 v8, v4 :: v_dual_mov_b32 v7, v3
	s_delay_alu instid0(VALU_DEP_2)
	s_and_saveexec_b32 s19, s7
	s_cbranch_execz .LBB108_38
; %bb.37:
	s_lshl_b32 s28, s8, 4
	s_delay_alu instid0(SALU_CYCLE_1) | instskip(NEXT) | instid1(SALU_CYCLE_1)
	s_ashr_i32 s29, s28, 31
	s_lshl_b64 s[28:29], s[28:29], 3
	s_delay_alu instid0(SALU_CYCLE_1) | instskip(NEXT) | instid1(VALU_DEP_1)
	v_add_co_u32 v5, s7, v1, s28
	v_add_co_ci_u32_e64 v6, s7, s29, v2, s7
	global_load_b64 v[7:8], v[5:6], off
.LBB108_38:
	s_or_b32 exec_lo, exec_lo, s19
	v_add_nc_u32_e32 v5, 24, v11
	s_waitcnt vmcnt(0)
	ds_store_b64 v30, v[7:8] offset:4224
	v_cmp_gt_i32_e64 s7, s9, v5
	s_delay_alu instid0(VALU_DEP_1)
	s_and_saveexec_b32 s9, s7
	s_cbranch_execz .LBB108_40
; %bb.39:
	s_mul_i32 s28, s8, 24
	s_delay_alu instid0(SALU_CYCLE_1) | instskip(NEXT) | instid1(SALU_CYCLE_1)
	s_ashr_i32 s29, s28, 31
	s_lshl_b64 s[28:29], s[28:29], 3
	s_delay_alu instid0(SALU_CYCLE_1) | instskip(NEXT) | instid1(VALU_DEP_1)
	v_add_co_u32 v3, s7, v1, s28
	v_add_co_ci_u32_e64 v4, s7, s29, v2, s7
	global_load_b64 v[3:4], v[3:4], off
.LBB108_40:
	s_or_b32 exec_lo, exec_lo, s9
	v_add_co_u32 v1, s7, v1, v23
	s_delay_alu instid0(VALU_DEP_1) | instskip(SKIP_3) | instid1(VALU_DEP_1)
	v_add_co_ci_u32_e64 v2, s7, 0, v2, s7
	s_waitcnt vmcnt(0)
	ds_store_b64 v30, v[3:4] offset:6336
	v_sub_co_u32 v1, s7, v1, s22
	v_subrev_co_ci_u32_e64 v2, s7, s23, v2, s7
	s_delay_alu instid0(VALU_DEP_2) | instskip(NEXT) | instid1(VALU_DEP_1)
	v_add_co_u32 v1, s7, 0x108, v1
	v_add_co_ci_u32_e64 v2, s7, 0, v2, s7
	s_delay_alu instid0(VALU_DEP_1)
	v_dual_cndmask_b32 v15, v1, v15 :: v_dual_cndmask_b32 v24, v2, v24
.LBB108_41:
	v_add_nc_u32_e32 v12, 0x2380, v12
	s_waitcnt lgkmcnt(0)
	s_barrier
	buffer_gl0_inv
	s_and_saveexec_b32 s7, s1
	s_cbranch_execnz .LBB108_50
; %bb.42:
	s_or_b32 exec_lo, exec_lo, s7
	s_and_saveexec_b32 s1, s4
	s_cbranch_execnz .LBB108_51
.LBB108_43:
	s_or_b32 exec_lo, exec_lo, s1
	s_and_saveexec_b32 s1, s5
	s_cbranch_execnz .LBB108_52
.LBB108_44:
	s_or_b32 exec_lo, exec_lo, s1
	s_and_saveexec_b32 s1, s6
	s_cbranch_execz .LBB108_46
.LBB108_45:
	ds_load_b64 v[1:2], v9
	s_waitcnt lgkmcnt(0)
	ds_store_b64 v29, v[1:2] offset:24
.LBB108_46:
	s_or_b32 exec_lo, exec_lo, s1
	s_waitcnt lgkmcnt(0)
	s_barrier
	buffer_gl0_inv
	ds_load_b64 v[5:6], v10
	ds_load_b128 v[1:4], v12 offset:256
	v_cmp_eq_u32_e64 s1, 1, v11
	s_waitcnt lgkmcnt(0)
	v_fma_f64 v[1:2], v[5:6], v[1:2], 0
	ds_load_2addr_b64 v[5:8], v13 offset1:33
	s_waitcnt lgkmcnt(0)
	v_fma_f64 v[5:6], v[5:6], v[3:4], v[1:2]
	ds_load_b128 v[1:4], v12 offset:272
	ds_load_b64 v[9:10], v9
	s_waitcnt lgkmcnt(0)
	s_barrier
	buffer_gl0_inv
	v_fma_f64 v[1:2], v[7:8], v[1:2], v[5:6]
	s_delay_alu instid0(VALU_DEP_1)
	v_fma_f64 v[1:2], v[9:10], v[3:4], v[1:2]
	ds_store_b64 v28, v[1:2]
	s_waitcnt lgkmcnt(0)
	s_barrier
	buffer_gl0_inv
	s_and_saveexec_b32 s4, s1
	s_cbranch_execz .LBB108_48
; %bb.47:
	v_lshlrev_b32_e32 v13, 3, v27
	ds_load_2addr_b64 v[1:4], v13 offset1:1
	ds_load_2addr_b64 v[5:8], v13 offset0:2 offset1:3
	s_waitcnt lgkmcnt(1)
	v_add_f64 v[1:2], v[1:2], v[3:4]
	s_waitcnt lgkmcnt(0)
	s_delay_alu instid0(VALU_DEP_1) | instskip(NEXT) | instid1(VALU_DEP_1)
	v_add_f64 v[1:2], v[1:2], v[5:6]
	v_add_f64 v[9:10], v[1:2], v[7:8]
	ds_load_2addr_b64 v[1:4], v13 offset0:4 offset1:5
	ds_load_2addr_b64 v[5:8], v13 offset0:6 offset1:7
	s_waitcnt lgkmcnt(1)
	v_add_f64 v[1:2], v[9:10], v[1:2]
	s_delay_alu instid0(VALU_DEP_1) | instskip(SKIP_1) | instid1(VALU_DEP_1)
	v_add_f64 v[1:2], v[1:2], v[3:4]
	s_waitcnt lgkmcnt(0)
	v_add_f64 v[1:2], v[1:2], v[5:6]
	s_delay_alu instid0(VALU_DEP_1)
	v_add_f64 v[17:18], v[1:2], v[7:8]
.LBB108_48:
	s_or_b32 exec_lo, exec_lo, s4
	v_cmp_ne_u32_e32 vcc_lo, 1, v14
	v_sub_co_u32 v23, s4, v15, s20
	s_delay_alu instid0(VALU_DEP_1)
	v_subrev_co_ci_u32_e64 v24, s4, s21, v24, s4
	s_barrier
	buffer_gl0_inv
	s_cbranch_vccnz .LBB108_53
; %bb.49:
	s_lshl_b32 s4, s8, 3
	s_ashr_i32 s9, s8, 31
	s_ashr_i32 s5, s4, 31
	v_mad_u32_u24 v10, v11, 33, v0
	s_lshl_b64 s[4:5], s[4:5], 3
	v_add_nc_u32_e32 v9, 8, v11
	v_add_co_u32 v1, vcc_lo, v23, s4
	v_add_co_ci_u32_e32 v2, vcc_lo, s5, v24, vcc_lo
	s_lshl_b64 s[4:5], s[8:9], 6
	v_lshlrev_b32_e32 v32, 3, v10
	s_delay_alu instid0(VALU_DEP_3) | instskip(NEXT) | instid1(VALU_DEP_3)
	v_add_co_u32 v3, vcc_lo, v1, s4
	v_add_co_ci_u32_e32 v4, vcc_lo, s5, v2, vcc_lo
	v_add_nc_u32_e32 v13, 16, v11
	s_delay_alu instid0(VALU_DEP_3) | instskip(NEXT) | instid1(VALU_DEP_3)
	v_add_co_u32 v5, vcc_lo, v3, s4
	v_add_co_ci_u32_e32 v6, vcc_lo, s5, v4, vcc_lo
	s_clause 0x3
	global_load_b64 v[7:8], v[23:24], off
	global_load_b64 v[14:15], v[1:2], off
	;; [unrolled: 1-line block ×4, first 2 shown]
	v_add_nc_u32_e32 v6, 0x108, v10
	v_add_nc_u32_e32 v1, 0x210, v10
	;; [unrolled: 1-line block ×4, first 2 shown]
	s_waitcnt vmcnt(3)
	ds_store_b64 v32, v[7:8]
	s_waitcnt vmcnt(2)
	ds_store_b64 v32, v[14:15] offset:2112
	s_waitcnt vmcnt(1)
	ds_store_b64 v32, v[3:4] offset:4224
	;; [unrolled: 2-line block ×3, first 2 shown]
	s_cbranch_execz .LBB108_54
	s_branch .LBB108_63
.LBB108_50:
	ds_load_b64 v[1:2], v10
	s_waitcnt lgkmcnt(0)
	ds_store_b64 v29, v[1:2]
	s_or_b32 exec_lo, exec_lo, s7
	s_and_saveexec_b32 s1, s4
	s_cbranch_execz .LBB108_43
.LBB108_51:
	ds_load_b64 v[1:2], v13
	s_waitcnt lgkmcnt(0)
	ds_store_b64 v29, v[1:2] offset:8
	s_or_b32 exec_lo, exec_lo, s1
	s_and_saveexec_b32 s1, s5
	s_cbranch_execz .LBB108_44
.LBB108_52:
	ds_load_b64 v[1:2], v13 offset:264
	s_waitcnt lgkmcnt(0)
	ds_store_b64 v29, v[1:2] offset:16
	s_or_b32 exec_lo, exec_lo, s1
	s_and_saveexec_b32 s1, s6
	s_cbranch_execnz .LBB108_45
	s_branch .LBB108_46
.LBB108_53:
                                        ; implicit-def: $vgpr10
                                        ; implicit-def: $vgpr9
                                        ; implicit-def: $vgpr6
                                        ; implicit-def: $vgpr13
                                        ; implicit-def: $vgpr1
                                        ; implicit-def: $vgpr5
                                        ; implicit-def: $vgpr2
.LBB108_54:
	v_dual_mov_b32 v5, 0 :: v_dual_lshlrev_b32 v14, 3, v0
	s_ashr_i32 s19, s18, 31
	v_or_b32_e32 v3, 32, v0
	s_lshl_b64 s[6:7], s[18:19], 3
	s_delay_alu instid0(VALU_DEP_2) | instskip(SKIP_2) | instid1(VALU_DEP_2)
	v_sub_co_u32 v1, vcc_lo, v23, v14
	v_subrev_co_ci_u32_e32 v2, vcc_lo, 0, v24, vcc_lo
	s_mov_b32 s5, exec_lo
	v_add_co_u32 v1, vcc_lo, v1, s6
	s_delay_alu instid0(VALU_DEP_2) | instskip(NEXT) | instid1(VALU_DEP_2)
	v_add_co_ci_u32_e32 v2, vcc_lo, s7, v2, vcc_lo
	v_add_co_u32 v1, vcc_lo, 0xfffffef8, v1
	s_delay_alu instid0(VALU_DEP_2) | instskip(SKIP_1) | instid1(VALU_DEP_3)
	v_add_co_ci_u32_e32 v2, vcc_lo, -1, v2, vcc_lo
	v_cmp_gt_i32_e32 vcc_lo, s18, v3
	v_dual_mov_b32 v6, 0 :: v_dual_cndmask_b32 v1, v1, v23
	s_delay_alu instid0(VALU_DEP_3) | instskip(NEXT) | instid1(VALU_DEP_2)
	v_dual_cndmask_b32 v2, v2, v24 :: v_dual_mov_b32 v3, v5
	v_mov_b32_e32 v4, v6
	v_cmpx_gt_i32_e64 s18, v11
	s_cbranch_execz .LBB108_56
; %bb.55:
	global_load_b64 v[3:4], v[1:2], off
.LBB108_56:
	s_or_b32 exec_lo, exec_lo, s5
	v_mad_u32_u24 v10, v11, 33, v0
	v_add_nc_u32_e32 v9, 8, v11
	s_mov_b32 s5, exec_lo
	s_delay_alu instid0(VALU_DEP_2)
	v_lshlrev_b32_e32 v0, 3, v10
	s_waitcnt vmcnt(0)
	ds_store_b64 v0, v[3:4]
	v_cmpx_gt_i32_e64 s18, v9
	s_cbranch_execz .LBB108_58
; %bb.57:
	s_lshl_b32 s20, s8, 3
	s_delay_alu instid0(SALU_CYCLE_1) | instskip(NEXT) | instid1(SALU_CYCLE_1)
	s_ashr_i32 s21, s20, 31
	s_lshl_b64 s[20:21], s[20:21], 3
	s_delay_alu instid0(SALU_CYCLE_1) | instskip(NEXT) | instid1(VALU_DEP_1)
	v_add_co_u32 v3, s4, v1, s20
	v_add_co_ci_u32_e64 v4, s4, s21, v2, s4
	global_load_b64 v[5:6], v[3:4], off
.LBB108_58:
	s_or_b32 exec_lo, exec_lo, s5
	v_mov_b32_e32 v3, 0
	v_dual_mov_b32 v4, 0 :: v_dual_add_nc_u32 v13, 16, v11
	s_mov_b32 s5, exec_lo
	s_waitcnt vmcnt(0)
	ds_store_b64 v0, v[5:6] offset:2112
	v_dual_mov_b32 v8, v4 :: v_dual_mov_b32 v7, v3
	v_cmpx_gt_i32_e64 s18, v13
	s_cbranch_execz .LBB108_60
; %bb.59:
	s_lshl_b32 s20, s8, 4
	s_delay_alu instid0(SALU_CYCLE_1) | instskip(NEXT) | instid1(SALU_CYCLE_1)
	s_ashr_i32 s21, s20, 31
	s_lshl_b64 s[20:21], s[20:21], 3
	s_delay_alu instid0(SALU_CYCLE_1) | instskip(NEXT) | instid1(VALU_DEP_1)
	v_add_co_u32 v5, s4, v1, s20
	v_add_co_ci_u32_e64 v6, s4, s21, v2, s4
	global_load_b64 v[7:8], v[5:6], off
.LBB108_60:
	s_or_b32 exec_lo, exec_lo, s5
	v_add_nc_u32_e32 v5, 24, v11
	s_mov_b32 s5, exec_lo
	s_waitcnt vmcnt(0)
	ds_store_b64 v0, v[7:8] offset:4224
	v_cmpx_gt_i32_e64 s18, v5
	s_cbranch_execz .LBB108_62
; %bb.61:
	s_mul_i32 s20, s8, 24
	s_delay_alu instid0(SALU_CYCLE_1) | instskip(NEXT) | instid1(SALU_CYCLE_1)
	s_ashr_i32 s21, s20, 31
	s_lshl_b64 s[20:21], s[20:21], 3
	s_delay_alu instid0(SALU_CYCLE_1) | instskip(NEXT) | instid1(VALU_DEP_1)
	v_add_co_u32 v3, s4, v1, s20
	v_add_co_ci_u32_e64 v4, s4, s21, v2, s4
	global_load_b64 v[3:4], v[3:4], off
.LBB108_62:
	s_or_b32 exec_lo, exec_lo, s5
	v_add_co_u32 v1, s4, v1, v14
	s_delay_alu instid0(VALU_DEP_1) | instskip(SKIP_3) | instid1(VALU_DEP_1)
	v_add_co_ci_u32_e64 v2, s4, 0, v2, s4
	s_waitcnt vmcnt(0)
	ds_store_b64 v0, v[3:4] offset:6336
	v_sub_co_u32 v1, s4, v1, s6
	v_subrev_co_ci_u32_e64 v2, s4, s7, v2, s4
	s_delay_alu instid0(VALU_DEP_2) | instskip(NEXT) | instid1(VALU_DEP_1)
	v_add_co_u32 v7, s4, 0x108, v1
	v_add_co_ci_u32_e64 v8, s4, 0, v2, s4
	s_delay_alu instid0(VALU_DEP_2) | instskip(NEXT) | instid1(VALU_DEP_2)
	v_dual_cndmask_b32 v23, v7, v23 :: v_dual_add_nc_u32 v6, 0x108, v10
	v_dual_cndmask_b32 v24, v8, v24 :: v_dual_add_nc_u32 v1, 0x210, v10
	v_add_nc_u32_e32 v2, 0x318, v10
.LBB108_63:
	v_lshlrev_b32_e32 v0, 3, v10
	v_lshlrev_b32_e32 v7, 3, v11
	s_waitcnt lgkmcnt(0)
	s_barrier
	buffer_gl0_inv
	ds_load_b64 v[3:4], v0
	ds_load_b64 v[7:8], v7 offset:9088
	v_lshlrev_b32_e32 v0, 3, v6
	v_lshlrev_b32_e32 v6, 3, v9
	;; [unrolled: 1-line block ×4, first 2 shown]
	ds_load_b64 v[9:10], v0
	ds_load_b64 v[14:15], v6 offset:9088
	v_lshlrev_b32_e32 v0, 3, v1
	v_lshlrev_b32_e32 v6, 3, v13
	s_waitcnt lgkmcnt(2)
	v_fma_f64 v[3:4], v[3:4], v[7:8], 0
	ds_load_b64 v[0:1], v0
	ds_load_b64 v[6:7], v6 offset:9088
	s_waitcnt lgkmcnt(2)
	v_fma_f64 v[3:4], v[9:10], v[14:15], v[3:4]
	ds_load_b64 v[8:9], v2
	ds_load_b64 v[10:11], v5 offset:9088
	s_waitcnt lgkmcnt(2)
	v_fma_f64 v[0:1], v[0:1], v[6:7], v[3:4]
	s_waitcnt lgkmcnt(0)
	s_delay_alu instid0(VALU_DEP_1)
	v_fma_f64 v[30:31], v[8:9], v[10:11], v[0:1]
	ds_load_b128 v[8:11], v12 offset:256
	ds_load_b128 v[0:3], v12 offset:272
	ds_load_2addr_b64 v[12:15], v29 offset1:1
	ds_load_2addr_b64 v[4:7], v29 offset0:2 offset1:3
	s_waitcnt lgkmcnt(0)
	s_barrier
	buffer_gl0_inv
	ds_store_b64 v28, v[30:31]
	s_waitcnt lgkmcnt(0)
	s_barrier
	buffer_gl0_inv
	s_and_saveexec_b32 s4, s1
	s_cbranch_execz .LBB108_65
; %bb.64:
	v_lshlrev_b32_e32 v37, 3, v27
	ds_load_2addr_b64 v[29:32], v37 offset1:1
	ds_load_2addr_b64 v[33:36], v37 offset0:2 offset1:3
	s_waitcnt lgkmcnt(1)
	v_add_f64 v[17:18], v[17:18], v[29:30]
	s_delay_alu instid0(VALU_DEP_1) | instskip(SKIP_1) | instid1(VALU_DEP_1)
	v_add_f64 v[17:18], v[17:18], v[31:32]
	s_waitcnt lgkmcnt(0)
	v_add_f64 v[17:18], v[17:18], v[33:34]
	s_delay_alu instid0(VALU_DEP_1) | instskip(SKIP_4) | instid1(VALU_DEP_1)
	v_add_f64 v[17:18], v[17:18], v[35:36]
	ds_load_2addr_b64 v[29:32], v37 offset0:4 offset1:5
	ds_load_2addr_b64 v[33:36], v37 offset0:6 offset1:7
	s_waitcnt lgkmcnt(1)
	v_add_f64 v[17:18], v[17:18], v[29:30]
	v_add_f64 v[17:18], v[17:18], v[31:32]
	s_waitcnt lgkmcnt(0)
	s_delay_alu instid0(VALU_DEP_1) | instskip(NEXT) | instid1(VALU_DEP_1)
	v_add_f64 v[17:18], v[17:18], v[33:34]
	v_add_f64 v[17:18], v[17:18], v[35:36]
.LBB108_65:
	s_or_b32 exec_lo, exec_lo, s4
	v_fma_f64 v[8:9], v[12:13], v[8:9], 0
	s_barrier
	buffer_gl0_inv
	v_fma_f64 v[8:9], v[14:15], v[10:11], v[8:9]
	s_delay_alu instid0(VALU_DEP_1) | instskip(NEXT) | instid1(VALU_DEP_1)
	v_fma_f64 v[0:1], v[4:5], v[0:1], v[8:9]
	v_fma_f64 v[0:1], v[6:7], v[2:3], v[0:1]
	ds_store_b64 v28, v[0:1]
	s_waitcnt lgkmcnt(0)
	s_barrier
	buffer_gl0_inv
	s_and_saveexec_b32 s1, s0
	s_cbranch_execz .LBB108_67
; %bb.66:
	v_lshlrev_b32_e32 v10, 3, v27
	ds_load_2addr_b64 v[0:3], v10 offset1:1
	ds_load_2addr_b64 v[4:7], v10 offset0:2 offset1:3
	s_waitcnt lgkmcnt(1)
	v_add_f64 v[0:1], v[17:18], v[0:1]
	s_delay_alu instid0(VALU_DEP_1) | instskip(SKIP_1) | instid1(VALU_DEP_1)
	v_add_f64 v[0:1], v[0:1], v[2:3]
	s_waitcnt lgkmcnt(0)
	v_add_f64 v[0:1], v[0:1], v[4:5]
	s_delay_alu instid0(VALU_DEP_1) | instskip(SKIP_4) | instid1(VALU_DEP_1)
	v_add_f64 v[8:9], v[0:1], v[6:7]
	ds_load_2addr_b64 v[0:3], v10 offset0:4 offset1:5
	ds_load_2addr_b64 v[4:7], v10 offset0:6 offset1:7
	s_waitcnt lgkmcnt(1)
	v_add_f64 v[0:1], v[8:9], v[0:1]
	v_add_f64 v[0:1], v[0:1], v[2:3]
	s_waitcnt lgkmcnt(0)
	s_delay_alu instid0(VALU_DEP_1) | instskip(NEXT) | instid1(VALU_DEP_1)
	v_add_f64 v[0:1], v[0:1], v[4:5]
	v_add_f64 v[17:18], v[0:1], v[6:7]
.LBB108_67:
	s_or_b32 exec_lo, exec_lo, s1
	s_mul_hi_u32 s0, s25, s15
	s_mul_i32 s27, s27, s15
	s_mul_i32 s1, s25, s15
	s_add_i32 s0, s0, s27
	s_mul_hi_u32 s5, s1, s26
	s_mul_i32 s4, s0, s26
	s_mul_i32 s0, s1, s26
	s_add_i32 s1, s5, s4
	s_mul_i32 s4, s14, s25
	s_lshl_b64 s[0:1], s[0:1], 3
	v_cmp_le_i32_e32 vcc_lo, s18, v25
	s_add_u32 s6, s10, s0
	s_addc_u32 s7, s11, s1
	s_ashr_i32 s5, s4, 31
	v_lshlrev_b32_e32 v72, 3, v25
	s_lshl_b64 s[0:1], s[4:5], 3
	s_delay_alu instid0(SALU_CYCLE_1)
	s_add_u32 s15, s6, s0
	s_addc_u32 s20, s7, s1
	s_and_b32 vcc_lo, s13, vcc_lo
	s_cmp_lt_i32 s14, 1
	s_barrier
	buffer_gl0_inv
	s_cbranch_scc1 .LBB108_74
; %bb.68:
	v_mul_lo_u32 v0, v71, s8
	v_sub_co_u32 v2, s0, v23, s16
	s_delay_alu instid0(VALU_DEP_1) | instskip(SKIP_1) | instid1(VALU_DEP_2)
	v_subrev_co_ci_u32_e64 v3, s0, s17, v24, s0
	s_mul_i32 s4, s12, s24
	v_sub_co_u32 v2, s0, v2, v21
	s_delay_alu instid0(VALU_DEP_4) | instskip(NEXT) | instid1(VALU_DEP_3)
	v_lshl_add_u32 v0, v0, 2, v25
	v_sub_co_ci_u32_e64 v3, s0, v3, v22, s0
	s_ashr_i32 s5, s4, 31
	s_ashr_i32 s19, s18, 31
	s_delay_alu instid0(VALU_DEP_2)
	v_ashrrev_i32_e32 v1, 31, v0
	s_lshl_b64 s[4:5], s[4:5], 3
	s_lshl_b64 s[6:7], s[18:19], 3
	v_and_b32_e32 v7, 48, v25
	v_lshrrev_b32_e32 v6, 4, v26
	v_lshlrev_b64 v[0:1], 3, v[0:1]
	v_add_nc_u32_e32 v75, 0x2180, v72
	v_lshl_add_u32 v80, v71, 5, 0x2180
	v_mad_u32_u24 v81, 0x860, v71, v72
	v_lshlrev_b32_e32 v8, 5, v6
	s_ashr_i32 s9, s8, 31
	v_add_co_u32 v0, s0, v2, v0
	s_delay_alu instid0(VALU_DEP_1) | instskip(SKIP_1) | instid1(VALU_DEP_2)
	v_add_co_ci_u32_e64 v1, s0, v3, v1, s0
	s_lshl_b32 s18, s24, 6
	v_sub_co_u32 v2, s0, v0, v72
	s_delay_alu instid0(VALU_DEP_1) | instskip(SKIP_1) | instid1(VALU_DEP_1)
	v_subrev_co_ci_u32_e64 v3, s0, 0, v1, s0
	v_sub_co_u32 v73, s0, v19, s4
	v_subrev_co_ci_u32_e64 v74, s0, s5, v20, s0
	s_delay_alu instid0(VALU_DEP_4) | instskip(NEXT) | instid1(VALU_DEP_1)
	v_add_co_u32 v2, s0, v2, s6
	v_add_co_ci_u32_e64 v3, s0, s7, v3, s0
	v_add_co_u32 v0, s0, 0xffffff00, v0
	s_delay_alu instid0(VALU_DEP_1) | instskip(NEXT) | instid1(VALU_DEP_4)
	v_add_co_ci_u32_e64 v4, s0, -1, v1, s0
	v_add_co_u32 v2, s0, 0xfffffef8, v2
	s_delay_alu instid0(VALU_DEP_1) | instskip(NEXT) | instid1(VALU_DEP_2)
	v_add_co_ci_u32_e64 v3, s0, -1, v3, s0
	v_dual_cndmask_b32 v2, v0, v2 :: v_dual_and_b32 v5, 15, v25
	v_dual_mov_b32 v1, 0 :: v_dual_lshlrev_b32 v0, 3, v7
	s_delay_alu instid0(VALU_DEP_3) | instskip(SKIP_2) | instid1(VALU_DEP_4)
	v_dual_cndmask_b32 v3, v4, v3 :: v_dual_add_nc_u32 v76, 0x2380, v72
	v_or_b32_e32 v4, 0x78, v72
	v_cmp_gt_u32_e64 s0, 64, v26
	v_mad_u32_u24 v77, 0x218, v5, v0
	v_lshlrev_b32_e32 v0, 3, v6
	v_mad_u32_u24 v79, 0x218, v5, v8
	v_mad_u32_u24 v78, 0x218, v5, v4
	s_lshl_b64 s[4:5], s[8:9], 3
	s_lshl_b64 s[6:7], s[8:9], 9
	v_mad_u32_u24 v82, 0x218, v5, v0
	v_or_b32_e32 v0, v7, v5
	s_lshl_b64 s[10:11], s[8:9], 4
	s_mul_hi_i32 s19, s8, 24
	s_mul_i32 s21, s8, 24
	s_mul_hi_i32 s22, s8, 0x90
	s_mul_i32 s23, s8, 0x90
	;; [unrolled: 2-line block ×10, first 2 shown]
	s_lshl_b64 s[12:13], s[8:9], 8
	s_mul_hi_i32 s41, s8, 0x88
	s_mul_i32 s42, s8, 0x88
	s_lshl_b64 s[8:9], s[8:9], 7
	s_mov_b32 s16, 0
	s_branch .LBB108_70
.LBB108_69:                             ;   in Loop: Header=BB108_70 Depth=1
	s_or_b32 exec_lo, exec_lo, s17
	v_fma_f64 v[4:5], v[4:5], v[12:13], v[17:18]
	v_add_co_u32 v2, s1, v2, s6
	s_delay_alu instid0(VALU_DEP_1)
	v_add_co_ci_u32_e64 v3, s1, s7, v3, s1
	v_add_nc_u32_e32 v0, 64, v0
	s_add_i32 s14, s14, -1
	s_add_i32 s16, s16, s18
	s_cmp_eq_u32 s14, 0
	s_waitcnt_vscnt null, 0x0
	s_barrier
	buffer_gl0_inv
	v_fma_f64 v[4:5], v[6:7], v[14:15], v[4:5]
	s_delay_alu instid0(VALU_DEP_1) | instskip(NEXT) | instid1(VALU_DEP_1)
	v_fma_f64 v[4:5], v[8:9], v[19:20], v[4:5]
	v_fma_f64 v[4:5], v[10:11], v[21:22], v[4:5]
	s_delay_alu instid0(VALU_DEP_1) | instskip(NEXT) | instid1(VALU_DEP_1)
	v_fma_f64 v[4:5], v[23:24], v[31:32], v[4:5]
	;; [unrolled: 3-line block ×7, first 2 shown]
	v_fma_f64 v[17:18], v[61:62], v[69:70], v[4:5]
	s_cbranch_scc1 .LBB108_74
.LBB108_70:                             ; =>This Inner Loop Header: Depth=1
	s_and_saveexec_b32 s43, s3
	s_cbranch_execz .LBB108_72
; %bb.71:                               ;   in Loop: Header=BB108_70 Depth=1
	s_ashr_i32 s17, s16, 31
	s_delay_alu instid0(SALU_CYCLE_1) | instskip(NEXT) | instid1(SALU_CYCLE_1)
	s_lshl_b64 s[44:45], s[16:17], 3
	v_add_co_u32 v4, s1, v73, s44
	s_delay_alu instid0(VALU_DEP_1)
	v_add_co_ci_u32_e64 v5, s1, s45, v74, s1
	global_load_b64 v[4:5], v[4:5], off
	s_waitcnt vmcnt(0)
	ds_store_b64 v75, v[4:5]
.LBB108_72:                             ;   in Loop: Header=BB108_70 Depth=1
	s_or_b32 exec_lo, exec_lo, s43
	v_add_co_u32 v6, s1, v2, s4
	s_delay_alu instid0(VALU_DEP_1) | instskip(SKIP_1) | instid1(VALU_DEP_1)
	v_add_co_ci_u32_e64 v7, s1, s5, v3, s1
	v_add_co_u32 v8, s1, v2, s10
	v_add_co_ci_u32_e64 v9, s1, s11, v3, s1
	v_add_co_u32 v10, s1, v2, s21
	s_waitcnt lgkmcnt(0)
	s_barrier
	buffer_gl0_inv
	global_load_b64 v[4:5], v[2:3], off
	v_add_co_ci_u32_e64 v11, s1, s19, v3, s1
	s_clause 0x2
	global_load_b64 v[6:7], v[6:7], off
	global_load_b64 v[8:9], v[8:9], off
	;; [unrolled: 1-line block ×3, first 2 shown]
	ds_load_b64 v[14:15], v76
	ds_load_b64 v[12:13], v80
	v_add_co_u32 v27, s1, v2, s8
	s_delay_alu instid0(VALU_DEP_1) | instskip(SKIP_1) | instid1(VALU_DEP_1)
	v_add_co_ci_u32_e64 v28, s1, s9, v3, s1
	v_add_co_u32 v29, s1, v2, s42
	v_add_co_ci_u32_e64 v30, s1, s41, v3, s1
	v_add_co_u32 v31, s1, v2, s23
	s_delay_alu instid0(VALU_DEP_1) | instskip(SKIP_1) | instid1(VALU_DEP_1)
	v_add_co_ci_u32_e64 v32, s1, s22, v3, s1
	v_add_co_u32 v33, s1, v2, s25
	v_add_co_ci_u32_e64 v34, s1, s24, v3, s1
	;; [unrolled: 5-line block ×6, first 2 shown]
	s_waitcnt vmcnt(3) lgkmcnt(1)
	v_mul_f64 v[19:20], v[4:5], v[14:15]
	s_waitcnt vmcnt(2)
	v_mul_f64 v[21:22], v[6:7], v[14:15]
	s_waitcnt vmcnt(1)
	;; [unrolled: 2-line block ×3, first 2 shown]
	v_mul_f64 v[25:26], v[10:11], v[14:15]
	ds_store_b64 v81, v[19:20]
	ds_load_b64 v[14:15], v80 offset:8
	ds_store_b64 v81, v[21:22] offset:536
	ds_load_b64 v[19:20], v80 offset:16
	ds_store_b64 v81, v[23:24] offset:1072
	ds_load_b64 v[21:22], v80 offset:24
	ds_store_b64 v81, v[25:26] offset:1608
	s_waitcnt lgkmcnt(0)
	s_barrier
	buffer_gl0_inv
	ds_load_2addr_b64 v[83:86], v79 offset1:1
	ds_load_2addr_b64 v[87:90], v79 offset0:2 offset1:3
	s_waitcnt lgkmcnt(0)
	s_barrier
	buffer_gl0_inv
	s_clause 0x3
	global_load_b64 v[23:24], v[27:28], off
	global_load_b64 v[25:26], v[29:30], off
	global_load_b64 v[27:28], v[31:32], off
	global_load_b64 v[29:30], v[33:34], off
	ds_load_b64 v[33:34], v76
	ds_load_b64 v[31:32], v80 offset:128
	v_add_f64 v[83:84], v[83:84], 0
	s_delay_alu instid0(VALU_DEP_1) | instskip(NEXT) | instid1(VALU_DEP_1)
	v_add_f64 v[83:84], v[83:84], v[85:86]
	v_add_f64 v[83:84], v[83:84], v[87:88]
	s_delay_alu instid0(VALU_DEP_1)
	v_add_f64 v[83:84], v[83:84], v[89:90]
	s_waitcnt vmcnt(2) lgkmcnt(1)
	v_mul_f64 v[37:38], v[25:26], v[33:34]
	v_mul_f64 v[35:36], v[23:24], v[33:34]
	s_waitcnt vmcnt(1)
	v_mul_f64 v[39:40], v[27:28], v[33:34]
	s_waitcnt vmcnt(0)
	v_mul_f64 v[41:42], v[29:30], v[33:34]
	ds_store_b64 v81, v[35:36]
	ds_load_b64 v[33:34], v80 offset:136
	ds_store_b64 v81, v[37:38] offset:536
	ds_load_b64 v[35:36], v80 offset:144
	ds_store_b64 v81, v[39:40] offset:1072
	ds_load_b64 v[37:38], v80 offset:152
	ds_store_b64 v81, v[41:42] offset:1608
	s_waitcnt lgkmcnt(0)
	s_barrier
	buffer_gl0_inv
	ds_load_2addr_b64 v[91:94], v79 offset1:1
	ds_load_2addr_b64 v[95:98], v79 offset0:2 offset1:3
	s_waitcnt lgkmcnt(0)
	s_barrier
	buffer_gl0_inv
	s_clause 0x3
	global_load_b64 v[39:40], v[43:44], off
	global_load_b64 v[41:42], v[45:46], off
	global_load_b64 v[43:44], v[47:48], off
	global_load_b64 v[45:46], v[49:50], off
	ds_load_b64 v[49:50], v76
	ds_load_b64 v[47:48], v80 offset:256
	v_add_f64 v[91:92], v[91:92], 0
	s_delay_alu instid0(VALU_DEP_1) | instskip(NEXT) | instid1(VALU_DEP_1)
	v_add_f64 v[85:86], v[91:92], v[93:94]
	v_add_f64 v[85:86], v[85:86], v[95:96]
	s_delay_alu instid0(VALU_DEP_1)
	v_add_f64 v[85:86], v[85:86], v[97:98]
	s_waitcnt vmcnt(2) lgkmcnt(1)
	v_mul_f64 v[53:54], v[41:42], v[49:50]
	v_mul_f64 v[51:52], v[39:40], v[49:50]
	s_waitcnt vmcnt(1)
	v_mul_f64 v[55:56], v[43:44], v[49:50]
	s_waitcnt vmcnt(0)
	;; [unrolled: 35-line block ×3, first 2 shown]
	v_mul_f64 v[109:110], v[61:62], v[65:66]
	ds_store_b64 v81, v[67:68]
	ds_load_b64 v[65:66], v80 offset:392
	ds_store_b64 v81, v[69:70] offset:536
	ds_load_b64 v[67:68], v80 offset:400
	ds_store_b64 v81, v[107:108] offset:1072
	;; [unrolled: 2-line block ×3, first 2 shown]
	s_waitcnt lgkmcnt(0)
	s_barrier
	buffer_gl0_inv
	ds_load_2addr_b64 v[107:110], v79 offset1:1
	ds_load_2addr_b64 v[111:114], v79 offset0:2 offset1:3
	s_waitcnt lgkmcnt(0)
	s_barrier
	buffer_gl0_inv
	v_add_f64 v[107:108], v[107:108], 0
	s_delay_alu instid0(VALU_DEP_1) | instskip(NEXT) | instid1(VALU_DEP_1)
	v_add_f64 v[93:94], v[107:108], v[109:110]
	v_add_f64 v[91:92], v[93:94], v[111:112]
	s_delay_alu instid0(VALU_DEP_1)
	v_add_f64 v[89:90], v[91:92], v[113:114]
	ds_store_2addr_b64 v82, v[83:84], v[85:86] offset1:16
	ds_store_2addr_b64 v82, v[87:88], v[89:90] offset0:32 offset1:48
	s_waitcnt lgkmcnt(0)
	s_barrier
	buffer_gl0_inv
	s_and_saveexec_b32 s17, s0
	s_cbranch_execz .LBB108_69
; %bb.73:                               ;   in Loop: Header=BB108_70 Depth=1
	ds_load_2addr_b64 v[83:86], v77 offset1:1
	ds_load_2addr_b64 v[87:90], v77 offset0:2 offset1:3
	s_waitcnt lgkmcnt(1)
	v_add_f64 v[83:84], v[83:84], v[85:86]
	s_waitcnt lgkmcnt(0)
	s_delay_alu instid0(VALU_DEP_1) | instskip(NEXT) | instid1(VALU_DEP_1)
	v_add_f64 v[83:84], v[83:84], v[87:88]
	v_add_f64 v[91:92], v[83:84], v[89:90]
	ds_load_2addr_b64 v[83:86], v77 offset0:4 offset1:5
	ds_load_2addr_b64 v[87:90], v77 offset0:6 offset1:7
	s_waitcnt lgkmcnt(1)
	v_add_f64 v[83:84], v[91:92], v[83:84]
	s_delay_alu instid0(VALU_DEP_1) | instskip(SKIP_1) | instid1(VALU_DEP_1)
	v_add_f64 v[83:84], v[83:84], v[85:86]
	s_waitcnt lgkmcnt(0)
	v_add_f64 v[83:84], v[83:84], v[87:88]
	s_delay_alu instid0(VALU_DEP_1) | instskip(SKIP_4) | instid1(VALU_DEP_1)
	v_add_f64 v[91:92], v[83:84], v[89:90]
	ds_load_2addr_b64 v[83:86], v77 offset0:8 offset1:9
	ds_load_2addr_b64 v[87:90], v77 offset0:10 offset1:11
	s_waitcnt lgkmcnt(1)
	v_add_f64 v[83:84], v[91:92], v[83:84]
	v_add_f64 v[83:84], v[83:84], v[85:86]
	s_waitcnt lgkmcnt(0)
	s_delay_alu instid0(VALU_DEP_1) | instskip(NEXT) | instid1(VALU_DEP_1)
	v_add_f64 v[83:84], v[83:84], v[87:88]
	v_add_f64 v[87:88], v[83:84], v[89:90]
	ds_load_2addr_b64 v[83:86], v77 offset0:12 offset1:13
	ds_load_b64 v[89:90], v77 offset:112
	s_waitcnt lgkmcnt(1)
	v_add_f64 v[83:84], v[87:88], v[83:84]
	s_delay_alu instid0(VALU_DEP_1) | instskip(SKIP_4) | instid1(VALU_DEP_1)
	v_add_f64 v[83:84], v[83:84], v[85:86]
	ds_load_b64 v[85:86], v78
	s_waitcnt lgkmcnt(1)
	v_add_f64 v[83:84], v[83:84], v[89:90]
	s_waitcnt lgkmcnt(0)
	v_add_f64 v[83:84], v[83:84], v[85:86]
	v_lshlrev_b64 v[85:86], 3, v[0:1]
	s_delay_alu instid0(VALU_DEP_1) | instskip(NEXT) | instid1(VALU_DEP_1)
	v_add_co_u32 v85, s1, s15, v85
	v_add_co_ci_u32_e64 v86, s1, s20, v86, s1
	global_store_b64 v[85:86], v[83:84], off
	s_branch .LBB108_69
.LBB108_74:
	v_mad_u32_u24 v0, 0x218, v71, v72
	s_or_b32 s0, s2, vcc_lo
	s_delay_alu instid0(SALU_CYCLE_1)
	s_xor_b32 s0, s0, -1
	ds_store_b64 v0, v[17:18]
	s_waitcnt lgkmcnt(0)
	s_barrier
	buffer_gl0_inv
	s_and_saveexec_b32 s1, s0
	s_cbranch_execz .LBB108_76
; %bb.75:
	ds_load_2addr_b64 v[0:3], v72 offset1:67
	v_ashrrev_i32_e32 v17, 31, v16
	s_waitcnt lgkmcnt(0)
	v_add_f64 v[4:5], v[0:1], v[2:3]
	ds_load_2addr_b64 v[0:3], v72 offset0:134 offset1:201
	s_waitcnt lgkmcnt(0)
	v_add_f64 v[0:1], v[4:5], v[0:1]
	s_delay_alu instid0(VALU_DEP_1) | instskip(SKIP_1) | instid1(VALU_DEP_1)
	v_add_f64 v[0:1], v[0:1], v[2:3]
	v_lshlrev_b64 v[2:3], 3, v[16:17]
	v_add_co_u32 v2, vcc_lo, s15, v2
	s_delay_alu instid0(VALU_DEP_2)
	v_add_co_ci_u32_e32 v3, vcc_lo, s20, v3, vcc_lo
	global_store_b64 v[2:3], v[0:1], off
.LBB108_76:
	s_nop 0
	s_sendmsg sendmsg(MSG_DEALLOC_VGPRS)
	s_endpgm
	.section	.rodata,"a",@progbits
	.p2align	6, 0x0
	.amdhsa_kernel _ZL26rocblas_hemvn_kernel_lowerILb0ELi64ELi4ELi33ELi32ELi16EiPKdS1_PdEviT6_lT7_lT5_lS4_lS5_lS3_lT8_i
		.amdhsa_group_segment_fixed_size 9600
		.amdhsa_private_segment_fixed_size 0
		.amdhsa_kernarg_size 376
		.amdhsa_user_sgpr_count 14
		.amdhsa_user_sgpr_dispatch_ptr 0
		.amdhsa_user_sgpr_queue_ptr 0
		.amdhsa_user_sgpr_kernarg_segment_ptr 1
		.amdhsa_user_sgpr_dispatch_id 0
		.amdhsa_user_sgpr_private_segment_size 0
		.amdhsa_wavefront_size32 1
		.amdhsa_uses_dynamic_stack 0
		.amdhsa_enable_private_segment 0
		.amdhsa_system_sgpr_workgroup_id_x 1
		.amdhsa_system_sgpr_workgroup_id_y 0
		.amdhsa_system_sgpr_workgroup_id_z 1
		.amdhsa_system_sgpr_workgroup_info 0
		.amdhsa_system_vgpr_workitem_id 1
		.amdhsa_next_free_vgpr 115
		.amdhsa_next_free_sgpr 46
		.amdhsa_reserve_vcc 1
		.amdhsa_float_round_mode_32 0
		.amdhsa_float_round_mode_16_64 0
		.amdhsa_float_denorm_mode_32 3
		.amdhsa_float_denorm_mode_16_64 3
		.amdhsa_dx10_clamp 1
		.amdhsa_ieee_mode 1
		.amdhsa_fp16_overflow 0
		.amdhsa_workgroup_processor_mode 1
		.amdhsa_memory_ordered 1
		.amdhsa_forward_progress 0
		.amdhsa_shared_vgpr_count 0
		.amdhsa_exception_fp_ieee_invalid_op 0
		.amdhsa_exception_fp_denorm_src 0
		.amdhsa_exception_fp_ieee_div_zero 0
		.amdhsa_exception_fp_ieee_overflow 0
		.amdhsa_exception_fp_ieee_underflow 0
		.amdhsa_exception_fp_ieee_inexact 0
		.amdhsa_exception_int_div_zero 0
	.end_amdhsa_kernel
	.section	.text._ZL26rocblas_hemvn_kernel_lowerILb0ELi64ELi4ELi33ELi32ELi16EiPKdS1_PdEviT6_lT7_lT5_lS4_lS5_lS3_lT8_i,"axG",@progbits,_ZL26rocblas_hemvn_kernel_lowerILb0ELi64ELi4ELi33ELi32ELi16EiPKdS1_PdEviT6_lT7_lT5_lS4_lS5_lS3_lT8_i,comdat
.Lfunc_end108:
	.size	_ZL26rocblas_hemvn_kernel_lowerILb0ELi64ELi4ELi33ELi32ELi16EiPKdS1_PdEviT6_lT7_lT5_lS4_lS5_lS3_lT8_i, .Lfunc_end108-_ZL26rocblas_hemvn_kernel_lowerILb0ELi64ELi4ELi33ELi32ELi16EiPKdS1_PdEviT6_lT7_lT5_lS4_lS5_lS3_lT8_i
                                        ; -- End function
	.section	.AMDGPU.csdata,"",@progbits
; Kernel info:
; codeLenInByte = 7152
; NumSgprs: 48
; NumVgprs: 115
; ScratchSize: 0
; MemoryBound: 0
; FloatMode: 240
; IeeeMode: 1
; LDSByteSize: 9600 bytes/workgroup (compile time only)
; SGPRBlocks: 5
; VGPRBlocks: 14
; NumSGPRsForWavesPerEU: 48
; NumVGPRsForWavesPerEU: 115
; Occupancy: 12
; WaveLimiterHint : 1
; COMPUTE_PGM_RSRC2:SCRATCH_EN: 0
; COMPUTE_PGM_RSRC2:USER_SGPR: 14
; COMPUTE_PGM_RSRC2:TRAP_HANDLER: 0
; COMPUTE_PGM_RSRC2:TGID_X_EN: 1
; COMPUTE_PGM_RSRC2:TGID_Y_EN: 0
; COMPUTE_PGM_RSRC2:TGID_Z_EN: 1
; COMPUTE_PGM_RSRC2:TIDIG_COMP_CNT: 1
	.section	.text._ZL36rocblas_hemvn_kernel_lower_block_sumILi64EiPKdPddEviT1_lS3_lT2_lT0_lPT3_i,"axG",@progbits,_ZL36rocblas_hemvn_kernel_lower_block_sumILi64EiPKdPddEviT1_lS3_lT2_lT0_lPT3_i,comdat
	.globl	_ZL36rocblas_hemvn_kernel_lower_block_sumILi64EiPKdPddEviT1_lS3_lT2_lT0_lPT3_i ; -- Begin function _ZL36rocblas_hemvn_kernel_lower_block_sumILi64EiPKdPddEviT1_lS3_lT2_lT0_lPT3_i
	.p2align	8
	.type	_ZL36rocblas_hemvn_kernel_lower_block_sumILi64EiPKdPddEviT1_lS3_lT2_lT0_lPT3_i,@function
_ZL36rocblas_hemvn_kernel_lower_block_sumILi64EiPKdPddEviT1_lS3_lT2_lT0_lPT3_i: ; @_ZL36rocblas_hemvn_kernel_lower_block_sumILi64EiPKdPddEviT1_lS3_lT2_lT0_lPT3_i
; %bb.0:
	s_load_b256 s[4:11], s[0:1], 0x8
	s_waitcnt lgkmcnt(0)
	s_mul_i32 s3, s15, s7
	s_mul_hi_u32 s7, s15, s6
	s_mul_i32 s2, s15, s6
	s_add_i32 s3, s7, s3
	s_mul_i32 s6, s15, s11
	s_lshl_b64 s[2:3], s[2:3], 3
	s_mul_hi_u32 s7, s15, s10
	s_add_u32 s2, s4, s2
	s_addc_u32 s3, s5, s3
	s_add_i32 s5, s7, s6
	s_mul_i32 s4, s15, s10
	s_delay_alu instid0(SALU_CYCLE_1) | instskip(NEXT) | instid1(SALU_CYCLE_1)
	s_lshl_b64 s[4:5], s[4:5], 3
	s_add_u32 s6, s8, s4
	s_addc_u32 s7, s9, s5
	s_load_b64 s[4:5], s[2:3], 0x0
	s_load_b64 s[6:7], s[6:7], 0x0
	s_waitcnt lgkmcnt(0)
	v_cmp_eq_f64_e64 s2, s[4:5], 0
	v_cmp_eq_f64_e64 s3, s[6:7], 1.0
	s_delay_alu instid0(VALU_DEP_1) | instskip(NEXT) | instid1(SALU_CYCLE_1)
	s_and_b32 s2, s2, s3
	s_and_b32 vcc_lo, exec_lo, s2
	s_cbranch_vccnz .LBB109_19
; %bb.1:
	v_cmp_neq_f64_e64 s9, s[4:5], 0
	s_clause 0x3
	s_load_b64 s[2:3], s[0:1], 0x40
	s_load_b128 s[16:19], s[0:1], 0x28
	s_load_b32 s12, s[0:1], 0x38
	s_load_b32 s8, s[0:1], 0x0
	v_lshl_or_b32 v0, s14, 6, v0
	s_waitcnt lgkmcnt(0)
	s_mul_i32 s3, s15, s3
	s_mul_hi_u32 s10, s15, s2
	s_mul_i32 s2, s15, s2
	s_add_i32 s3, s10, s3
	s_delay_alu instid0(SALU_CYCLE_1) | instskip(NEXT) | instid1(SALU_CYCLE_1)
	s_lshl_b64 s[2:3], s[2:3], 3
	s_add_u32 s2, s16, s2
	s_addc_u32 s13, s17, s3
	s_lshl_b64 s[10:11], s[18:19], 3
	s_delay_alu instid0(SALU_CYCLE_1) | instskip(SKIP_3) | instid1(VALU_DEP_3)
	s_add_u32 s3, s2, s10
	v_cmp_gt_i32_e64 s2, s8, v0
	s_addc_u32 s10, s13, s11
	s_mov_b32 s11, 0
	s_and_b32 vcc_lo, exec_lo, s9
	s_cbranch_vccnz .LBB109_6
; %bb.2:
	s_mov_b32 s9, 0
                                        ; implicit-def: $vgpr3_vgpr4
                                        ; implicit-def: $vgpr1_vgpr2
	s_and_saveexec_b32 s13, s2
	s_cbranch_execz .LBB109_7
; %bb.3:
	v_cmp_eq_f64_e64 s2, s[6:7], 0
	v_mul_lo_u32 v1, v0, s12
	v_mov_b32_e32 v3, 0
	v_mov_b32_e32 v4, 0
	s_delay_alu instid0(VALU_DEP_3)
	v_ashrrev_i32_e32 v2, 31, v1
	s_and_b32 vcc_lo, exec_lo, s2
	s_cbranch_vccnz .LBB109_5
; %bb.4:
	s_delay_alu instid0(VALU_DEP_1) | instskip(NEXT) | instid1(VALU_DEP_1)
	v_lshlrev_b64 v[3:4], 3, v[1:2]
	v_add_co_u32 v3, vcc_lo, s3, v3
	s_delay_alu instid0(VALU_DEP_2)
	v_add_co_ci_u32_e32 v4, vcc_lo, s10, v4, vcc_lo
	global_load_b64 v[3:4], v[3:4], off
	s_waitcnt vmcnt(0)
	v_mul_f64 v[3:4], s[6:7], v[3:4]
.LBB109_5:
	s_mov_b32 s11, exec_lo
	s_or_b32 exec_lo, exec_lo, s13
	s_delay_alu instid0(SALU_CYCLE_1)
	s_and_b32 vcc_lo, exec_lo, s9
	s_cbranch_vccnz .LBB109_8
	s_branch .LBB109_17
.LBB109_6:
                                        ; implicit-def: $vgpr3_vgpr4
                                        ; implicit-def: $vgpr1_vgpr2
	s_cbranch_execnz .LBB109_8
	s_branch .LBB109_17
.LBB109_7:
	s_or_b32 exec_lo, exec_lo, s13
	s_delay_alu instid0(SALU_CYCLE_1)
	s_and_b32 vcc_lo, exec_lo, s9
	s_cbranch_vccz .LBB109_17
.LBB109_8:
	s_mov_b32 s2, exec_lo
                                        ; implicit-def: $vgpr3_vgpr4
                                        ; implicit-def: $vgpr1_vgpr2
	v_cmpx_gt_i32_e64 s8, v0
	s_cbranch_execz .LBB109_16
; %bb.9:
	s_load_b32 s13, s[0:1], 0x58
	v_mov_b32_e32 v5, 0
	v_mov_b32_e32 v6, 0
	s_waitcnt lgkmcnt(0)
	s_cmp_ge_i32 s14, s13
	s_cbranch_scc1 .LBB109_12
; %bb.10:
	s_load_b64 s[0:1], s[0:1], 0x48
	v_mad_u64_u32 v[1:2], null, s14, s8, v[0:1]
	s_ashr_i32 s9, s8, 31
	s_mul_hi_u32 s16, s8, s15
	s_mul_i32 s17, s9, s15
	s_mul_i32 s15, s8, s15
	s_add_i32 s16, s16, s17
	s_mul_hi_u32 s17, s15, s13
	s_delay_alu instid0(VALU_DEP_1)
	v_ashrrev_i32_e32 v2, 31, v1
	s_mul_i32 s18, s16, s13
	s_mul_i32 s16, s15, s13
	s_add_i32 s17, s17, s18
	v_mov_b32_e32 v5, 0
	v_lshlrev_b64 v[1:2], 3, v[1:2]
	s_lshl_b64 s[16:17], s[16:17], 3
	v_mov_b32_e32 v6, 0
	s_waitcnt lgkmcnt(0)
	s_add_u32 s0, s0, s16
	s_addc_u32 s1, s1, s17
	v_add_co_u32 v1, vcc_lo, s0, v1
	v_add_co_ci_u32_e32 v2, vcc_lo, s1, v2, vcc_lo
	s_lshl_b64 s[0:1], s[8:9], 3
.LBB109_11:                             ; =>This Inner Loop Header: Depth=1
	global_load_b64 v[3:4], v[1:2], off
	v_add_co_u32 v1, vcc_lo, v1, s0
	v_add_co_ci_u32_e32 v2, vcc_lo, s1, v2, vcc_lo
	s_add_i32 s14, s14, 1
	s_delay_alu instid0(SALU_CYCLE_1)
	s_cmp_ge_i32 s14, s13
	s_waitcnt vmcnt(0)
	v_add_f64 v[5:6], v[5:6], v[3:4]
	s_cbranch_scc0 .LBB109_11
.LBB109_12:
	v_cmp_eq_f64_e64 s0, s[6:7], 0
	v_mul_lo_u32 v1, v0, s12
	s_delay_alu instid0(VALU_DEP_1) | instskip(NEXT) | instid1(VALU_DEP_3)
	v_ashrrev_i32_e32 v2, 31, v1
	s_and_b32 vcc_lo, exec_lo, s0
	s_cbranch_vccz .LBB109_20
; %bb.13:
	s_delay_alu instid0(VALU_DEP_4)
	v_mul_f64 v[3:4], s[4:5], v[5:6]
	s_cbranch_execnz .LBB109_15
.LBB109_14:
	s_delay_alu instid0(VALU_DEP_1) | instskip(NEXT) | instid1(VALU_DEP_1)
	v_lshlrev_b64 v[3:4], 3, v[1:2]
	v_add_co_u32 v3, vcc_lo, s3, v3
	s_delay_alu instid0(VALU_DEP_2) | instskip(SKIP_3) | instid1(VALU_DEP_1)
	v_add_co_ci_u32_e32 v4, vcc_lo, s10, v4, vcc_lo
	global_load_b64 v[3:4], v[3:4], off
	s_waitcnt vmcnt(0)
	v_mul_f64 v[3:4], s[6:7], v[3:4]
	v_fma_f64 v[3:4], s[4:5], v[5:6], v[3:4]
.LBB109_15:
	s_or_b32 s11, s11, exec_lo
.LBB109_16:
	s_or_b32 exec_lo, exec_lo, s2
.LBB109_17:
	s_and_saveexec_b32 s0, s11
	s_cbranch_execz .LBB109_19
; %bb.18:
	v_lshlrev_b64 v[0:1], 3, v[1:2]
	s_delay_alu instid0(VALU_DEP_1) | instskip(NEXT) | instid1(VALU_DEP_2)
	v_add_co_u32 v0, vcc_lo, s3, v0
	v_add_co_ci_u32_e32 v1, vcc_lo, s10, v1, vcc_lo
	global_store_b64 v[0:1], v[3:4], off
.LBB109_19:
	s_nop 0
	s_sendmsg sendmsg(MSG_DEALLOC_VGPRS)
	s_endpgm
.LBB109_20:
                                        ; implicit-def: $vgpr3_vgpr4
	s_branch .LBB109_14
	.section	.rodata,"a",@progbits
	.p2align	6, 0x0
	.amdhsa_kernel _ZL36rocblas_hemvn_kernel_lower_block_sumILi64EiPKdPddEviT1_lS3_lT2_lT0_lPT3_i
		.amdhsa_group_segment_fixed_size 0
		.amdhsa_private_segment_fixed_size 0
		.amdhsa_kernarg_size 344
		.amdhsa_user_sgpr_count 14
		.amdhsa_user_sgpr_dispatch_ptr 0
		.amdhsa_user_sgpr_queue_ptr 0
		.amdhsa_user_sgpr_kernarg_segment_ptr 1
		.amdhsa_user_sgpr_dispatch_id 0
		.amdhsa_user_sgpr_private_segment_size 0
		.amdhsa_wavefront_size32 1
		.amdhsa_uses_dynamic_stack 0
		.amdhsa_enable_private_segment 0
		.amdhsa_system_sgpr_workgroup_id_x 1
		.amdhsa_system_sgpr_workgroup_id_y 0
		.amdhsa_system_sgpr_workgroup_id_z 1
		.amdhsa_system_sgpr_workgroup_info 0
		.amdhsa_system_vgpr_workitem_id 0
		.amdhsa_next_free_vgpr 7
		.amdhsa_next_free_sgpr 20
		.amdhsa_reserve_vcc 1
		.amdhsa_float_round_mode_32 0
		.amdhsa_float_round_mode_16_64 0
		.amdhsa_float_denorm_mode_32 3
		.amdhsa_float_denorm_mode_16_64 3
		.amdhsa_dx10_clamp 1
		.amdhsa_ieee_mode 1
		.amdhsa_fp16_overflow 0
		.amdhsa_workgroup_processor_mode 1
		.amdhsa_memory_ordered 1
		.amdhsa_forward_progress 0
		.amdhsa_shared_vgpr_count 0
		.amdhsa_exception_fp_ieee_invalid_op 0
		.amdhsa_exception_fp_denorm_src 0
		.amdhsa_exception_fp_ieee_div_zero 0
		.amdhsa_exception_fp_ieee_overflow 0
		.amdhsa_exception_fp_ieee_underflow 0
		.amdhsa_exception_fp_ieee_inexact 0
		.amdhsa_exception_int_div_zero 0
	.end_amdhsa_kernel
	.section	.text._ZL36rocblas_hemvn_kernel_lower_block_sumILi64EiPKdPddEviT1_lS3_lT2_lT0_lPT3_i,"axG",@progbits,_ZL36rocblas_hemvn_kernel_lower_block_sumILi64EiPKdPddEviT1_lS3_lT2_lT0_lPT3_i,comdat
.Lfunc_end109:
	.size	_ZL36rocblas_hemvn_kernel_lower_block_sumILi64EiPKdPddEviT1_lS3_lT2_lT0_lPT3_i, .Lfunc_end109-_ZL36rocblas_hemvn_kernel_lower_block_sumILi64EiPKdPddEviT1_lS3_lT2_lT0_lPT3_i
                                        ; -- End function
	.section	.AMDGPU.csdata,"",@progbits
; Kernel info:
; codeLenInByte = 764
; NumSgprs: 22
; NumVgprs: 7
; ScratchSize: 0
; MemoryBound: 0
; FloatMode: 240
; IeeeMode: 1
; LDSByteSize: 0 bytes/workgroup (compile time only)
; SGPRBlocks: 2
; VGPRBlocks: 0
; NumSGPRsForWavesPerEU: 22
; NumVGPRsForWavesPerEU: 7
; Occupancy: 16
; WaveLimiterHint : 0
; COMPUTE_PGM_RSRC2:SCRATCH_EN: 0
; COMPUTE_PGM_RSRC2:USER_SGPR: 14
; COMPUTE_PGM_RSRC2:TRAP_HANDLER: 0
; COMPUTE_PGM_RSRC2:TGID_X_EN: 1
; COMPUTE_PGM_RSRC2:TGID_Y_EN: 0
; COMPUTE_PGM_RSRC2:TGID_Z_EN: 1
; COMPUTE_PGM_RSRC2:TIDIG_COMP_CNT: 0
	.section	.text._ZL26rocblas_hemvn_kernel_lowerILb0ELi64ELi4ELi33ELi32ELi16EldPKdPdEviT6_lT7_lT5_lS4_lS5_lS3_lT8_i,"axG",@progbits,_ZL26rocblas_hemvn_kernel_lowerILb0ELi64ELi4ELi33ELi32ELi16EldPKdPdEviT6_lT7_lT5_lS4_lS5_lS3_lT8_i,comdat
	.globl	_ZL26rocblas_hemvn_kernel_lowerILb0ELi64ELi4ELi33ELi32ELi16EldPKdPdEviT6_lT7_lT5_lS4_lS5_lS3_lT8_i ; -- Begin function _ZL26rocblas_hemvn_kernel_lowerILb0ELi64ELi4ELi33ELi32ELi16EldPKdPdEviT6_lT7_lT5_lS4_lS5_lS3_lT8_i
	.p2align	8
	.type	_ZL26rocblas_hemvn_kernel_lowerILb0ELi64ELi4ELi33ELi32ELi16EldPKdPdEviT6_lT7_lT5_lS4_lS5_lS3_lT8_i,@function
_ZL26rocblas_hemvn_kernel_lowerILb0ELi64ELi4ELi33ELi32ELi16EldPKdPdEviT6_lT7_lT5_lS4_lS5_lS3_lT8_i: ; @_ZL26rocblas_hemvn_kernel_lowerILb0ELi64ELi4ELi33ELi32ELi16EldPKdPdEviT6_lT7_lT5_lS4_lS5_lS3_lT8_i
; %bb.0:
	s_load_b64 s[4:5], s[0:1], 0x84
	s_add_u32 s2, s0, 0x78
	s_addc_u32 s3, s1, 0
	s_waitcnt lgkmcnt(0)
	s_lshr_b32 s6, s4, 16
	s_and_b32 s4, s4, 0xffff
	s_and_b32 s5, s5, 0xffff
	s_mul_i32 s4, s6, s4
	s_delay_alu instid0(SALU_CYCLE_1) | instskip(NEXT) | instid1(SALU_CYCLE_1)
	s_mul_i32 s4, s4, s5
	s_cmpk_lg_i32 s4, 0x100
	s_cbranch_scc1 .LBB110_76
; %bb.1:
	s_clause 0x1
	s_load_b64 s[4:5], s[0:1], 0x8
	s_load_b64 s[6:7], s[0:1], 0x58
	s_waitcnt lgkmcnt(0)
	v_cmp_eq_f64_e64 s4, s[4:5], 0
	v_cmp_eq_f64_e64 s5, s[6:7], 1.0
	s_delay_alu instid0(VALU_DEP_1) | instskip(NEXT) | instid1(SALU_CYCLE_1)
	s_and_b32 s5, s4, s5
	s_and_b32 vcc_lo, exec_lo, s5
	s_cbranch_vccnz .LBB110_76
; %bb.2:
	s_and_b32 vcc_lo, exec_lo, s4
	s_cbranch_vccnz .LBB110_76
; %bb.3:
	s_load_b512 s[16:31], s[0:1], 0x18
	v_and_b32_e32 v26, 0x3ff, v0
	v_bfe_u32 v72, v0, 10, 10
	s_waitcnt lgkmcnt(0)
	s_mul_i32 s5, s15, s31
	s_mul_hi_u32 s6, s15, s30
	s_mul_i32 s4, s15, s30
	s_add_i32 s5, s6, s5
	s_load_b32 s30, s[0:1], 0x0
	s_lshl_b64 s[4:5], s[4:5], 3
	s_delay_alu instid0(SALU_CYCLE_1)
	s_add_u32 s6, s24, s4
	s_addc_u32 s7, s25, s5
	s_lshl_b64 s[4:5], s[26:27], 3
	s_load_b32 s26, s[2:3], 0x0
	s_add_u32 s4, s6, s4
	s_addc_u32 s5, s7, s5
	s_lshl_b32 s12, s14, 6
	s_delay_alu instid0(SALU_CYCLE_1) | instskip(NEXT) | instid1(VALU_DEP_1)
	v_add_nc_u32_e32 v16, s12, v26
	v_ashrrev_i32_e32 v17, 31, v16
	v_mul_lo_u32 v3, v16, s29
	v_mad_u64_u32 v[1:2], null, v16, s28, 0
	s_waitcnt lgkmcnt(0)
	s_ashr_i32 s27, s30, 31
	v_mul_lo_u32 v4, v17, s28
	s_lshr_b32 s2, s27, 26
	s_delay_alu instid0(SALU_CYCLE_1) | instskip(SKIP_4) | instid1(VALU_DEP_2)
	s_add_i32 s3, s30, s2
	v_cmp_ne_u32_e64 s2, 0, v72
	s_and_not1_b32 s3, s3, 63
	s_add_i32 s6, s26, -1
	s_sub_i32 s7, s30, s3
	v_add3_u32 v2, v2, v3, v4
	v_cmp_eq_u32_e64 s3, 0, v72
	s_cmp_eq_u32 s14, s6
	s_cselect_b32 s24, s7, 0
	s_delay_alu instid0(VALU_DEP_2) | instskip(NEXT) | instid1(VALU_DEP_1)
	v_lshlrev_b64 v[0:1], 3, v[1:2]
	v_add_co_u32 v20, vcc_lo, s4, v0
	s_delay_alu instid0(VALU_DEP_2)
	v_add_co_ci_u32_e32 v21, vcc_lo, s5, v1, vcc_lo
	s_and_saveexec_b32 s4, s3
	s_cbranch_execz .LBB110_7
; %bb.4:
	v_cmp_gt_i32_e32 vcc_lo, s24, v26
	s_cmp_eq_u32 s24, 0
	v_mov_b32_e32 v0, 0
	v_mov_b32_e32 v1, 0
	s_cselect_b32 s5, -1, 0
	s_delay_alu instid0(SALU_CYCLE_1) | instskip(NEXT) | instid1(SALU_CYCLE_1)
	s_or_b32 s6, s5, vcc_lo
	s_and_saveexec_b32 s5, s6
	s_cbranch_execz .LBB110_6
; %bb.5:
	global_load_b64 v[0:1], v[20:21], off
.LBB110_6:
	s_or_b32 exec_lo, exec_lo, s5
	v_lshlrev_b32_e32 v2, 3, v26
	s_waitcnt vmcnt(0)
	ds_store_b64 v2, v[0:1] offset:9088
.LBB110_7:
	s_or_b32 exec_lo, exec_lo, s4
	v_lshl_add_u32 v27, v72, 6, v26
	v_dual_mov_b32 v1, 0 :: v_dual_and_b32 v0, 31, v26
	s_mul_i32 s5, s15, s23
	s_mul_hi_u32 s6, s15, s22
	s_delay_alu instid0(VALU_DEP_2)
	v_lshrrev_b32_e32 v11, 5, v27
	s_mul_i32 s4, s15, s22
	s_add_i32 s5, s6, s5
	s_mul_i32 s8, s12, s21
	s_lshl_b64 s[4:5], s[4:5], 3
	v_mad_u64_u32 v[2:3], null, v11, s20, v[0:1]
	s_add_u32 s6, s16, s4
	s_addc_u32 s7, s17, s5
	s_lshl_b64 s[4:5], s[18:19], 3
	s_mul_hi_u32 s9, s12, s20
	s_add_u32 s6, s6, s4
	s_addc_u32 s7, s7, s5
	s_delay_alu instid0(VALU_DEP_1) | instskip(SKIP_1) | instid1(SALU_CYCLE_1)
	v_mov_b32_e32 v1, v3
	s_ashr_i32 s13, s12, 31
	s_lshl_b64 s[4:5], s[12:13], 3
	s_mul_i32 s10, s13, s20
	s_delay_alu instid0(VALU_DEP_1)
	v_mad_u64_u32 v[3:4], null, v11, s21, v[1:2]
	s_add_u32 s6, s6, s4
	s_addc_u32 s7, s7, s5
	s_add_i32 s5, s9, s8
	s_mul_i32 s4, s12, s20
	s_add_i32 s5, s5, s10
	s_delay_alu instid0(SALU_CYCLE_1) | instskip(NEXT) | instid1(VALU_DEP_1)
	s_lshl_b64 s[16:17], s[4:5], 3
	v_lshlrev_b64 v[22:23], 3, v[2:3]
	s_add_u32 s4, s16, s6
	s_addc_u32 s5, s17, s7
	s_cmp_lg_u32 s24, 0
	s_cselect_b32 s22, -1, 0
	s_delay_alu instid0(VALU_DEP_1)
	v_add_co_u32 v1, vcc_lo, s4, v22
	v_add_co_ci_u32_e32 v2, vcc_lo, s5, v23, vcc_lo
	s_cmp_eq_u32 s24, 0
	s_mov_b32 s4, 0
	s_cselect_b32 s9, -1, 0
	s_and_b32 vcc_lo, exec_lo, s22
	s_cbranch_vccnz .LBB110_9
; %bb.8:
	v_mad_u64_u32 v[3:4], null, 0xc0, s20, v[1:2]
	s_lshl_b64 s[6:7], s[20:21], 6
	s_delay_alu instid0(VALU_DEP_1) | instskip(SKIP_2) | instid1(VALU_DEP_2)
	v_mad_u64_u32 v[5:6], null, 0xc0, s21, v[4:5]
	v_add_co_u32 v6, vcc_lo, v1, s6
	v_add_co_ci_u32_e32 v7, vcc_lo, s7, v2, vcc_lo
	v_add_co_u32 v8, vcc_lo, v6, s6
	s_delay_alu instid0(VALU_DEP_2)
	v_add_co_ci_u32_e32 v9, vcc_lo, s7, v7, vcc_lo
	v_mov_b32_e32 v4, v5
	s_clause 0x1
	global_load_b64 v[12:13], v[1:2], off
	global_load_b64 v[5:6], v[6:7], off
	global_load_b64 v[7:8], v[8:9], off
	global_load_b64 v[3:4], v[3:4], off
	v_mul_u32_u24_e32 v9, 33, v11
	s_delay_alu instid0(VALU_DEP_1)
	v_add_lshl_u32 v9, v9, v0, 3
	s_waitcnt vmcnt(3)
	ds_store_b64 v9, v[12:13]
	s_waitcnt vmcnt(2)
	ds_store_b64 v9, v[5:6] offset:2112
	s_waitcnt vmcnt(1)
	ds_store_b64 v9, v[7:8] offset:4224
	;; [unrolled: 2-line block ×3, first 2 shown]
	s_and_not1_b32 vcc_lo, exec_lo, s4
	s_cbranch_vccz .LBB110_10
	s_branch .LBB110_19
.LBB110_9:
.LBB110_10:
	v_dual_mov_b32 v5, 0 :: v_dual_lshlrev_b32 v12, 3, v0
	s_ashr_i32 s25, s24, 31
	s_mov_b32 s5, exec_lo
	s_lshl_b64 s[6:7], s[24:25], 3
	s_delay_alu instid0(VALU_DEP_1) | instskip(SKIP_1) | instid1(VALU_DEP_2)
	v_sub_co_u32 v3, vcc_lo, v1, v12
	v_subrev_co_ci_u32_e32 v4, vcc_lo, 0, v2, vcc_lo
	v_add_co_u32 v3, vcc_lo, v3, s6
	s_delay_alu instid0(VALU_DEP_2) | instskip(NEXT) | instid1(VALU_DEP_2)
	v_add_co_ci_u32_e32 v4, vcc_lo, s7, v4, vcc_lo
	v_add_co_u32 v3, vcc_lo, v3, -8
	s_delay_alu instid0(VALU_DEP_2) | instskip(SKIP_1) | instid1(VALU_DEP_3)
	v_add_co_ci_u32_e32 v4, vcc_lo, -1, v4, vcc_lo
	v_cmp_gt_i32_e32 vcc_lo, s24, v0
	v_dual_mov_b32 v6, 0 :: v_dual_cndmask_b32 v3, v3, v1
	s_delay_alu instid0(VALU_DEP_1) | instskip(NEXT) | instid1(VALU_DEP_4)
	v_mov_b32_e32 v8, v6
	v_dual_cndmask_b32 v4, v4, v2 :: v_dual_mov_b32 v7, v5
	v_cmpx_gt_i32_e64 s24, v11
	s_cbranch_execz .LBB110_12
; %bb.11:
	global_load_b64 v[7:8], v[3:4], off
.LBB110_12:
	s_or_b32 exec_lo, exec_lo, s5
	v_mul_u32_u24_e32 v9, 33, v11
	v_add_nc_u32_e32 v10, 8, v11
	s_mov_b32 s5, exec_lo
	s_delay_alu instid0(VALU_DEP_2)
	v_add_lshl_u32 v13, v9, v0, 3
	s_waitcnt vmcnt(0)
	ds_store_b64 v13, v[7:8]
	v_cmpx_gt_i32_e64 s24, v10
	s_cbranch_execz .LBB110_14
; %bb.13:
	s_lshl_b64 s[10:11], s[20:21], 6
	s_delay_alu instid0(SALU_CYCLE_1) | instskip(NEXT) | instid1(VALU_DEP_1)
	v_add_co_u32 v5, s4, v3, s10
	v_add_co_ci_u32_e64 v6, s4, s11, v4, s4
	global_load_b64 v[5:6], v[5:6], off
.LBB110_14:
	s_or_b32 exec_lo, exec_lo, s5
	v_mov_b32_e32 v7, 0
	v_dual_mov_b32 v8, 0 :: v_dual_add_nc_u32 v9, 16, v11
	s_waitcnt vmcnt(0)
	ds_store_b64 v13, v[5:6] offset:2112
	v_cmp_gt_i32_e64 s4, s24, v9
	v_dual_mov_b32 v10, v8 :: v_dual_mov_b32 v9, v7
	s_delay_alu instid0(VALU_DEP_2)
	s_and_saveexec_b32 s5, s4
	s_cbranch_execz .LBB110_16
; %bb.15:
	s_lshl_b64 s[10:11], s[20:21], 7
	s_delay_alu instid0(SALU_CYCLE_1) | instskip(NEXT) | instid1(VALU_DEP_1)
	v_add_co_u32 v5, s4, v3, s10
	v_add_co_ci_u32_e64 v6, s4, s11, v4, s4
	global_load_b64 v[9:10], v[5:6], off
.LBB110_16:
	s_or_b32 exec_lo, exec_lo, s5
	v_add_nc_u32_e32 v5, 24, v11
	s_mov_b32 s5, exec_lo
	s_waitcnt vmcnt(0)
	ds_store_b64 v13, v[9:10] offset:4224
	v_cmpx_gt_i32_e64 s24, v5
	s_cbranch_execz .LBB110_18
; %bb.17:
	v_mad_u64_u32 v[5:6], null, 0xc0, s20, v[3:4]
	s_delay_alu instid0(VALU_DEP_1) | instskip(NEXT) | instid1(VALU_DEP_1)
	v_mad_u64_u32 v[7:8], null, 0xc0, s21, v[6:7]
	v_mov_b32_e32 v6, v7
	global_load_b64 v[7:8], v[5:6], off
.LBB110_18:
	s_or_b32 exec_lo, exec_lo, s5
	v_add_co_u32 v3, s4, v3, v12
	s_delay_alu instid0(VALU_DEP_1) | instskip(SKIP_3) | instid1(VALU_DEP_1)
	v_add_co_ci_u32_e64 v4, s4, 0, v4, s4
	s_waitcnt vmcnt(0)
	ds_store_b64 v13, v[7:8] offset:6336
	v_sub_co_u32 v3, s4, v3, s6
	v_subrev_co_ci_u32_e64 v4, s4, s7, v4, s4
	s_delay_alu instid0(VALU_DEP_2) | instskip(NEXT) | instid1(VALU_DEP_1)
	v_add_co_u32 v3, s4, v3, 8
	v_add_co_ci_u32_e64 v4, s4, 0, v4, s4
	s_delay_alu instid0(VALU_DEP_1)
	v_dual_cndmask_b32 v1, v3, v1 :: v_dual_cndmask_b32 v2, v4, v2
.LBB110_19:
	v_lshlrev_b32_e32 v3, 2, v11
	v_mul_u32_u24_e32 v28, 33, v0
	v_mul_u32_u24_e32 v4, 0x84, v11
	s_waitcnt lgkmcnt(0)
	s_barrier
	v_cmp_lt_u32_e64 s5, v3, v0
	v_add_lshl_u32 v30, v3, v28, 3
	buffer_gl0_inv
	s_and_saveexec_b32 s4, s5
	s_cbranch_execz .LBB110_21
; %bb.20:
	v_add_lshl_u32 v5, v4, v0, 3
	ds_load_b64 v[5:6], v5
	s_waitcnt lgkmcnt(0)
	ds_store_b64 v30, v[5:6]
.LBB110_21:
	s_or_b32 exec_lo, exec_lo, s4
	v_or_b32_e32 v5, 1, v3
	s_delay_alu instid0(VALU_DEP_1) | instskip(NEXT) | instid1(VALU_DEP_1)
	v_cmp_lt_u32_e64 s6, v5, v0
	s_and_saveexec_b32 s4, s6
	s_cbranch_execz .LBB110_23
; %bb.22:
	v_mul_u32_u24_e32 v5, 33, v5
	s_delay_alu instid0(VALU_DEP_1)
	v_add_lshl_u32 v5, v5, v0, 3
	ds_load_b64 v[5:6], v5
	s_waitcnt lgkmcnt(0)
	ds_store_b64 v30, v[5:6] offset:8
.LBB110_23:
	s_or_b32 exec_lo, exec_lo, s4
	v_or_b32_e32 v5, 2, v3
	s_delay_alu instid0(VALU_DEP_1) | instskip(NEXT) | instid1(VALU_DEP_1)
	v_cmp_lt_u32_e64 s7, v5, v0
	s_and_saveexec_b32 s4, s7
	s_cbranch_execz .LBB110_25
; %bb.24:
	v_mul_u32_u24_e32 v5, 33, v5
	s_delay_alu instid0(VALU_DEP_1)
	v_add_lshl_u32 v5, v5, v0, 3
	ds_load_b64 v[5:6], v5
	s_waitcnt lgkmcnt(0)
	ds_store_b64 v30, v[5:6] offset:16
.LBB110_25:
	s_or_b32 exec_lo, exec_lo, s4
	v_or_b32_e32 v5, 3, v3
	s_delay_alu instid0(VALU_DEP_1) | instskip(SKIP_1) | instid1(VALU_DEP_2)
	v_mad_u32_u24 v6, v5, 33, v0
	v_cmp_lt_u32_e64 s8, v5, v0
	v_lshlrev_b32_e32 v9, 3, v6
	s_delay_alu instid0(VALU_DEP_2)
	s_and_saveexec_b32 s4, s8
	s_cbranch_execz .LBB110_27
; %bb.26:
	ds_load_b64 v[5:6], v9
	s_waitcnt lgkmcnt(0)
	ds_store_b64 v30, v[5:6] offset:24
.LBB110_27:
	s_or_b32 exec_lo, exec_lo, s4
	v_add_lshl_u32 v10, v4, v0, 3
	v_lshlrev_b32_e32 v12, 3, v3
	v_dual_mov_b32 v18, 0 :: v_dual_add_nc_u32 v13, 0xfffffdf0, v9
	s_waitcnt lgkmcnt(0)
	s_barrier
	buffer_gl0_inv
	v_mov_b32_e32 v19, 0
	ds_load_b64 v[7:8], v10
	ds_load_b128 v[3:6], v12 offset:9088
	ds_load_2addr_b64 v[31:34], v13 offset1:33
	v_add_lshl_u32 v29, v11, v28, 3
	v_cmp_gt_u32_e64 s4, 32, v27
	s_waitcnt lgkmcnt(1)
	v_fma_f64 v[3:4], v[7:8], v[3:4], 0
	s_waitcnt lgkmcnt(0)
	s_delay_alu instid0(VALU_DEP_1)
	v_fma_f64 v[7:8], v[31:32], v[5:6], v[3:4]
	ds_load_b128 v[3:6], v12 offset:9104
	ds_load_b64 v[14:15], v9
	s_waitcnt lgkmcnt(0)
	s_barrier
	buffer_gl0_inv
	v_fma_f64 v[3:4], v[33:34], v[3:4], v[7:8]
	s_delay_alu instid0(VALU_DEP_1)
	v_fma_f64 v[3:4], v[14:15], v[5:6], v[3:4]
	ds_store_b64 v29, v[3:4]
	s_waitcnt lgkmcnt(0)
	s_barrier
	buffer_gl0_inv
	s_and_saveexec_b32 s10, s4
	s_cbranch_execz .LBB110_29
; %bb.28:
	v_lshlrev_b32_e32 v14, 3, v28
	ds_load_2addr_b64 v[3:6], v14 offset1:1
	ds_load_2addr_b64 v[31:34], v14 offset0:2 offset1:3
	s_waitcnt lgkmcnt(1)
	v_add_f64 v[3:4], v[3:4], v[5:6]
	s_waitcnt lgkmcnt(0)
	s_delay_alu instid0(VALU_DEP_1) | instskip(NEXT) | instid1(VALU_DEP_1)
	v_add_f64 v[3:4], v[3:4], v[31:32]
	v_add_f64 v[7:8], v[3:4], v[33:34]
	ds_load_2addr_b64 v[3:6], v14 offset0:4 offset1:5
	ds_load_2addr_b64 v[31:34], v14 offset0:6 offset1:7
	s_waitcnt lgkmcnt(1)
	v_add_f64 v[3:4], v[7:8], v[3:4]
	s_delay_alu instid0(VALU_DEP_1) | instskip(SKIP_1) | instid1(VALU_DEP_1)
	v_add_f64 v[3:4], v[3:4], v[5:6]
	s_waitcnt lgkmcnt(0)
	v_add_f64 v[3:4], v[3:4], v[31:32]
	s_delay_alu instid0(VALU_DEP_1)
	v_add_f64 v[18:19], v[3:4], v[33:34]
.LBB110_29:
	s_or_b32 exec_lo, exec_lo, s10
	s_lshl_b64 s[10:11], s[20:21], 8
	v_cndmask_b32_e64 v14, 0, 1, s9
	v_add_co_u32 v1, vcc_lo, v1, s10
	v_add_co_ci_u32_e32 v2, vcc_lo, s11, v2, vcc_lo
	s_delay_alu instid0(VALU_DEP_2) | instskip(NEXT) | instid1(VALU_DEP_2)
	v_add_co_u32 v15, vcc_lo, 0x100, v1
	v_add_co_ci_u32_e32 v25, vcc_lo, 0, v2, vcc_lo
	s_and_not1_b32 vcc_lo, exec_lo, s9
	s_barrier
	buffer_gl0_inv
	s_cbranch_vccnz .LBB110_31
; %bb.30:
	v_mad_u64_u32 v[3:4], null, 0xc0, s20, v[1:2]
	s_lshl_b64 s[18:19], s[20:21], 6
	v_mul_u32_u24_e32 v24, 33, v11
	s_delay_alu instid0(VALU_DEP_1) | instskip(NEXT) | instid1(VALU_DEP_3)
	v_add_lshl_u32 v24, v24, v0, 3
	v_mad_u64_u32 v[5:6], null, 0xc0, s21, v[4:5]
	v_add_co_u32 v6, vcc_lo, v1, s18
	v_add_co_ci_u32_e32 v7, vcc_lo, s19, v2, vcc_lo
	s_delay_alu instid0(VALU_DEP_2) | instskip(NEXT) | instid1(VALU_DEP_2)
	v_add_co_u32 v31, vcc_lo, v6, s18
	v_add_co_ci_u32_e32 v32, vcc_lo, s19, v7, vcc_lo
	v_mov_b32_e32 v4, v5
	s_clause 0x3
	global_load_b64 v[1:2], v[1:2], off offset:256
	global_load_b64 v[5:6], v[6:7], off offset:256
	;; [unrolled: 1-line block ×4, first 2 shown]
	s_waitcnt vmcnt(3)
	ds_store_b64 v24, v[1:2]
	s_waitcnt vmcnt(2)
	ds_store_b64 v24, v[5:6] offset:2112
	s_waitcnt vmcnt(1)
	ds_store_b64 v24, v[7:8] offset:4224
	;; [unrolled: 2-line block ×3, first 2 shown]
	s_cbranch_execz .LBB110_32
	s_branch .LBB110_41
.LBB110_31:
.LBB110_32:
	v_dual_mov_b32 v5, 0 :: v_dual_lshlrev_b32 v24, 3, v0
	s_ashr_i32 s25, s24, 31
	v_or_b32_e32 v3, 32, v0
	s_lshl_b64 s[18:19], s[24:25], 3
	s_delay_alu instid0(VALU_DEP_2) | instskip(SKIP_2) | instid1(VALU_DEP_2)
	v_sub_co_u32 v1, vcc_lo, v15, v24
	v_subrev_co_ci_u32_e32 v2, vcc_lo, 0, v25, vcc_lo
	s_sub_i32 s23, s24, 32
	v_add_co_u32 v1, vcc_lo, v1, s18
	s_delay_alu instid0(VALU_DEP_2) | instskip(SKIP_1) | instid1(VALU_DEP_2)
	v_add_co_ci_u32_e32 v2, vcc_lo, s19, v2, vcc_lo
	s_mov_b32 s25, exec_lo
	v_add_co_u32 v1, vcc_lo, 0xfffffef8, v1
	s_delay_alu instid0(VALU_DEP_2) | instskip(SKIP_1) | instid1(VALU_DEP_3)
	v_add_co_ci_u32_e32 v2, vcc_lo, -1, v2, vcc_lo
	v_cmp_gt_i32_e32 vcc_lo, s24, v3
	v_dual_mov_b32 v6, 0 :: v_dual_cndmask_b32 v1, v1, v15
	s_delay_alu instid0(VALU_DEP_3) | instskip(NEXT) | instid1(VALU_DEP_2)
	v_dual_cndmask_b32 v2, v2, v25 :: v_dual_mov_b32 v3, v5
	v_mov_b32_e32 v4, v6
	v_cmpx_gt_i32_e64 s23, v11
	s_cbranch_execz .LBB110_34
; %bb.33:
	global_load_b64 v[3:4], v[1:2], off
.LBB110_34:
	s_or_b32 exec_lo, exec_lo, s25
	v_mul_u32_u24_e32 v7, 33, v11
	v_add_nc_u32_e32 v8, 8, v11
	s_mov_b32 s25, exec_lo
	s_delay_alu instid0(VALU_DEP_2)
	v_add_lshl_u32 v31, v7, v0, 3
	s_waitcnt vmcnt(0)
	ds_store_b64 v31, v[3:4]
	v_cmpx_gt_i32_e64 s23, v8
	s_cbranch_execz .LBB110_36
; %bb.35:
	s_lshl_b64 s[34:35], s[20:21], 6
	s_delay_alu instid0(SALU_CYCLE_1) | instskip(NEXT) | instid1(VALU_DEP_1)
	v_add_co_u32 v3, s9, v1, s34
	v_add_co_ci_u32_e64 v4, s9, s35, v2, s9
	global_load_b64 v[5:6], v[3:4], off
.LBB110_36:
	s_or_b32 exec_lo, exec_lo, s25
	v_mov_b32_e32 v3, 0
	v_dual_mov_b32 v4, 0 :: v_dual_add_nc_u32 v7, 16, v11
	s_waitcnt vmcnt(0)
	ds_store_b64 v31, v[5:6] offset:2112
	v_cmp_gt_i32_e64 s9, s23, v7
	v_dual_mov_b32 v8, v4 :: v_dual_mov_b32 v7, v3
	s_delay_alu instid0(VALU_DEP_2)
	s_and_saveexec_b32 s25, s9
	s_cbranch_execz .LBB110_38
; %bb.37:
	s_lshl_b64 s[34:35], s[20:21], 7
	s_delay_alu instid0(SALU_CYCLE_1) | instskip(NEXT) | instid1(VALU_DEP_1)
	v_add_co_u32 v5, s9, v1, s34
	v_add_co_ci_u32_e64 v6, s9, s35, v2, s9
	global_load_b64 v[7:8], v[5:6], off
.LBB110_38:
	s_or_b32 exec_lo, exec_lo, s25
	v_add_nc_u32_e32 v5, 24, v11
	s_waitcnt vmcnt(0)
	ds_store_b64 v31, v[7:8] offset:4224
	v_cmp_gt_i32_e64 s9, s23, v5
	s_delay_alu instid0(VALU_DEP_1)
	s_and_saveexec_b32 s23, s9
	s_cbranch_execz .LBB110_40
; %bb.39:
	v_mad_u64_u32 v[3:4], null, 0xc0, s20, v[1:2]
	s_delay_alu instid0(VALU_DEP_1) | instskip(NEXT) | instid1(VALU_DEP_1)
	v_mad_u64_u32 v[5:6], null, 0xc0, s21, v[4:5]
	v_mov_b32_e32 v4, v5
	global_load_b64 v[3:4], v[3:4], off
.LBB110_40:
	s_or_b32 exec_lo, exec_lo, s23
	v_add_co_u32 v1, s9, v1, v24
	s_delay_alu instid0(VALU_DEP_1) | instskip(SKIP_3) | instid1(VALU_DEP_1)
	v_add_co_ci_u32_e64 v2, s9, 0, v2, s9
	s_waitcnt vmcnt(0)
	ds_store_b64 v31, v[3:4] offset:6336
	v_sub_co_u32 v1, s9, v1, s18
	v_subrev_co_ci_u32_e64 v2, s9, s19, v2, s9
	s_delay_alu instid0(VALU_DEP_2) | instskip(NEXT) | instid1(VALU_DEP_1)
	v_add_co_u32 v1, s9, 0x108, v1
	v_add_co_ci_u32_e64 v2, s9, 0, v2, s9
	s_delay_alu instid0(VALU_DEP_2) | instskip(NEXT) | instid1(VALU_DEP_2)
	v_cndmask_b32_e32 v15, v1, v15, vcc_lo
	v_cndmask_b32_e32 v25, v2, v25, vcc_lo
.LBB110_41:
	v_add_nc_u32_e32 v12, 0x2380, v12
	s_lshl_b64 s[18:19], s[20:21], 5
	s_waitcnt lgkmcnt(0)
	s_barrier
	buffer_gl0_inv
	s_and_saveexec_b32 s9, s5
	s_cbranch_execnz .LBB110_50
; %bb.42:
	s_or_b32 exec_lo, exec_lo, s9
	s_and_saveexec_b32 s5, s6
	s_cbranch_execnz .LBB110_51
.LBB110_43:
	s_or_b32 exec_lo, exec_lo, s5
	s_and_saveexec_b32 s5, s7
	s_cbranch_execnz .LBB110_52
.LBB110_44:
	s_or_b32 exec_lo, exec_lo, s5
	s_and_saveexec_b32 s5, s8
	s_cbranch_execz .LBB110_46
.LBB110_45:
	ds_load_b64 v[1:2], v9
	s_waitcnt lgkmcnt(0)
	ds_store_b64 v30, v[1:2] offset:24
.LBB110_46:
	s_or_b32 exec_lo, exec_lo, s5
	s_waitcnt lgkmcnt(0)
	s_barrier
	buffer_gl0_inv
	ds_load_b64 v[5:6], v10
	ds_load_b128 v[1:4], v12 offset:256
	v_cmp_eq_u32_e64 s5, 1, v11
	s_waitcnt lgkmcnt(0)
	v_fma_f64 v[1:2], v[5:6], v[1:2], 0
	ds_load_2addr_b64 v[5:8], v13 offset1:33
	s_waitcnt lgkmcnt(0)
	v_fma_f64 v[5:6], v[5:6], v[3:4], v[1:2]
	ds_load_b128 v[1:4], v12 offset:272
	ds_load_b64 v[9:10], v9
	s_waitcnt lgkmcnt(0)
	s_barrier
	buffer_gl0_inv
	v_fma_f64 v[1:2], v[7:8], v[1:2], v[5:6]
	s_delay_alu instid0(VALU_DEP_1)
	v_fma_f64 v[1:2], v[9:10], v[3:4], v[1:2]
	ds_store_b64 v29, v[1:2]
	s_waitcnt lgkmcnt(0)
	s_barrier
	buffer_gl0_inv
	s_and_saveexec_b32 s6, s5
	s_cbranch_execz .LBB110_48
; %bb.47:
	v_lshlrev_b32_e32 v13, 3, v28
	ds_load_2addr_b64 v[1:4], v13 offset1:1
	ds_load_2addr_b64 v[5:8], v13 offset0:2 offset1:3
	s_waitcnt lgkmcnt(1)
	v_add_f64 v[1:2], v[1:2], v[3:4]
	s_waitcnt lgkmcnt(0)
	s_delay_alu instid0(VALU_DEP_1) | instskip(NEXT) | instid1(VALU_DEP_1)
	v_add_f64 v[1:2], v[1:2], v[5:6]
	v_add_f64 v[9:10], v[1:2], v[7:8]
	ds_load_2addr_b64 v[1:4], v13 offset0:4 offset1:5
	ds_load_2addr_b64 v[5:8], v13 offset0:6 offset1:7
	s_waitcnt lgkmcnt(1)
	v_add_f64 v[1:2], v[9:10], v[1:2]
	s_delay_alu instid0(VALU_DEP_1) | instskip(SKIP_1) | instid1(VALU_DEP_1)
	v_add_f64 v[1:2], v[1:2], v[3:4]
	s_waitcnt lgkmcnt(0)
	v_add_f64 v[1:2], v[1:2], v[5:6]
	s_delay_alu instid0(VALU_DEP_1)
	v_add_f64 v[18:19], v[1:2], v[7:8]
.LBB110_48:
	s_or_b32 exec_lo, exec_lo, s6
	s_lshl_b64 s[6:7], s[18:19], 3
	v_cmp_ne_u32_e32 vcc_lo, 1, v14
	v_sub_co_u32 v24, s6, v15, s6
	s_delay_alu instid0(VALU_DEP_1)
	v_subrev_co_ci_u32_e64 v25, s6, s7, v25, s6
	s_barrier
	buffer_gl0_inv
	s_cbranch_vccnz .LBB110_53
; %bb.49:
	v_mad_u64_u32 v[1:2], null, 0xc0, s20, v[24:25]
	s_lshl_b64 s[6:7], s[20:21], 6
	v_mad_u32_u24 v10, v11, 33, v0
	v_add_nc_u32_e32 v9, 8, v11
	v_add_nc_u32_e32 v13, 16, v11
	s_delay_alu instid0(VALU_DEP_4) | instskip(SKIP_3) | instid1(VALU_DEP_3)
	v_mad_u64_u32 v[3:4], null, 0xc0, s21, v[2:3]
	v_add_co_u32 v4, vcc_lo, v24, s6
	v_add_co_ci_u32_e32 v5, vcc_lo, s7, v25, vcc_lo
	v_lshlrev_b32_e32 v33, 3, v10
	v_add_co_u32 v6, vcc_lo, v4, s6
	s_delay_alu instid0(VALU_DEP_3)
	v_add_co_ci_u32_e32 v7, vcc_lo, s7, v5, vcc_lo
	v_mov_b32_e32 v2, v3
	s_clause 0x3
	global_load_b64 v[14:15], v[24:25], off
	global_load_b64 v[3:4], v[4:5], off
	global_load_b64 v[7:8], v[6:7], off
	global_load_b64 v[31:32], v[1:2], off
	v_add_nc_u32_e32 v6, 0x108, v10
	v_add_nc_u32_e32 v1, 0x210, v10
	;; [unrolled: 1-line block ×4, first 2 shown]
	s_waitcnt vmcnt(3)
	ds_store_b64 v33, v[14:15]
	s_waitcnt vmcnt(2)
	ds_store_b64 v33, v[3:4] offset:2112
	s_waitcnt vmcnt(1)
	ds_store_b64 v33, v[7:8] offset:4224
	;; [unrolled: 2-line block ×3, first 2 shown]
	s_cbranch_execz .LBB110_54
	s_branch .LBB110_63
.LBB110_50:
	ds_load_b64 v[1:2], v10
	s_waitcnt lgkmcnt(0)
	ds_store_b64 v30, v[1:2]
	s_or_b32 exec_lo, exec_lo, s9
	s_and_saveexec_b32 s5, s6
	s_cbranch_execz .LBB110_43
.LBB110_51:
	ds_load_b64 v[1:2], v13
	s_waitcnt lgkmcnt(0)
	ds_store_b64 v30, v[1:2] offset:8
	s_or_b32 exec_lo, exec_lo, s5
	s_and_saveexec_b32 s5, s7
	s_cbranch_execz .LBB110_44
.LBB110_52:
	ds_load_b64 v[1:2], v13 offset:264
	s_waitcnt lgkmcnt(0)
	ds_store_b64 v30, v[1:2] offset:16
	s_or_b32 exec_lo, exec_lo, s5
	s_and_saveexec_b32 s5, s8
	s_cbranch_execnz .LBB110_45
	s_branch .LBB110_46
.LBB110_53:
                                        ; implicit-def: $vgpr10
                                        ; implicit-def: $vgpr9
                                        ; implicit-def: $vgpr6
                                        ; implicit-def: $vgpr13
                                        ; implicit-def: $vgpr1
                                        ; implicit-def: $vgpr5
                                        ; implicit-def: $vgpr2
.LBB110_54:
	v_dual_mov_b32 v5, 0 :: v_dual_lshlrev_b32 v14, 3, v0
	s_ashr_i32 s25, s24, 31
	v_or_b32_e32 v3, 32, v0
	s_lshl_b64 s[8:9], s[24:25], 3
	s_delay_alu instid0(VALU_DEP_2) | instskip(SKIP_2) | instid1(VALU_DEP_2)
	v_sub_co_u32 v1, vcc_lo, v24, v14
	v_subrev_co_ci_u32_e32 v2, vcc_lo, 0, v25, vcc_lo
	s_mov_b32 s7, exec_lo
	v_add_co_u32 v1, vcc_lo, v1, s8
	s_delay_alu instid0(VALU_DEP_2) | instskip(NEXT) | instid1(VALU_DEP_2)
	v_add_co_ci_u32_e32 v2, vcc_lo, s9, v2, vcc_lo
	v_add_co_u32 v1, vcc_lo, 0xfffffef8, v1
	s_delay_alu instid0(VALU_DEP_2) | instskip(SKIP_1) | instid1(VALU_DEP_3)
	v_add_co_ci_u32_e32 v2, vcc_lo, -1, v2, vcc_lo
	v_cmp_gt_i32_e32 vcc_lo, s24, v3
	v_dual_mov_b32 v6, 0 :: v_dual_cndmask_b32 v1, v1, v24
	s_delay_alu instid0(VALU_DEP_3) | instskip(NEXT) | instid1(VALU_DEP_2)
	v_dual_cndmask_b32 v2, v2, v25 :: v_dual_mov_b32 v3, v5
	v_mov_b32_e32 v4, v6
	v_cmpx_gt_i32_e64 s24, v11
	s_cbranch_execz .LBB110_56
; %bb.55:
	global_load_b64 v[3:4], v[1:2], off
.LBB110_56:
	s_or_b32 exec_lo, exec_lo, s7
	v_mad_u32_u24 v10, v11, 33, v0
	v_add_nc_u32_e32 v9, 8, v11
	s_mov_b32 s7, exec_lo
	s_delay_alu instid0(VALU_DEP_2)
	v_lshlrev_b32_e32 v0, 3, v10
	s_waitcnt vmcnt(0)
	ds_store_b64 v0, v[3:4]
	v_cmpx_gt_i32_e64 s24, v9
	s_cbranch_execz .LBB110_58
; %bb.57:
	s_lshl_b64 s[18:19], s[20:21], 6
	s_delay_alu instid0(SALU_CYCLE_1) | instskip(NEXT) | instid1(VALU_DEP_1)
	v_add_co_u32 v3, s6, v1, s18
	v_add_co_ci_u32_e64 v4, s6, s19, v2, s6
	global_load_b64 v[5:6], v[3:4], off
.LBB110_58:
	s_or_b32 exec_lo, exec_lo, s7
	v_mov_b32_e32 v3, 0
	v_dual_mov_b32 v4, 0 :: v_dual_add_nc_u32 v13, 16, v11
	s_mov_b32 s7, exec_lo
	s_waitcnt vmcnt(0)
	ds_store_b64 v0, v[5:6] offset:2112
	v_dual_mov_b32 v8, v4 :: v_dual_mov_b32 v7, v3
	v_cmpx_gt_i32_e64 s24, v13
	s_cbranch_execz .LBB110_60
; %bb.59:
	s_lshl_b64 s[18:19], s[20:21], 7
	s_delay_alu instid0(SALU_CYCLE_1) | instskip(NEXT) | instid1(VALU_DEP_1)
	v_add_co_u32 v5, s6, v1, s18
	v_add_co_ci_u32_e64 v6, s6, s19, v2, s6
	global_load_b64 v[7:8], v[5:6], off
.LBB110_60:
	s_or_b32 exec_lo, exec_lo, s7
	v_add_nc_u32_e32 v5, 24, v11
	s_mov_b32 s7, exec_lo
	s_waitcnt vmcnt(0)
	ds_store_b64 v0, v[7:8] offset:4224
	v_cmpx_gt_i32_e64 s24, v5
	s_cbranch_execz .LBB110_62
; %bb.61:
	v_mad_u64_u32 v[3:4], null, 0xc0, s20, v[1:2]
	s_delay_alu instid0(VALU_DEP_1) | instskip(NEXT) | instid1(VALU_DEP_1)
	v_mad_u64_u32 v[6:7], null, 0xc0, s21, v[4:5]
	v_mov_b32_e32 v4, v6
	global_load_b64 v[3:4], v[3:4], off
.LBB110_62:
	s_or_b32 exec_lo, exec_lo, s7
	v_add_co_u32 v1, s6, v1, v14
	s_delay_alu instid0(VALU_DEP_1) | instskip(SKIP_3) | instid1(VALU_DEP_1)
	v_add_co_ci_u32_e64 v2, s6, 0, v2, s6
	s_waitcnt vmcnt(0)
	ds_store_b64 v0, v[3:4] offset:6336
	v_sub_co_u32 v1, s6, v1, s8
	v_subrev_co_ci_u32_e64 v2, s6, s9, v2, s6
	s_delay_alu instid0(VALU_DEP_2) | instskip(NEXT) | instid1(VALU_DEP_1)
	v_add_co_u32 v7, s6, 0x108, v1
	v_add_co_ci_u32_e64 v8, s6, 0, v2, s6
	v_add_nc_u32_e32 v6, 0x108, v10
	s_delay_alu instid0(VALU_DEP_3) | instskip(NEXT) | instid1(VALU_DEP_3)
	v_dual_cndmask_b32 v24, v7, v24 :: v_dual_add_nc_u32 v1, 0x210, v10
	v_dual_cndmask_b32 v25, v8, v25 :: v_dual_add_nc_u32 v2, 0x318, v10
.LBB110_63:
	v_lshlrev_b32_e32 v0, 3, v10
	v_lshlrev_b32_e32 v7, 3, v11
	s_waitcnt lgkmcnt(0)
	s_barrier
	buffer_gl0_inv
	ds_load_b64 v[3:4], v0
	ds_load_b64 v[7:8], v7 offset:9088
	v_lshlrev_b32_e32 v0, 3, v6
	v_lshlrev_b32_e32 v6, 3, v9
	;; [unrolled: 1-line block ×4, first 2 shown]
	ds_load_b64 v[9:10], v0
	ds_load_b64 v[14:15], v6 offset:9088
	v_lshlrev_b32_e32 v0, 3, v1
	v_lshlrev_b32_e32 v6, 3, v13
	s_waitcnt lgkmcnt(2)
	v_fma_f64 v[3:4], v[3:4], v[7:8], 0
	ds_load_b64 v[0:1], v0
	ds_load_b64 v[6:7], v6 offset:9088
	s_waitcnt lgkmcnt(2)
	v_fma_f64 v[3:4], v[9:10], v[14:15], v[3:4]
	ds_load_b64 v[8:9], v2
	ds_load_b64 v[10:11], v5 offset:9088
	s_waitcnt lgkmcnt(2)
	v_fma_f64 v[0:1], v[0:1], v[6:7], v[3:4]
	s_waitcnt lgkmcnt(0)
	s_delay_alu instid0(VALU_DEP_1)
	v_fma_f64 v[31:32], v[8:9], v[10:11], v[0:1]
	ds_load_b128 v[8:11], v12 offset:256
	ds_load_b128 v[0:3], v12 offset:272
	ds_load_2addr_b64 v[12:15], v30 offset1:1
	ds_load_2addr_b64 v[4:7], v30 offset0:2 offset1:3
	s_waitcnt lgkmcnt(0)
	s_barrier
	buffer_gl0_inv
	ds_store_b64 v29, v[31:32]
	s_waitcnt lgkmcnt(0)
	s_barrier
	buffer_gl0_inv
	s_and_saveexec_b32 s6, s5
	s_cbranch_execz .LBB110_65
; %bb.64:
	v_lshlrev_b32_e32 v38, 3, v28
	ds_load_2addr_b64 v[30:33], v38 offset1:1
	ds_load_2addr_b64 v[34:37], v38 offset0:2 offset1:3
	s_waitcnt lgkmcnt(1)
	v_add_f64 v[18:19], v[18:19], v[30:31]
	s_delay_alu instid0(VALU_DEP_1) | instskip(SKIP_1) | instid1(VALU_DEP_1)
	v_add_f64 v[18:19], v[18:19], v[32:33]
	s_waitcnt lgkmcnt(0)
	v_add_f64 v[18:19], v[18:19], v[34:35]
	s_delay_alu instid0(VALU_DEP_1) | instskip(SKIP_4) | instid1(VALU_DEP_1)
	v_add_f64 v[18:19], v[18:19], v[36:37]
	ds_load_2addr_b64 v[30:33], v38 offset0:4 offset1:5
	ds_load_2addr_b64 v[34:37], v38 offset0:6 offset1:7
	s_waitcnt lgkmcnt(1)
	v_add_f64 v[18:19], v[18:19], v[30:31]
	v_add_f64 v[18:19], v[18:19], v[32:33]
	s_waitcnt lgkmcnt(0)
	s_delay_alu instid0(VALU_DEP_1) | instskip(NEXT) | instid1(VALU_DEP_1)
	v_add_f64 v[18:19], v[18:19], v[34:35]
	v_add_f64 v[18:19], v[18:19], v[36:37]
.LBB110_65:
	s_or_b32 exec_lo, exec_lo, s6
	v_fma_f64 v[8:9], v[12:13], v[8:9], 0
	s_barrier
	buffer_gl0_inv
	v_fma_f64 v[8:9], v[14:15], v[10:11], v[8:9]
	s_delay_alu instid0(VALU_DEP_1) | instskip(NEXT) | instid1(VALU_DEP_1)
	v_fma_f64 v[0:1], v[4:5], v[0:1], v[8:9]
	v_fma_f64 v[0:1], v[6:7], v[2:3], v[0:1]
	ds_store_b64 v29, v[0:1]
	s_waitcnt lgkmcnt(0)
	s_barrier
	buffer_gl0_inv
	s_and_saveexec_b32 s5, s4
	s_cbranch_execz .LBB110_67
; %bb.66:
	v_lshlrev_b32_e32 v10, 3, v28
	ds_load_2addr_b64 v[0:3], v10 offset1:1
	ds_load_2addr_b64 v[4:7], v10 offset0:2 offset1:3
	s_waitcnt lgkmcnt(1)
	v_add_f64 v[0:1], v[18:19], v[0:1]
	s_delay_alu instid0(VALU_DEP_1) | instskip(SKIP_1) | instid1(VALU_DEP_1)
	v_add_f64 v[0:1], v[0:1], v[2:3]
	s_waitcnt lgkmcnt(0)
	v_add_f64 v[0:1], v[0:1], v[4:5]
	s_delay_alu instid0(VALU_DEP_1) | instskip(SKIP_4) | instid1(VALU_DEP_1)
	v_add_f64 v[8:9], v[0:1], v[6:7]
	ds_load_2addr_b64 v[0:3], v10 offset0:4 offset1:5
	ds_load_2addr_b64 v[4:7], v10 offset0:6 offset1:7
	s_waitcnt lgkmcnt(1)
	v_add_f64 v[0:1], v[8:9], v[0:1]
	v_add_f64 v[0:1], v[0:1], v[2:3]
	s_waitcnt lgkmcnt(0)
	s_delay_alu instid0(VALU_DEP_1) | instskip(NEXT) | instid1(VALU_DEP_1)
	v_add_f64 v[0:1], v[0:1], v[4:5]
	v_add_f64 v[18:19], v[0:1], v[6:7]
.LBB110_67:
	s_or_b32 exec_lo, exec_lo, s5
	s_load_b64 s[0:1], s[0:1], 0x68
	s_mul_hi_u32 s4, s30, s15
	s_mul_i32 s27, s27, s15
	s_mul_i32 s5, s30, s15
	s_add_i32 s4, s4, s27
	s_mul_hi_u32 s6, s5, s26
	s_mul_i32 s7, s4, s26
	s_mul_i32 s4, s5, s26
	s_add_i32 s5, s6, s7
	s_mul_i32 s6, s14, s30
	s_lshl_b64 s[4:5], s[4:5], 3
	v_cmp_le_i32_e32 vcc_lo, s24, v26
	v_lshlrev_b32_e32 v73, 3, v26
	s_waitcnt lgkmcnt(0)
	s_barrier
	buffer_gl0_inv
	s_add_u32 s4, s0, s4
	s_addc_u32 s5, s1, s5
	s_ashr_i32 s7, s6, 31
	s_delay_alu instid0(SALU_CYCLE_1) | instskip(NEXT) | instid1(SALU_CYCLE_1)
	s_lshl_b64 s[0:1], s[6:7], 3
	s_add_u32 s15, s4, s0
	s_addc_u32 s18, s5, s1
	s_and_b32 vcc_lo, s22, vcc_lo
	s_cmp_lt_i32 s14, 1
	s_cbranch_scc1 .LBB110_74
; %bb.68:
	v_lshlrev_b32_e32 v4, 2, v72
	s_mul_i32 s1, s12, s29
	s_mul_hi_u32 s5, s12, s28
	s_mul_i32 s8, s13, s28
	s_mul_i32 s4, s12, s28
	v_mad_u64_u32 v[0:1], null, v4, s20, 0
	s_ashr_i32 s25, s24, 31
	s_mul_hi_u32 s12, s20, 24
	s_lshl_b64 s[6:7], s[24:25], 3
	v_and_b32_e32 v7, 48, v26
	v_and_b32_e32 v5, 15, v26
	v_lshrrev_b32_e32 v6, 4, v27
	s_delay_alu instid0(VALU_DEP_4) | instskip(SKIP_1) | instid1(VALU_DEP_1)
	v_mad_u64_u32 v[2:3], null, v4, s21, v[1:2]
	v_sub_co_u32 v3, s0, v24, s16
	v_subrev_co_ci_u32_e64 v4, s0, s17, v25, s0
	s_add_i32 s0, s5, s1
	s_mul_i32 s1, s21, 24
	s_delay_alu instid0(VALU_DEP_3) | instskip(SKIP_2) | instid1(VALU_DEP_1)
	v_mov_b32_e32 v1, v2
	s_add_i32 s5, s0, s8
	v_sub_co_u32 v2, s0, v3, v22
	v_sub_co_ci_u32_e64 v3, s0, v4, v23, s0
	s_delay_alu instid0(VALU_DEP_3)
	v_lshlrev_b64 v[0:1], 3, v[0:1]
	s_lshl_b64 s[4:5], s[4:5], 3
	s_add_i32 s16, s12, s1
	s_mul_i32 s1, s21, 0x90
	s_mul_hi_u32 s12, s20, 0x90
	v_lshlrev_b32_e32 v8, 5, v6
	v_add_co_u32 v0, s0, v2, v0
	s_delay_alu instid0(VALU_DEP_1) | instskip(SKIP_1) | instid1(VALU_DEP_1)
	v_add_co_ci_u32_e64 v1, s0, v3, v1, s0
	v_sub_co_u32 v74, s0, v20, s4
	v_subrev_co_ci_u32_e64 v75, s0, s5, v21, s0
	s_delay_alu instid0(VALU_DEP_4) | instskip(NEXT) | instid1(VALU_DEP_1)
	v_add_co_u32 v2, s0, v0, s6
	v_add_co_ci_u32_e64 v3, s0, s7, v1, s0
	v_add_co_u32 v0, s0, v0, v73
	s_delay_alu instid0(VALU_DEP_1) | instskip(NEXT) | instid1(VALU_DEP_4)
	v_add_co_ci_u32_e64 v1, s0, 0, v1, s0
	v_add_co_u32 v2, s0, 0xfffffef8, v2
	s_delay_alu instid0(VALU_DEP_1) | instskip(NEXT) | instid1(VALU_DEP_4)
	v_add_co_ci_u32_e64 v3, s0, -1, v3, s0
	v_add_co_u32 v0, s0, 0xffffff00, v0
	s_add_i32 s19, s12, s1
	s_mul_i32 s1, s21, 0x98
	s_mul_hi_u32 s12, s20, 0x98
	v_add_co_ci_u32_e64 v4, s0, -1, v1, s0
	s_add_i32 s23, s12, s1
	s_mul_i32 s1, s21, 0x110
	s_mul_hi_u32 s12, s20, 0x110
	v_dual_mov_b32 v1, 0 :: v_dual_cndmask_b32 v2, v0, v2
	s_add_i32 s25, s12, s1
	s_mul_i32 s1, s21, 0x118
	s_mul_hi_u32 s12, s20, 0x118
	v_lshlrev_b32_e32 v0, 3, v7
	s_add_i32 s27, s12, s1
	s_mul_i32 s1, s21, 0x190
	s_mul_hi_u32 s12, s20, 0x190
	v_dual_cndmask_b32 v3, v4, v3 :: v_dual_add_nc_u32 v76, 0x2180, v73
	s_add_i32 s31, s12, s1
	s_mul_i32 s1, s21, 0x198
	s_mul_hi_u32 s12, s20, 0x198
	v_or_b32_e32 v4, 0x78, v73
	v_mad_u32_u24 v78, 0x218, v5, v0
	v_lshlrev_b32_e32 v0, 3, v6
	s_add_i32 s34, s12, s1
	s_mul_i32 s1, s21, 0x188
	s_mul_hi_u32 s12, s20, 0x188
	v_add_nc_u32_e32 v77, 0x2380, v73
	s_add_i32 s36, s12, s1
	s_mul_i32 s1, s21, 0x180
	s_mul_hi_u32 s12, s20, 0x180
	v_cmp_gt_u32_e64 s0, 64, v27
	s_add_i32 s38, s12, s1
	s_mul_i32 s1, s21, 0x108
	s_mul_hi_u32 s12, s20, 0x108
	v_mad_u32_u24 v79, 0x218, v5, v4
	v_mad_u32_u24 v80, 0x218, v5, v8
	v_lshl_add_u32 v81, v72, 5, 0x2180
	v_mad_u32_u24 v82, 0x860, v72, v73
	v_mad_u32_u24 v83, 0x218, v5, v0
	v_or_b32_e32 v84, v7, v5
	s_add_i32 s40, s12, s1
	s_mul_i32 s1, s21, 0x88
	s_mul_hi_u32 s12, s20, 0x88
	s_lshl_b64 s[4:5], s[20:21], 3
	s_lshl_b64 s[6:7], s[20:21], 9
	;; [unrolled: 1-line block ×3, first 2 shown]
	s_mul_i32 s17, s20, 24
	s_mul_i32 s22, s20, 0x90
	;; [unrolled: 1-line block ×10, first 2 shown]
	s_add_i32 s42, s12, s1
	s_mul_i32 s43, s20, 0x88
	s_lshl_b64 s[12:13], s[20:21], 7
	s_mov_b32 s20, 0
	s_branch .LBB110_70
.LBB110_69:                             ;   in Loop: Header=BB110_70 Depth=1
	s_or_b32 exec_lo, exec_lo, s21
	v_fma_f64 v[4:5], v[4:5], v[12:13], v[18:19]
	v_add_co_u32 v2, s1, v2, s6
	s_delay_alu instid0(VALU_DEP_1)
	v_add_co_ci_u32_e64 v3, s1, s7, v3, s1
	s_add_i32 s14, s14, -1
	s_add_i32 s20, s20, 64
	s_cmp_eq_u32 s14, 0
	s_waitcnt_vscnt null, 0x0
	s_barrier
	buffer_gl0_inv
	v_fma_f64 v[4:5], v[6:7], v[14:15], v[4:5]
	s_delay_alu instid0(VALU_DEP_1) | instskip(NEXT) | instid1(VALU_DEP_1)
	v_fma_f64 v[4:5], v[8:9], v[20:21], v[4:5]
	v_fma_f64 v[4:5], v[10:11], v[22:23], v[4:5]
	s_delay_alu instid0(VALU_DEP_1) | instskip(NEXT) | instid1(VALU_DEP_1)
	v_fma_f64 v[4:5], v[24:25], v[32:33], v[4:5]
	;; [unrolled: 3-line block ×7, first 2 shown]
	v_fma_f64 v[18:19], v[62:63], v[70:71], v[4:5]
	s_cbranch_scc1 .LBB110_74
.LBB110_70:                             ; =>This Inner Loop Header: Depth=1
	s_and_saveexec_b32 s21, s3
	s_cbranch_execz .LBB110_72
; %bb.71:                               ;   in Loop: Header=BB110_70 Depth=1
	s_mul_i32 s1, s20, s29
	s_mul_hi_u32 s45, s20, s28
	s_mul_i32 s44, s20, s28
	s_add_i32 s45, s45, s1
	s_delay_alu instid0(SALU_CYCLE_1) | instskip(NEXT) | instid1(SALU_CYCLE_1)
	s_lshl_b64 s[44:45], s[44:45], 3
	v_add_co_u32 v4, s1, v74, s44
	s_delay_alu instid0(VALU_DEP_1)
	v_add_co_ci_u32_e64 v5, s1, s45, v75, s1
	global_load_b64 v[4:5], v[4:5], off
	s_waitcnt vmcnt(0)
	ds_store_b64 v76, v[4:5]
.LBB110_72:                             ;   in Loop: Header=BB110_70 Depth=1
	s_or_b32 exec_lo, exec_lo, s21
	v_add_co_u32 v6, s1, v2, s4
	s_delay_alu instid0(VALU_DEP_1) | instskip(SKIP_1) | instid1(VALU_DEP_1)
	v_add_co_ci_u32_e64 v7, s1, s5, v3, s1
	v_add_co_u32 v8, s1, v2, s8
	v_add_co_ci_u32_e64 v9, s1, s9, v3, s1
	v_add_co_u32 v10, s1, v2, s17
	s_waitcnt lgkmcnt(0)
	s_barrier
	buffer_gl0_inv
	global_load_b64 v[4:5], v[2:3], off
	v_add_co_ci_u32_e64 v11, s1, s16, v3, s1
	s_clause 0x2
	global_load_b64 v[6:7], v[6:7], off
	global_load_b64 v[8:9], v[8:9], off
	global_load_b64 v[10:11], v[10:11], off
	ds_load_b64 v[14:15], v77
	ds_load_b64 v[12:13], v81
	v_add_co_u32 v28, s1, v2, s12
	s_delay_alu instid0(VALU_DEP_1) | instskip(SKIP_1) | instid1(VALU_DEP_1)
	v_add_co_ci_u32_e64 v29, s1, s13, v3, s1
	v_add_co_u32 v30, s1, v2, s43
	v_add_co_ci_u32_e64 v31, s1, s42, v3, s1
	v_add_co_u32 v32, s1, v2, s22
	s_delay_alu instid0(VALU_DEP_1) | instskip(SKIP_1) | instid1(VALU_DEP_1)
	v_add_co_ci_u32_e64 v33, s1, s19, v3, s1
	v_add_co_u32 v34, s1, v2, s24
	v_add_co_ci_u32_e64 v35, s1, s23, v3, s1
	;; [unrolled: 5-line block ×6, first 2 shown]
	s_waitcnt vmcnt(3) lgkmcnt(1)
	v_mul_f64 v[20:21], v[4:5], v[14:15]
	s_waitcnt vmcnt(2)
	v_mul_f64 v[22:23], v[6:7], v[14:15]
	s_waitcnt vmcnt(1)
	;; [unrolled: 2-line block ×3, first 2 shown]
	v_mul_f64 v[26:27], v[10:11], v[14:15]
	ds_store_b64 v82, v[20:21]
	ds_load_b64 v[14:15], v81 offset:8
	ds_store_b64 v82, v[22:23] offset:536
	ds_load_b64 v[20:21], v81 offset:16
	ds_store_b64 v82, v[24:25] offset:1072
	ds_load_b64 v[22:23], v81 offset:24
	ds_store_b64 v82, v[26:27] offset:1608
	s_waitcnt lgkmcnt(0)
	s_barrier
	buffer_gl0_inv
	ds_load_2addr_b64 v[85:88], v80 offset1:1
	ds_load_2addr_b64 v[89:92], v80 offset0:2 offset1:3
	s_waitcnt lgkmcnt(0)
	s_barrier
	buffer_gl0_inv
	s_clause 0x3
	global_load_b64 v[24:25], v[28:29], off
	global_load_b64 v[26:27], v[30:31], off
	global_load_b64 v[28:29], v[32:33], off
	global_load_b64 v[30:31], v[34:35], off
	ds_load_b64 v[34:35], v77
	ds_load_b64 v[32:33], v81 offset:128
	v_add_f64 v[85:86], v[85:86], 0
	s_delay_alu instid0(VALU_DEP_1) | instskip(NEXT) | instid1(VALU_DEP_1)
	v_add_f64 v[85:86], v[85:86], v[87:88]
	v_add_f64 v[85:86], v[85:86], v[89:90]
	s_delay_alu instid0(VALU_DEP_1)
	v_add_f64 v[85:86], v[85:86], v[91:92]
	s_waitcnt vmcnt(2) lgkmcnt(1)
	v_mul_f64 v[38:39], v[26:27], v[34:35]
	v_mul_f64 v[36:37], v[24:25], v[34:35]
	s_waitcnt vmcnt(1)
	v_mul_f64 v[40:41], v[28:29], v[34:35]
	s_waitcnt vmcnt(0)
	v_mul_f64 v[42:43], v[30:31], v[34:35]
	ds_store_b64 v82, v[36:37]
	ds_load_b64 v[34:35], v81 offset:136
	ds_store_b64 v82, v[38:39] offset:536
	ds_load_b64 v[36:37], v81 offset:144
	ds_store_b64 v82, v[40:41] offset:1072
	ds_load_b64 v[38:39], v81 offset:152
	ds_store_b64 v82, v[42:43] offset:1608
	s_waitcnt lgkmcnt(0)
	s_barrier
	buffer_gl0_inv
	ds_load_2addr_b64 v[93:96], v80 offset1:1
	ds_load_2addr_b64 v[97:100], v80 offset0:2 offset1:3
	s_waitcnt lgkmcnt(0)
	s_barrier
	buffer_gl0_inv
	s_clause 0x3
	global_load_b64 v[40:41], v[44:45], off
	global_load_b64 v[42:43], v[46:47], off
	global_load_b64 v[44:45], v[48:49], off
	global_load_b64 v[46:47], v[50:51], off
	ds_load_b64 v[50:51], v77
	ds_load_b64 v[48:49], v81 offset:256
	v_add_f64 v[93:94], v[93:94], 0
	s_delay_alu instid0(VALU_DEP_1) | instskip(NEXT) | instid1(VALU_DEP_1)
	v_add_f64 v[87:88], v[93:94], v[95:96]
	v_add_f64 v[87:88], v[87:88], v[97:98]
	s_delay_alu instid0(VALU_DEP_1)
	v_add_f64 v[87:88], v[87:88], v[99:100]
	s_waitcnt vmcnt(2) lgkmcnt(1)
	v_mul_f64 v[54:55], v[42:43], v[50:51]
	v_mul_f64 v[52:53], v[40:41], v[50:51]
	s_waitcnt vmcnt(1)
	v_mul_f64 v[56:57], v[44:45], v[50:51]
	s_waitcnt vmcnt(0)
	;; [unrolled: 35-line block ×3, first 2 shown]
	v_mul_f64 v[111:112], v[62:63], v[66:67]
	ds_store_b64 v82, v[68:69]
	ds_load_b64 v[66:67], v81 offset:392
	ds_store_b64 v82, v[70:71] offset:536
	ds_load_b64 v[68:69], v81 offset:400
	ds_store_b64 v82, v[109:110] offset:1072
	;; [unrolled: 2-line block ×3, first 2 shown]
	s_waitcnt lgkmcnt(0)
	s_barrier
	buffer_gl0_inv
	ds_load_2addr_b64 v[109:112], v80 offset1:1
	ds_load_2addr_b64 v[113:116], v80 offset0:2 offset1:3
	s_waitcnt lgkmcnt(0)
	s_barrier
	buffer_gl0_inv
	v_add_f64 v[109:110], v[109:110], 0
	s_delay_alu instid0(VALU_DEP_1) | instskip(NEXT) | instid1(VALU_DEP_1)
	v_add_f64 v[95:96], v[109:110], v[111:112]
	v_add_f64 v[93:94], v[95:96], v[113:114]
	s_delay_alu instid0(VALU_DEP_1)
	v_add_f64 v[91:92], v[93:94], v[115:116]
	ds_store_2addr_b64 v83, v[85:86], v[87:88] offset1:16
	ds_store_2addr_b64 v83, v[89:90], v[91:92] offset0:32 offset1:48
	s_waitcnt lgkmcnt(0)
	s_barrier
	buffer_gl0_inv
	s_and_saveexec_b32 s21, s0
	s_cbranch_execz .LBB110_69
; %bb.73:                               ;   in Loop: Header=BB110_70 Depth=1
	ds_load_2addr_b64 v[85:88], v78 offset1:1
	ds_load_2addr_b64 v[89:92], v78 offset0:2 offset1:3
	v_add_nc_u32_e32 v0, s20, v84
	s_waitcnt lgkmcnt(1)
	v_add_f64 v[85:86], v[85:86], v[87:88]
	s_waitcnt lgkmcnt(0)
	s_delay_alu instid0(VALU_DEP_1) | instskip(NEXT) | instid1(VALU_DEP_1)
	v_add_f64 v[85:86], v[85:86], v[89:90]
	v_add_f64 v[93:94], v[85:86], v[91:92]
	ds_load_2addr_b64 v[85:88], v78 offset0:4 offset1:5
	ds_load_2addr_b64 v[89:92], v78 offset0:6 offset1:7
	s_waitcnt lgkmcnt(1)
	v_add_f64 v[85:86], v[93:94], v[85:86]
	s_delay_alu instid0(VALU_DEP_1) | instskip(SKIP_1) | instid1(VALU_DEP_1)
	v_add_f64 v[85:86], v[85:86], v[87:88]
	s_waitcnt lgkmcnt(0)
	v_add_f64 v[85:86], v[85:86], v[89:90]
	s_delay_alu instid0(VALU_DEP_1) | instskip(SKIP_4) | instid1(VALU_DEP_1)
	v_add_f64 v[93:94], v[85:86], v[91:92]
	ds_load_2addr_b64 v[85:88], v78 offset0:8 offset1:9
	ds_load_2addr_b64 v[89:92], v78 offset0:10 offset1:11
	s_waitcnt lgkmcnt(1)
	v_add_f64 v[85:86], v[93:94], v[85:86]
	v_add_f64 v[85:86], v[85:86], v[87:88]
	s_waitcnt lgkmcnt(0)
	s_delay_alu instid0(VALU_DEP_1) | instskip(NEXT) | instid1(VALU_DEP_1)
	v_add_f64 v[85:86], v[85:86], v[89:90]
	v_add_f64 v[89:90], v[85:86], v[91:92]
	ds_load_2addr_b64 v[85:88], v78 offset0:12 offset1:13
	ds_load_b64 v[91:92], v78 offset:112
	s_waitcnt lgkmcnt(1)
	v_add_f64 v[85:86], v[89:90], v[85:86]
	s_delay_alu instid0(VALU_DEP_1) | instskip(SKIP_4) | instid1(VALU_DEP_1)
	v_add_f64 v[85:86], v[85:86], v[87:88]
	ds_load_b64 v[87:88], v79
	s_waitcnt lgkmcnt(1)
	v_add_f64 v[85:86], v[85:86], v[91:92]
	s_waitcnt lgkmcnt(0)
	v_add_f64 v[85:86], v[85:86], v[87:88]
	v_lshlrev_b64 v[87:88], 3, v[0:1]
	s_delay_alu instid0(VALU_DEP_1) | instskip(NEXT) | instid1(VALU_DEP_1)
	v_add_co_u32 v87, s1, s15, v87
	v_add_co_ci_u32_e64 v88, s1, s18, v88, s1
	global_store_b64 v[87:88], v[85:86], off
	s_branch .LBB110_69
.LBB110_74:
	v_mad_u32_u24 v0, 0x218, v72, v73
	s_or_b32 s0, s2, vcc_lo
	s_delay_alu instid0(SALU_CYCLE_1)
	s_xor_b32 s0, s0, -1
	ds_store_b64 v0, v[18:19]
	s_waitcnt lgkmcnt(0)
	s_barrier
	buffer_gl0_inv
	s_and_saveexec_b32 s1, s0
	s_cbranch_execz .LBB110_76
; %bb.75:
	ds_load_2addr_b64 v[0:3], v73 offset1:67
	s_waitcnt lgkmcnt(0)
	v_add_f64 v[4:5], v[0:1], v[2:3]
	ds_load_2addr_b64 v[0:3], v73 offset0:134 offset1:201
	s_waitcnt lgkmcnt(0)
	v_add_f64 v[0:1], v[4:5], v[0:1]
	s_delay_alu instid0(VALU_DEP_1) | instskip(SKIP_1) | instid1(VALU_DEP_1)
	v_add_f64 v[0:1], v[0:1], v[2:3]
	v_lshlrev_b64 v[2:3], 3, v[16:17]
	v_add_co_u32 v2, vcc_lo, s15, v2
	s_delay_alu instid0(VALU_DEP_2)
	v_add_co_ci_u32_e32 v3, vcc_lo, s18, v3, vcc_lo
	global_store_b64 v[2:3], v[0:1], off
.LBB110_76:
	s_nop 0
	s_sendmsg sendmsg(MSG_DEALLOC_VGPRS)
	s_endpgm
	.section	.rodata,"a",@progbits
	.p2align	6, 0x0
	.amdhsa_kernel _ZL26rocblas_hemvn_kernel_lowerILb0ELi64ELi4ELi33ELi32ELi16EldPKdPdEviT6_lT7_lT5_lS4_lS5_lS3_lT8_i
		.amdhsa_group_segment_fixed_size 9600
		.amdhsa_private_segment_fixed_size 0
		.amdhsa_kernarg_size 376
		.amdhsa_user_sgpr_count 14
		.amdhsa_user_sgpr_dispatch_ptr 0
		.amdhsa_user_sgpr_queue_ptr 0
		.amdhsa_user_sgpr_kernarg_segment_ptr 1
		.amdhsa_user_sgpr_dispatch_id 0
		.amdhsa_user_sgpr_private_segment_size 0
		.amdhsa_wavefront_size32 1
		.amdhsa_uses_dynamic_stack 0
		.amdhsa_enable_private_segment 0
		.amdhsa_system_sgpr_workgroup_id_x 1
		.amdhsa_system_sgpr_workgroup_id_y 0
		.amdhsa_system_sgpr_workgroup_id_z 1
		.amdhsa_system_sgpr_workgroup_info 0
		.amdhsa_system_vgpr_workitem_id 1
		.amdhsa_next_free_vgpr 117
		.amdhsa_next_free_sgpr 46
		.amdhsa_reserve_vcc 1
		.amdhsa_float_round_mode_32 0
		.amdhsa_float_round_mode_16_64 0
		.amdhsa_float_denorm_mode_32 3
		.amdhsa_float_denorm_mode_16_64 3
		.amdhsa_dx10_clamp 1
		.amdhsa_ieee_mode 1
		.amdhsa_fp16_overflow 0
		.amdhsa_workgroup_processor_mode 1
		.amdhsa_memory_ordered 1
		.amdhsa_forward_progress 0
		.amdhsa_shared_vgpr_count 0
		.amdhsa_exception_fp_ieee_invalid_op 0
		.amdhsa_exception_fp_denorm_src 0
		.amdhsa_exception_fp_ieee_div_zero 0
		.amdhsa_exception_fp_ieee_overflow 0
		.amdhsa_exception_fp_ieee_underflow 0
		.amdhsa_exception_fp_ieee_inexact 0
		.amdhsa_exception_int_div_zero 0
	.end_amdhsa_kernel
	.section	.text._ZL26rocblas_hemvn_kernel_lowerILb0ELi64ELi4ELi33ELi32ELi16EldPKdPdEviT6_lT7_lT5_lS4_lS5_lS3_lT8_i,"axG",@progbits,_ZL26rocblas_hemvn_kernel_lowerILb0ELi64ELi4ELi33ELi32ELi16EldPKdPdEviT6_lT7_lT5_lS4_lS5_lS3_lT8_i,comdat
.Lfunc_end110:
	.size	_ZL26rocblas_hemvn_kernel_lowerILb0ELi64ELi4ELi33ELi32ELi16EldPKdPdEviT6_lT7_lT5_lS4_lS5_lS3_lT8_i, .Lfunc_end110-_ZL26rocblas_hemvn_kernel_lowerILb0ELi64ELi4ELi33ELi32ELi16EldPKdPdEviT6_lT7_lT5_lS4_lS5_lS3_lT8_i
                                        ; -- End function
	.section	.AMDGPU.csdata,"",@progbits
; Kernel info:
; codeLenInByte = 7168
; NumSgprs: 48
; NumVgprs: 117
; ScratchSize: 0
; MemoryBound: 0
; FloatMode: 240
; IeeeMode: 1
; LDSByteSize: 9600 bytes/workgroup (compile time only)
; SGPRBlocks: 5
; VGPRBlocks: 14
; NumSGPRsForWavesPerEU: 48
; NumVGPRsForWavesPerEU: 117
; Occupancy: 12
; WaveLimiterHint : 1
; COMPUTE_PGM_RSRC2:SCRATCH_EN: 0
; COMPUTE_PGM_RSRC2:USER_SGPR: 14
; COMPUTE_PGM_RSRC2:TRAP_HANDLER: 0
; COMPUTE_PGM_RSRC2:TGID_X_EN: 1
; COMPUTE_PGM_RSRC2:TGID_Y_EN: 0
; COMPUTE_PGM_RSRC2:TGID_Z_EN: 1
; COMPUTE_PGM_RSRC2:TIDIG_COMP_CNT: 1
	.section	.text._ZL36rocblas_hemvn_kernel_lower_block_sumILi64EldPddEviT1_lS1_lT2_lT0_lPT3_i,"axG",@progbits,_ZL36rocblas_hemvn_kernel_lower_block_sumILi64EldPddEviT1_lS1_lT2_lT0_lPT3_i,comdat
	.globl	_ZL36rocblas_hemvn_kernel_lower_block_sumILi64EldPddEviT1_lS1_lT2_lT0_lPT3_i ; -- Begin function _ZL36rocblas_hemvn_kernel_lower_block_sumILi64EldPddEviT1_lS1_lT2_lT0_lPT3_i
	.p2align	8
	.type	_ZL36rocblas_hemvn_kernel_lower_block_sumILi64EldPddEviT1_lS1_lT2_lT0_lPT3_i,@function
_ZL36rocblas_hemvn_kernel_lower_block_sumILi64EldPddEviT1_lS1_lT2_lT0_lPT3_i: ; @_ZL36rocblas_hemvn_kernel_lower_block_sumILi64EldPddEviT1_lS1_lT2_lT0_lPT3_i
; %bb.0:
	s_clause 0x1
	s_load_b64 s[8:9], s[0:1], 0x8
	s_load_b64 s[10:11], s[0:1], 0x18
	s_waitcnt lgkmcnt(0)
	v_cmp_eq_f64_e64 s2, s[8:9], 0
	v_cmp_eq_f64_e64 s3, s[10:11], 1.0
	s_delay_alu instid0(VALU_DEP_1) | instskip(NEXT) | instid1(SALU_CYCLE_1)
	s_and_b32 s2, s2, s3
	s_and_b32 vcc_lo, exec_lo, s2
	s_cbranch_vccnz .LBB111_19
; %bb.1:
	v_cmp_neq_f64_e64 s13, s[8:9], 0
	s_clause 0x3
	s_load_b64 s[2:3], s[0:1], 0x40
	s_load_b64 s[16:17], s[0:1], 0x28
	s_load_b128 s[4:7], s[0:1], 0x30
	s_load_b32 s12, s[0:1], 0x0
	v_lshl_or_b32 v0, s14, 6, v0
	s_waitcnt lgkmcnt(0)
	s_mul_i32 s3, s15, s3
	s_mul_hi_u32 s18, s15, s2
	s_mul_i32 s2, s15, s2
	s_add_i32 s3, s18, s3
	s_delay_alu instid0(SALU_CYCLE_1) | instskip(NEXT) | instid1(SALU_CYCLE_1)
	s_lshl_b64 s[2:3], s[2:3], 3
	s_add_u32 s2, s16, s2
	s_addc_u32 s16, s17, s3
	s_lshl_b64 s[4:5], s[4:5], 3
	s_delay_alu instid0(SALU_CYCLE_1) | instskip(SKIP_3) | instid1(VALU_DEP_3)
	s_add_u32 s3, s2, s4
	v_cmp_gt_i32_e64 s2, s12, v0
	s_addc_u32 s4, s16, s5
	s_mov_b32 s5, 0
	s_and_b32 vcc_lo, exec_lo, s13
	s_cbranch_vccnz .LBB111_6
; %bb.2:
	s_mov_b32 s13, 0
                                        ; implicit-def: $vgpr3_vgpr4
                                        ; implicit-def: $vgpr1_vgpr2
	s_and_saveexec_b32 s16, s2
	s_cbranch_execz .LBB111_7
; %bb.3:
	v_cmp_eq_f64_e64 s2, s[10:11], 0
	v_ashrrev_i32_e32 v1, 31, v0
	v_mul_lo_u32 v3, v0, s7
	s_delay_alu instid0(VALU_DEP_2) | instskip(SKIP_1) | instid1(VALU_DEP_1)
	v_mul_lo_u32 v4, v1, s6
	v_mad_u64_u32 v[1:2], null, v0, s6, 0
	v_add3_u32 v2, v2, v3, v4
	v_mov_b32_e32 v3, 0
	v_mov_b32_e32 v4, 0
	s_and_b32 vcc_lo, exec_lo, s2
	s_cbranch_vccnz .LBB111_5
; %bb.4:
	s_delay_alu instid0(VALU_DEP_4) | instskip(NEXT) | instid1(VALU_DEP_1)
	v_lshlrev_b64 v[3:4], 3, v[1:2]
	v_add_co_u32 v3, vcc_lo, s3, v3
	s_delay_alu instid0(VALU_DEP_2)
	v_add_co_ci_u32_e32 v4, vcc_lo, s4, v4, vcc_lo
	global_load_b64 v[3:4], v[3:4], off
	s_waitcnt vmcnt(0)
	v_mul_f64 v[3:4], v[3:4], s[10:11]
.LBB111_5:
	s_mov_b32 s5, exec_lo
	s_or_b32 exec_lo, exec_lo, s16
	s_delay_alu instid0(SALU_CYCLE_1)
	s_and_b32 vcc_lo, exec_lo, s13
	s_cbranch_vccnz .LBB111_8
	s_branch .LBB111_17
.LBB111_6:
                                        ; implicit-def: $vgpr3_vgpr4
                                        ; implicit-def: $vgpr1_vgpr2
	s_cbranch_execnz .LBB111_8
	s_branch .LBB111_17
.LBB111_7:
	s_or_b32 exec_lo, exec_lo, s16
	s_delay_alu instid0(SALU_CYCLE_1)
	s_and_b32 vcc_lo, exec_lo, s13
	s_cbranch_vccz .LBB111_17
.LBB111_8:
	s_mov_b32 s2, exec_lo
                                        ; implicit-def: $vgpr3_vgpr4
                                        ; implicit-def: $vgpr1_vgpr2
	v_cmpx_gt_i32_e64 s12, v0
	s_cbranch_execz .LBB111_16
; %bb.9:
	s_load_b32 s16, s[0:1], 0x58
	v_mov_b32_e32 v5, 0
	v_mov_b32_e32 v6, 0
	s_waitcnt lgkmcnt(0)
	s_cmp_ge_i32 s14, s16
	s_cbranch_scc1 .LBB111_12
; %bb.10:
	s_load_b64 s[0:1], s[0:1], 0x48
	v_mad_u64_u32 v[1:2], null, s14, s12, v[0:1]
	s_ashr_i32 s13, s12, 31
	s_mul_hi_u32 s17, s12, s15
	s_mul_i32 s18, s13, s15
	s_mul_i32 s15, s12, s15
	s_add_i32 s17, s17, s18
	s_mul_hi_u32 s19, s15, s16
	s_delay_alu instid0(VALU_DEP_1)
	v_ashrrev_i32_e32 v2, 31, v1
	s_mul_i32 s17, s17, s16
	s_mul_i32 s18, s15, s16
	s_add_i32 s19, s19, s17
	v_mov_b32_e32 v5, 0
	v_lshlrev_b64 v[1:2], 3, v[1:2]
	s_lshl_b64 s[18:19], s[18:19], 3
	v_mov_b32_e32 v6, 0
	s_waitcnt lgkmcnt(0)
	s_add_u32 s0, s0, s18
	s_addc_u32 s1, s1, s19
	v_add_co_u32 v1, vcc_lo, s0, v1
	v_add_co_ci_u32_e32 v2, vcc_lo, s1, v2, vcc_lo
	s_lshl_b64 s[0:1], s[12:13], 3
.LBB111_11:                             ; =>This Inner Loop Header: Depth=1
	global_load_b64 v[3:4], v[1:2], off
	v_add_co_u32 v1, vcc_lo, v1, s0
	v_add_co_ci_u32_e32 v2, vcc_lo, s1, v2, vcc_lo
	s_add_i32 s14, s14, 1
	s_delay_alu instid0(SALU_CYCLE_1)
	s_cmp_ge_i32 s14, s16
	s_waitcnt vmcnt(0)
	v_add_f64 v[5:6], v[5:6], v[3:4]
	s_cbranch_scc0 .LBB111_11
.LBB111_12:
	v_cmp_eq_f64_e64 s0, s[10:11], 0
	v_ashrrev_i32_e32 v1, 31, v0
	v_mul_lo_u32 v7, v0, s7
	s_delay_alu instid0(VALU_DEP_2) | instskip(NEXT) | instid1(VALU_DEP_4)
	v_mul_lo_u32 v8, v1, s6
	s_and_b32 vcc_lo, exec_lo, s0
	s_cbranch_vccz .LBB111_20
; %bb.13:
	v_mad_u64_u32 v[1:2], null, v0, s6, 0
	v_mul_f64 v[3:4], v[5:6], s[8:9]
	s_delay_alu instid0(VALU_DEP_2)
	v_add3_u32 v2, v2, v7, v8
	s_cbranch_execnz .LBB111_15
.LBB111_14:
	v_mad_u64_u32 v[1:2], null, v0, s6, 0
	s_delay_alu instid0(VALU_DEP_1) | instskip(NEXT) | instid1(VALU_DEP_1)
	v_add3_u32 v2, v2, v7, v8
	v_lshlrev_b64 v[3:4], 3, v[1:2]
	s_delay_alu instid0(VALU_DEP_1) | instskip(NEXT) | instid1(VALU_DEP_2)
	v_add_co_u32 v3, vcc_lo, s3, v3
	v_add_co_ci_u32_e32 v4, vcc_lo, s4, v4, vcc_lo
	global_load_b64 v[3:4], v[3:4], off
	s_waitcnt vmcnt(0)
	v_mul_f64 v[3:4], v[3:4], s[10:11]
	s_delay_alu instid0(VALU_DEP_1)
	v_fma_f64 v[3:4], v[5:6], s[8:9], v[3:4]
.LBB111_15:
	s_or_b32 s5, s5, exec_lo
.LBB111_16:
	s_or_b32 exec_lo, exec_lo, s2
.LBB111_17:
	s_and_saveexec_b32 s0, s5
	s_cbranch_execz .LBB111_19
; %bb.18:
	v_lshlrev_b64 v[0:1], 3, v[1:2]
	s_delay_alu instid0(VALU_DEP_1) | instskip(NEXT) | instid1(VALU_DEP_2)
	v_add_co_u32 v0, vcc_lo, s3, v0
	v_add_co_ci_u32_e32 v1, vcc_lo, s4, v1, vcc_lo
	global_store_b64 v[0:1], v[3:4], off
.LBB111_19:
	s_nop 0
	s_sendmsg sendmsg(MSG_DEALLOC_VGPRS)
	s_endpgm
.LBB111_20:
                                        ; implicit-def: $vgpr3_vgpr4
                                        ; implicit-def: $vgpr1_vgpr2
	s_branch .LBB111_14
	.section	.rodata,"a",@progbits
	.p2align	6, 0x0
	.amdhsa_kernel _ZL36rocblas_hemvn_kernel_lower_block_sumILi64EldPddEviT1_lS1_lT2_lT0_lPT3_i
		.amdhsa_group_segment_fixed_size 0
		.amdhsa_private_segment_fixed_size 0
		.amdhsa_kernarg_size 344
		.amdhsa_user_sgpr_count 14
		.amdhsa_user_sgpr_dispatch_ptr 0
		.amdhsa_user_sgpr_queue_ptr 0
		.amdhsa_user_sgpr_kernarg_segment_ptr 1
		.amdhsa_user_sgpr_dispatch_id 0
		.amdhsa_user_sgpr_private_segment_size 0
		.amdhsa_wavefront_size32 1
		.amdhsa_uses_dynamic_stack 0
		.amdhsa_enable_private_segment 0
		.amdhsa_system_sgpr_workgroup_id_x 1
		.amdhsa_system_sgpr_workgroup_id_y 0
		.amdhsa_system_sgpr_workgroup_id_z 1
		.amdhsa_system_sgpr_workgroup_info 0
		.amdhsa_system_vgpr_workitem_id 0
		.amdhsa_next_free_vgpr 9
		.amdhsa_next_free_sgpr 20
		.amdhsa_reserve_vcc 1
		.amdhsa_float_round_mode_32 0
		.amdhsa_float_round_mode_16_64 0
		.amdhsa_float_denorm_mode_32 3
		.amdhsa_float_denorm_mode_16_64 3
		.amdhsa_dx10_clamp 1
		.amdhsa_ieee_mode 1
		.amdhsa_fp16_overflow 0
		.amdhsa_workgroup_processor_mode 1
		.amdhsa_memory_ordered 1
		.amdhsa_forward_progress 0
		.amdhsa_shared_vgpr_count 0
		.amdhsa_exception_fp_ieee_invalid_op 0
		.amdhsa_exception_fp_denorm_src 0
		.amdhsa_exception_fp_ieee_div_zero 0
		.amdhsa_exception_fp_ieee_overflow 0
		.amdhsa_exception_fp_ieee_underflow 0
		.amdhsa_exception_fp_ieee_inexact 0
		.amdhsa_exception_int_div_zero 0
	.end_amdhsa_kernel
	.section	.text._ZL36rocblas_hemvn_kernel_lower_block_sumILi64EldPddEviT1_lS1_lT2_lT0_lPT3_i,"axG",@progbits,_ZL36rocblas_hemvn_kernel_lower_block_sumILi64EldPddEviT1_lS1_lT2_lT0_lPT3_i,comdat
.Lfunc_end111:
	.size	_ZL36rocblas_hemvn_kernel_lower_block_sumILi64EldPddEviT1_lS1_lT2_lT0_lPT3_i, .Lfunc_end111-_ZL36rocblas_hemvn_kernel_lower_block_sumILi64EldPddEviT1_lS1_lT2_lT0_lPT3_i
                                        ; -- End function
	.section	.AMDGPU.csdata,"",@progbits
; Kernel info:
; codeLenInByte = 764
; NumSgprs: 22
; NumVgprs: 9
; ScratchSize: 0
; MemoryBound: 0
; FloatMode: 240
; IeeeMode: 1
; LDSByteSize: 0 bytes/workgroup (compile time only)
; SGPRBlocks: 2
; VGPRBlocks: 1
; NumSGPRsForWavesPerEU: 22
; NumVGPRsForWavesPerEU: 9
; Occupancy: 16
; WaveLimiterHint : 0
; COMPUTE_PGM_RSRC2:SCRATCH_EN: 0
; COMPUTE_PGM_RSRC2:USER_SGPR: 14
; COMPUTE_PGM_RSRC2:TRAP_HANDLER: 0
; COMPUTE_PGM_RSRC2:TGID_X_EN: 1
; COMPUTE_PGM_RSRC2:TGID_Y_EN: 0
; COMPUTE_PGM_RSRC2:TGID_Z_EN: 1
; COMPUTE_PGM_RSRC2:TIDIG_COMP_CNT: 0
	.section	.text._ZL26rocblas_hemvn_kernel_lowerILb0ELi64ELi4ELi33ELi32ELi16EidPKdPdEviT6_lT7_lT5_lS4_lS5_lS3_lT8_i,"axG",@progbits,_ZL26rocblas_hemvn_kernel_lowerILb0ELi64ELi4ELi33ELi32ELi16EidPKdPdEviT6_lT7_lT5_lS4_lS5_lS3_lT8_i,comdat
	.globl	_ZL26rocblas_hemvn_kernel_lowerILb0ELi64ELi4ELi33ELi32ELi16EidPKdPdEviT6_lT7_lT5_lS4_lS5_lS3_lT8_i ; -- Begin function _ZL26rocblas_hemvn_kernel_lowerILb0ELi64ELi4ELi33ELi32ELi16EidPKdPdEviT6_lT7_lT5_lS4_lS5_lS3_lT8_i
	.p2align	8
	.type	_ZL26rocblas_hemvn_kernel_lowerILb0ELi64ELi4ELi33ELi32ELi16EidPKdPdEviT6_lT7_lT5_lS4_lS5_lS3_lT8_i,@function
_ZL26rocblas_hemvn_kernel_lowerILb0ELi64ELi4ELi33ELi32ELi16EidPKdPdEviT6_lT7_lT5_lS4_lS5_lS3_lT8_i: ; @_ZL26rocblas_hemvn_kernel_lowerILb0ELi64ELi4ELi33ELi32ELi16EidPKdPdEviT6_lT7_lT5_lS4_lS5_lS3_lT8_i
; %bb.0:
	s_load_b64 s[4:5], s[0:1], 0x84
	s_add_u32 s2, s0, 0x78
	s_addc_u32 s3, s1, 0
	s_waitcnt lgkmcnt(0)
	s_lshr_b32 s6, s4, 16
	s_and_b32 s4, s4, 0xffff
	s_and_b32 s5, s5, 0xffff
	s_mul_i32 s4, s6, s4
	s_delay_alu instid0(SALU_CYCLE_1) | instskip(NEXT) | instid1(SALU_CYCLE_1)
	s_mul_i32 s4, s4, s5
	s_cmpk_lg_i32 s4, 0x100
	s_cbranch_scc1 .LBB112_76
; %bb.1:
	s_clause 0x1
	s_load_b64 s[4:5], s[0:1], 0x8
	s_load_b128 s[8:11], s[0:1], 0x50
	s_waitcnt lgkmcnt(0)
	v_cmp_eq_f64_e64 s4, s[4:5], 0
	v_cmp_eq_f64_e64 s5, s[10:11], 1.0
	s_delay_alu instid0(VALU_DEP_1) | instskip(NEXT) | instid1(SALU_CYCLE_1)
	s_and_b32 s5, s4, s5
	s_and_b32 vcc_lo, exec_lo, s5
	s_cbranch_vccnz .LBB112_76
; %bb.2:
	s_and_b32 vcc_lo, exec_lo, s4
	s_cbranch_vccnz .LBB112_76
; %bb.3:
	s_clause 0x2
	s_load_b128 s[4:7], s[0:1], 0x30
	s_load_b64 s[10:11], s[0:1], 0x40
	s_load_b32 s24, s[0:1], 0x48
	s_mul_i32 s9, s15, s9
	s_mul_hi_u32 s12, s15, s8
	s_mul_i32 s8, s15, s8
	s_add_i32 s9, s12, s9
	v_and_b32_e32 v25, 0x3ff, v0
	s_lshl_b64 s[8:9], s[8:9], 3
	s_load_b32 s25, s[0:1], 0x0
	s_load_b32 s26, s[2:3], 0x0
	v_bfe_u32 v71, v0, 10, 10
	s_waitcnt lgkmcnt(0)
	s_add_u32 s8, s6, s8
	s_addc_u32 s9, s7, s9
	s_lshl_b64 s[6:7], s[10:11], 3
	s_delay_alu instid0(SALU_CYCLE_1) | instskip(SKIP_2) | instid1(SALU_CYCLE_1)
	s_add_u32 s6, s8, s6
	s_addc_u32 s7, s9, s7
	s_lshl_b32 s12, s14, 6
	v_add_nc_u32_e32 v16, s12, v25
	s_ashr_i32 s27, s25, 31
	s_add_i32 s8, s26, -1
	s_lshr_b32 s2, s27, 26
	s_delay_alu instid0(VALU_DEP_1) | instskip(SKIP_3) | instid1(SALU_CYCLE_1)
	v_mul_lo_u32 v1, v16, s24
	s_add_i32 s3, s25, s2
	v_cmp_ne_u32_e64 s2, 0, v71
	s_and_not1_b32 s3, s3, 63
	s_sub_i32 s9, s25, s3
	v_cmp_eq_u32_e64 s3, 0, v71
	s_cmp_eq_u32 s14, s8
	s_delay_alu instid0(VALU_DEP_3) | instskip(SKIP_1) | instid1(VALU_DEP_1)
	v_ashrrev_i32_e32 v2, 31, v1
	s_cselect_b32 s16, s9, 0
	v_lshlrev_b64 v[0:1], 3, v[1:2]
	s_delay_alu instid0(VALU_DEP_1) | instskip(NEXT) | instid1(VALU_DEP_2)
	v_add_co_u32 v19, vcc_lo, s6, v0
	v_add_co_ci_u32_e32 v20, vcc_lo, s7, v1, vcc_lo
	s_and_saveexec_b32 s6, s3
	s_cbranch_execz .LBB112_7
; %bb.4:
	v_cmp_gt_i32_e32 vcc_lo, s16, v25
	s_cmp_eq_u32 s16, 0
	v_mov_b32_e32 v0, 0
	v_mov_b32_e32 v1, 0
	s_cselect_b32 s7, -1, 0
	s_delay_alu instid0(SALU_CYCLE_1) | instskip(NEXT) | instid1(SALU_CYCLE_1)
	s_or_b32 s8, s7, vcc_lo
	s_and_saveexec_b32 s7, s8
	s_cbranch_execz .LBB112_6
; %bb.5:
	global_load_b64 v[0:1], v[19:20], off
.LBB112_6:
	s_or_b32 exec_lo, exec_lo, s7
	v_lshlrev_b32_e32 v2, 3, v25
	s_waitcnt vmcnt(0)
	ds_store_b64 v2, v[0:1] offset:9088
.LBB112_7:
	s_or_b32 exec_lo, exec_lo, s6
	s_clause 0x1
	s_load_b128 s[20:23], s[0:1], 0x18
	s_load_b32 s10, s[0:1], 0x28
	v_lshl_add_u32 v26, v71, 6, v25
	v_and_b32_e32 v0, 31, v25
	s_mul_i32 s5, s15, s5
	s_mul_hi_u32 s6, s15, s4
	s_mul_i32 s4, s15, s4
	v_lshrrev_b32_e32 v11, 5, v26
	s_add_i32 s5, s6, s5
	s_delay_alu instid0(SALU_CYCLE_1)
	s_lshl_b64 s[4:5], s[4:5], 3
	s_waitcnt lgkmcnt(0)
	s_add_u32 s6, s20, s4
	v_mad_u64_u32 v[1:2], null, v11, s10, v[0:1]
	s_addc_u32 s7, s21, s5
	s_lshl_b64 s[4:5], s[22:23], 3
	s_delay_alu instid0(SALU_CYCLE_1) | instskip(SKIP_2) | instid1(VALU_DEP_1)
	s_add_u32 s8, s6, s4
	s_addc_u32 s7, s7, s5
	s_ashr_i32 s13, s12, 31
	v_ashrrev_i32_e32 v2, 31, v1
	s_lshl_b64 s[4:5], s[12:13], 3
	s_mul_i32 s6, s12, s10
	s_add_u32 s4, s8, s4
	s_addc_u32 s5, s7, s5
	s_ashr_i32 s7, s6, 31
	v_lshlrev_b64 v[21:22], 3, v[1:2]
	s_lshl_b64 s[18:19], s[6:7], 3
	s_delay_alu instid0(SALU_CYCLE_1) | instskip(SKIP_2) | instid1(VALU_DEP_1)
	s_add_u32 s4, s18, s4
	s_addc_u32 s5, s19, s5
	s_cmp_lg_u32 s16, 0
	v_add_co_u32 v1, vcc_lo, s4, v21
	v_add_co_ci_u32_e32 v2, vcc_lo, s5, v22, vcc_lo
	s_cselect_b32 s13, -1, 0
	s_cmp_eq_u32 s16, 0
	s_mov_b32 s4, 0
	s_cselect_b32 s9, -1, 0
	s_and_b32 vcc_lo, exec_lo, s13
	s_cbranch_vccnz .LBB112_9
; %bb.8:
	s_lshl_b32 s6, s10, 3
	s_ashr_i32 s11, s10, 31
	s_ashr_i32 s7, s6, 31
	v_mul_u32_u24_e32 v12, 33, v11
	s_lshl_b64 s[6:7], s[6:7], 3
	s_delay_alu instid0(SALU_CYCLE_1) | instskip(SKIP_3) | instid1(VALU_DEP_3)
	v_add_co_u32 v3, vcc_lo, v1, s6
	v_add_co_ci_u32_e32 v4, vcc_lo, s7, v2, vcc_lo
	s_lshl_b64 s[6:7], s[10:11], 6
	v_add_lshl_u32 v12, v12, v0, 3
	v_add_co_u32 v5, vcc_lo, v3, s6
	s_delay_alu instid0(VALU_DEP_3) | instskip(NEXT) | instid1(VALU_DEP_2)
	v_add_co_ci_u32_e32 v6, vcc_lo, s7, v4, vcc_lo
	v_add_co_u32 v7, vcc_lo, v5, s6
	s_delay_alu instid0(VALU_DEP_2)
	v_add_co_ci_u32_e32 v8, vcc_lo, s7, v6, vcc_lo
	s_clause 0x1
	global_load_b64 v[9:10], v[1:2], off
	global_load_b64 v[3:4], v[3:4], off
	;; [unrolled: 1-line block ×4, first 2 shown]
	s_waitcnt vmcnt(3)
	ds_store_b64 v12, v[9:10]
	s_waitcnt vmcnt(2)
	ds_store_b64 v12, v[3:4] offset:2112
	s_waitcnt vmcnt(1)
	ds_store_b64 v12, v[5:6] offset:4224
	;; [unrolled: 2-line block ×3, first 2 shown]
	s_and_not1_b32 vcc_lo, exec_lo, s4
	s_cbranch_vccz .LBB112_10
	s_branch .LBB112_19
.LBB112_9:
.LBB112_10:
	v_dual_mov_b32 v7, 0 :: v_dual_lshlrev_b32 v12, 3, v0
	s_ashr_i32 s17, s16, 31
	s_mov_b32 s5, exec_lo
	s_lshl_b64 s[6:7], s[16:17], 3
	s_delay_alu instid0(VALU_DEP_1) | instskip(SKIP_1) | instid1(VALU_DEP_2)
	v_sub_co_u32 v3, vcc_lo, v1, v12
	v_subrev_co_ci_u32_e32 v4, vcc_lo, 0, v2, vcc_lo
	v_add_co_u32 v3, vcc_lo, v3, s6
	s_delay_alu instid0(VALU_DEP_2) | instskip(NEXT) | instid1(VALU_DEP_2)
	v_add_co_ci_u32_e32 v4, vcc_lo, s7, v4, vcc_lo
	v_add_co_u32 v3, vcc_lo, v3, -8
	s_delay_alu instid0(VALU_DEP_2) | instskip(SKIP_1) | instid1(VALU_DEP_3)
	v_add_co_ci_u32_e32 v4, vcc_lo, -1, v4, vcc_lo
	v_cmp_gt_i32_e32 vcc_lo, s16, v0
	v_dual_mov_b32 v8, 0 :: v_dual_cndmask_b32 v3, v3, v1
	s_delay_alu instid0(VALU_DEP_3) | instskip(NEXT) | instid1(VALU_DEP_2)
	v_dual_cndmask_b32 v4, v4, v2 :: v_dual_mov_b32 v5, v7
	v_mov_b32_e32 v6, v8
	v_cmpx_gt_i32_e64 s16, v11
	s_cbranch_execz .LBB112_12
; %bb.11:
	global_load_b64 v[5:6], v[3:4], off
.LBB112_12:
	s_or_b32 exec_lo, exec_lo, s5
	v_mul_u32_u24_e32 v9, 33, v11
	v_add_nc_u32_e32 v10, 8, v11
	s_mov_b32 s5, exec_lo
	s_delay_alu instid0(VALU_DEP_2)
	v_add_lshl_u32 v13, v9, v0, 3
	s_waitcnt vmcnt(0)
	ds_store_b64 v13, v[5:6]
	v_cmpx_gt_i32_e64 s16, v10
	s_cbranch_execz .LBB112_14
; %bb.13:
	s_lshl_b32 s20, s10, 3
	s_delay_alu instid0(SALU_CYCLE_1) | instskip(NEXT) | instid1(SALU_CYCLE_1)
	s_ashr_i32 s21, s20, 31
	s_lshl_b64 s[20:21], s[20:21], 3
	s_delay_alu instid0(SALU_CYCLE_1) | instskip(NEXT) | instid1(VALU_DEP_1)
	v_add_co_u32 v5, s4, v3, s20
	v_add_co_ci_u32_e64 v6, s4, s21, v4, s4
	global_load_b64 v[7:8], v[5:6], off
.LBB112_14:
	s_or_b32 exec_lo, exec_lo, s5
	v_mov_b32_e32 v5, 0
	v_dual_mov_b32 v6, 0 :: v_dual_add_nc_u32 v9, 16, v11
	s_waitcnt vmcnt(0)
	ds_store_b64 v13, v[7:8] offset:2112
	v_cmp_gt_i32_e64 s4, s16, v9
	v_dual_mov_b32 v10, v6 :: v_dual_mov_b32 v9, v5
	s_delay_alu instid0(VALU_DEP_2)
	s_and_saveexec_b32 s5, s4
	s_cbranch_execz .LBB112_16
; %bb.15:
	s_lshl_b32 s20, s10, 4
	s_delay_alu instid0(SALU_CYCLE_1) | instskip(NEXT) | instid1(SALU_CYCLE_1)
	s_ashr_i32 s21, s20, 31
	s_lshl_b64 s[20:21], s[20:21], 3
	s_delay_alu instid0(SALU_CYCLE_1) | instskip(NEXT) | instid1(VALU_DEP_1)
	v_add_co_u32 v7, s4, v3, s20
	v_add_co_ci_u32_e64 v8, s4, s21, v4, s4
	global_load_b64 v[9:10], v[7:8], off
.LBB112_16:
	s_or_b32 exec_lo, exec_lo, s5
	v_add_nc_u32_e32 v7, 24, v11
	s_mov_b32 s5, exec_lo
	s_waitcnt vmcnt(0)
	ds_store_b64 v13, v[9:10] offset:4224
	v_cmpx_gt_i32_e64 s16, v7
	s_cbranch_execz .LBB112_18
; %bb.17:
	s_mul_i32 s20, s10, 24
	s_delay_alu instid0(SALU_CYCLE_1) | instskip(NEXT) | instid1(SALU_CYCLE_1)
	s_ashr_i32 s21, s20, 31
	s_lshl_b64 s[20:21], s[20:21], 3
	s_delay_alu instid0(SALU_CYCLE_1) | instskip(NEXT) | instid1(VALU_DEP_1)
	v_add_co_u32 v5, s4, v3, s20
	v_add_co_ci_u32_e64 v6, s4, s21, v4, s4
	global_load_b64 v[5:6], v[5:6], off
.LBB112_18:
	s_or_b32 exec_lo, exec_lo, s5
	v_add_co_u32 v3, s4, v3, v12
	s_delay_alu instid0(VALU_DEP_1) | instskip(SKIP_3) | instid1(VALU_DEP_1)
	v_add_co_ci_u32_e64 v4, s4, 0, v4, s4
	s_waitcnt vmcnt(0)
	ds_store_b64 v13, v[5:6] offset:6336
	v_sub_co_u32 v3, s4, v3, s6
	v_subrev_co_ci_u32_e64 v4, s4, s7, v4, s4
	s_delay_alu instid0(VALU_DEP_2) | instskip(NEXT) | instid1(VALU_DEP_1)
	v_add_co_u32 v3, s4, v3, 8
	v_add_co_ci_u32_e64 v4, s4, 0, v4, s4
	s_delay_alu instid0(VALU_DEP_1)
	v_dual_cndmask_b32 v1, v3, v1 :: v_dual_cndmask_b32 v2, v4, v2
.LBB112_19:
	v_lshlrev_b32_e32 v3, 2, v11
	v_mul_u32_u24_e32 v27, 33, v0
	v_mul_u32_u24_e32 v4, 0x84, v11
	s_waitcnt lgkmcnt(0)
	s_barrier
	v_cmp_lt_u32_e64 s5, v3, v0
	v_add_lshl_u32 v29, v3, v27, 3
	buffer_gl0_inv
	s_and_saveexec_b32 s4, s5
	s_cbranch_execz .LBB112_21
; %bb.20:
	v_add_lshl_u32 v5, v4, v0, 3
	ds_load_b64 v[5:6], v5
	s_waitcnt lgkmcnt(0)
	ds_store_b64 v29, v[5:6]
.LBB112_21:
	s_or_b32 exec_lo, exec_lo, s4
	v_or_b32_e32 v5, 1, v3
	s_delay_alu instid0(VALU_DEP_1) | instskip(NEXT) | instid1(VALU_DEP_1)
	v_cmp_lt_u32_e64 s6, v5, v0
	s_and_saveexec_b32 s4, s6
	s_cbranch_execz .LBB112_23
; %bb.22:
	v_mul_u32_u24_e32 v5, 33, v5
	s_delay_alu instid0(VALU_DEP_1)
	v_add_lshl_u32 v5, v5, v0, 3
	ds_load_b64 v[5:6], v5
	s_waitcnt lgkmcnt(0)
	ds_store_b64 v29, v[5:6] offset:8
.LBB112_23:
	s_or_b32 exec_lo, exec_lo, s4
	v_or_b32_e32 v5, 2, v3
	s_delay_alu instid0(VALU_DEP_1) | instskip(NEXT) | instid1(VALU_DEP_1)
	v_cmp_lt_u32_e64 s7, v5, v0
	s_and_saveexec_b32 s4, s7
	s_cbranch_execz .LBB112_25
; %bb.24:
	v_mul_u32_u24_e32 v5, 33, v5
	s_delay_alu instid0(VALU_DEP_1)
	v_add_lshl_u32 v5, v5, v0, 3
	ds_load_b64 v[5:6], v5
	s_waitcnt lgkmcnt(0)
	ds_store_b64 v29, v[5:6] offset:16
.LBB112_25:
	s_or_b32 exec_lo, exec_lo, s4
	v_or_b32_e32 v5, 3, v3
	s_delay_alu instid0(VALU_DEP_1) | instskip(SKIP_1) | instid1(VALU_DEP_2)
	v_mad_u32_u24 v6, v5, 33, v0
	v_cmp_lt_u32_e64 s8, v5, v0
	v_lshlrev_b32_e32 v9, 3, v6
	s_delay_alu instid0(VALU_DEP_2)
	s_and_saveexec_b32 s4, s8
	s_cbranch_execz .LBB112_27
; %bb.26:
	ds_load_b64 v[5:6], v9
	s_waitcnt lgkmcnt(0)
	ds_store_b64 v29, v[5:6] offset:24
.LBB112_27:
	s_or_b32 exec_lo, exec_lo, s4
	v_add_lshl_u32 v10, v4, v0, 3
	v_dual_mov_b32 v17, 0 :: v_dual_lshlrev_b32 v12, 3, v3
	s_waitcnt lgkmcnt(0)
	s_barrier
	buffer_gl0_inv
	ds_load_b64 v[7:8], v10
	ds_load_b128 v[3:6], v12 offset:9088
	v_dual_mov_b32 v18, 0 :: v_dual_add_nc_u32 v13, 0xfffffdf0, v9
	v_add_lshl_u32 v28, v11, v27, 3
	v_cmp_gt_u32_e64 s4, 32, v26
	ds_load_2addr_b64 v[30:33], v13 offset1:33
	s_waitcnt lgkmcnt(1)
	v_fma_f64 v[3:4], v[7:8], v[3:4], 0
	s_waitcnt lgkmcnt(0)
	s_delay_alu instid0(VALU_DEP_1)
	v_fma_f64 v[7:8], v[30:31], v[5:6], v[3:4]
	ds_load_b128 v[3:6], v12 offset:9104
	ds_load_b64 v[14:15], v9
	s_waitcnt lgkmcnt(0)
	s_barrier
	buffer_gl0_inv
	v_fma_f64 v[3:4], v[32:33], v[3:4], v[7:8]
	s_delay_alu instid0(VALU_DEP_1)
	v_fma_f64 v[3:4], v[14:15], v[5:6], v[3:4]
	ds_store_b64 v28, v[3:4]
	s_waitcnt lgkmcnt(0)
	s_barrier
	buffer_gl0_inv
	s_and_saveexec_b32 s11, s4
	s_cbranch_execz .LBB112_29
; %bb.28:
	v_lshlrev_b32_e32 v14, 3, v27
	ds_load_2addr_b64 v[3:6], v14 offset1:1
	ds_load_2addr_b64 v[30:33], v14 offset0:2 offset1:3
	s_waitcnt lgkmcnt(1)
	v_add_f64 v[3:4], v[3:4], v[5:6]
	s_waitcnt lgkmcnt(0)
	s_delay_alu instid0(VALU_DEP_1) | instskip(NEXT) | instid1(VALU_DEP_1)
	v_add_f64 v[3:4], v[3:4], v[30:31]
	v_add_f64 v[7:8], v[3:4], v[32:33]
	ds_load_2addr_b64 v[3:6], v14 offset0:4 offset1:5
	ds_load_2addr_b64 v[30:33], v14 offset0:6 offset1:7
	s_waitcnt lgkmcnt(1)
	v_add_f64 v[3:4], v[7:8], v[3:4]
	s_delay_alu instid0(VALU_DEP_1) | instskip(SKIP_1) | instid1(VALU_DEP_1)
	v_add_f64 v[3:4], v[3:4], v[5:6]
	s_waitcnt lgkmcnt(0)
	v_add_f64 v[3:4], v[3:4], v[30:31]
	s_delay_alu instid0(VALU_DEP_1)
	v_add_f64 v[17:18], v[3:4], v[32:33]
.LBB112_29:
	s_or_b32 exec_lo, exec_lo, s11
	s_lshl_b32 s20, s10, 5
	v_cndmask_b32_e64 v14, 0, 1, s9
	s_ashr_i32 s21, s20, 31
	s_delay_alu instid0(SALU_CYCLE_1)
	s_lshl_b64 s[20:21], s[20:21], 3
	s_barrier
	v_add_co_u32 v1, vcc_lo, v1, s20
	v_add_co_ci_u32_e32 v2, vcc_lo, s21, v2, vcc_lo
	buffer_gl0_inv
	v_add_co_u32 v15, vcc_lo, 0x100, v1
	v_add_co_ci_u32_e32 v24, vcc_lo, 0, v2, vcc_lo
	s_and_not1_b32 vcc_lo, exec_lo, s9
	s_cbranch_vccnz .LBB112_31
; %bb.30:
	s_lshl_b32 s22, s10, 3
	s_ashr_i32 s11, s10, 31
	s_ashr_i32 s23, s22, 31
	v_mul_u32_u24_e32 v23, 33, v11
	s_lshl_b64 s[22:23], s[22:23], 3
	s_delay_alu instid0(SALU_CYCLE_1) | instskip(SKIP_3) | instid1(VALU_DEP_3)
	v_add_co_u32 v3, vcc_lo, v1, s22
	v_add_co_ci_u32_e32 v4, vcc_lo, s23, v2, vcc_lo
	s_lshl_b64 s[22:23], s[10:11], 6
	v_add_lshl_u32 v23, v23, v0, 3
	v_add_co_u32 v5, vcc_lo, v3, s22
	s_delay_alu instid0(VALU_DEP_3) | instskip(NEXT) | instid1(VALU_DEP_2)
	v_add_co_ci_u32_e32 v6, vcc_lo, s23, v4, vcc_lo
	v_add_co_u32 v7, vcc_lo, v5, s22
	s_delay_alu instid0(VALU_DEP_2)
	v_add_co_ci_u32_e32 v8, vcc_lo, s23, v6, vcc_lo
	s_clause 0x3
	global_load_b64 v[1:2], v[1:2], off offset:256
	global_load_b64 v[3:4], v[3:4], off offset:256
	;; [unrolled: 1-line block ×4, first 2 shown]
	s_waitcnt vmcnt(3)
	ds_store_b64 v23, v[1:2]
	s_waitcnt vmcnt(2)
	ds_store_b64 v23, v[3:4] offset:2112
	s_waitcnt vmcnt(1)
	ds_store_b64 v23, v[5:6] offset:4224
	;; [unrolled: 2-line block ×3, first 2 shown]
	s_cbranch_execz .LBB112_32
	s_branch .LBB112_41
.LBB112_31:
.LBB112_32:
	v_lshlrev_b32_e32 v23, 3, v0
	v_mov_b32_e32 v5, 0
	v_mov_b32_e32 v6, 0
	s_ashr_i32 s17, s16, 31
	v_or_b32_e32 v3, 32, v0
	v_sub_co_u32 v1, vcc_lo, v15, v23
	v_subrev_co_ci_u32_e32 v2, vcc_lo, 0, v24, vcc_lo
	s_lshl_b64 s[22:23], s[16:17], 3
	s_sub_i32 s11, s16, 32
	s_delay_alu instid0(VALU_DEP_2) | instskip(NEXT) | instid1(VALU_DEP_2)
	v_add_co_u32 v1, vcc_lo, v1, s22
	v_add_co_ci_u32_e32 v2, vcc_lo, s23, v2, vcc_lo
	s_mov_b32 s17, exec_lo
	s_delay_alu instid0(VALU_DEP_2) | instskip(NEXT) | instid1(VALU_DEP_2)
	v_add_co_u32 v1, vcc_lo, 0xfffffef8, v1
	v_add_co_ci_u32_e32 v2, vcc_lo, -1, v2, vcc_lo
	v_cmp_gt_i32_e32 vcc_lo, s16, v3
	v_dual_mov_b32 v3, v5 :: v_dual_mov_b32 v4, v6
	s_delay_alu instid0(VALU_DEP_3)
	v_dual_cndmask_b32 v2, v2, v24 :: v_dual_cndmask_b32 v1, v1, v15
	v_cmpx_gt_i32_e64 s11, v11
	s_cbranch_execz .LBB112_34
; %bb.33:
	global_load_b64 v[3:4], v[1:2], off
.LBB112_34:
	s_or_b32 exec_lo, exec_lo, s17
	v_mul_u32_u24_e32 v7, 33, v11
	v_add_nc_u32_e32 v8, 8, v11
	s_mov_b32 s17, exec_lo
	s_delay_alu instid0(VALU_DEP_2)
	v_add_lshl_u32 v30, v7, v0, 3
	s_waitcnt vmcnt(0)
	ds_store_b64 v30, v[3:4]
	v_cmpx_gt_i32_e64 s11, v8
	s_cbranch_execz .LBB112_36
; %bb.35:
	s_lshl_b32 s28, s10, 3
	s_delay_alu instid0(SALU_CYCLE_1) | instskip(NEXT) | instid1(SALU_CYCLE_1)
	s_ashr_i32 s29, s28, 31
	s_lshl_b64 s[28:29], s[28:29], 3
	s_delay_alu instid0(SALU_CYCLE_1) | instskip(NEXT) | instid1(VALU_DEP_1)
	v_add_co_u32 v3, s9, v1, s28
	v_add_co_ci_u32_e64 v4, s9, s29, v2, s9
	global_load_b64 v[5:6], v[3:4], off
.LBB112_36:
	s_or_b32 exec_lo, exec_lo, s17
	v_mov_b32_e32 v3, 0
	v_dual_mov_b32 v4, 0 :: v_dual_add_nc_u32 v7, 16, v11
	s_waitcnt vmcnt(0)
	ds_store_b64 v30, v[5:6] offset:2112
	v_cmp_gt_i32_e64 s9, s11, v7
	v_dual_mov_b32 v8, v4 :: v_dual_mov_b32 v7, v3
	s_delay_alu instid0(VALU_DEP_2)
	s_and_saveexec_b32 s17, s9
	s_cbranch_execz .LBB112_38
; %bb.37:
	s_lshl_b32 s28, s10, 4
	s_delay_alu instid0(SALU_CYCLE_1) | instskip(NEXT) | instid1(SALU_CYCLE_1)
	s_ashr_i32 s29, s28, 31
	s_lshl_b64 s[28:29], s[28:29], 3
	s_delay_alu instid0(SALU_CYCLE_1) | instskip(NEXT) | instid1(VALU_DEP_1)
	v_add_co_u32 v5, s9, v1, s28
	v_add_co_ci_u32_e64 v6, s9, s29, v2, s9
	global_load_b64 v[7:8], v[5:6], off
.LBB112_38:
	s_or_b32 exec_lo, exec_lo, s17
	v_add_nc_u32_e32 v5, 24, v11
	s_waitcnt vmcnt(0)
	ds_store_b64 v30, v[7:8] offset:4224
	v_cmp_gt_i32_e64 s9, s11, v5
	s_delay_alu instid0(VALU_DEP_1)
	s_and_saveexec_b32 s11, s9
	s_cbranch_execz .LBB112_40
; %bb.39:
	s_mul_i32 s28, s10, 24
	s_delay_alu instid0(SALU_CYCLE_1) | instskip(NEXT) | instid1(SALU_CYCLE_1)
	s_ashr_i32 s29, s28, 31
	s_lshl_b64 s[28:29], s[28:29], 3
	s_delay_alu instid0(SALU_CYCLE_1) | instskip(NEXT) | instid1(VALU_DEP_1)
	v_add_co_u32 v3, s9, v1, s28
	v_add_co_ci_u32_e64 v4, s9, s29, v2, s9
	global_load_b64 v[3:4], v[3:4], off
.LBB112_40:
	s_or_b32 exec_lo, exec_lo, s11
	v_add_co_u32 v1, s9, v1, v23
	s_delay_alu instid0(VALU_DEP_1) | instskip(SKIP_3) | instid1(VALU_DEP_1)
	v_add_co_ci_u32_e64 v2, s9, 0, v2, s9
	s_waitcnt vmcnt(0)
	ds_store_b64 v30, v[3:4] offset:6336
	v_sub_co_u32 v1, s9, v1, s22
	v_subrev_co_ci_u32_e64 v2, s9, s23, v2, s9
	s_delay_alu instid0(VALU_DEP_2) | instskip(NEXT) | instid1(VALU_DEP_1)
	v_add_co_u32 v1, s9, 0x108, v1
	v_add_co_ci_u32_e64 v2, s9, 0, v2, s9
	s_delay_alu instid0(VALU_DEP_1)
	v_dual_cndmask_b32 v15, v1, v15 :: v_dual_cndmask_b32 v24, v2, v24
.LBB112_41:
	v_add_nc_u32_e32 v12, 0x2380, v12
	s_waitcnt lgkmcnt(0)
	s_barrier
	buffer_gl0_inv
	s_and_saveexec_b32 s9, s5
	s_cbranch_execnz .LBB112_50
; %bb.42:
	s_or_b32 exec_lo, exec_lo, s9
	s_and_saveexec_b32 s5, s6
	s_cbranch_execnz .LBB112_51
.LBB112_43:
	s_or_b32 exec_lo, exec_lo, s5
	s_and_saveexec_b32 s5, s7
	s_cbranch_execnz .LBB112_52
.LBB112_44:
	s_or_b32 exec_lo, exec_lo, s5
	s_and_saveexec_b32 s5, s8
	s_cbranch_execz .LBB112_46
.LBB112_45:
	ds_load_b64 v[1:2], v9
	s_waitcnt lgkmcnt(0)
	ds_store_b64 v29, v[1:2] offset:24
.LBB112_46:
	s_or_b32 exec_lo, exec_lo, s5
	s_waitcnt lgkmcnt(0)
	s_barrier
	buffer_gl0_inv
	ds_load_b64 v[5:6], v10
	ds_load_b128 v[1:4], v12 offset:256
	v_cmp_eq_u32_e64 s5, 1, v11
	s_waitcnt lgkmcnt(0)
	v_fma_f64 v[1:2], v[5:6], v[1:2], 0
	ds_load_2addr_b64 v[5:8], v13 offset1:33
	s_waitcnt lgkmcnt(0)
	v_fma_f64 v[5:6], v[5:6], v[3:4], v[1:2]
	ds_load_b128 v[1:4], v12 offset:272
	ds_load_b64 v[9:10], v9
	s_waitcnt lgkmcnt(0)
	s_barrier
	buffer_gl0_inv
	v_fma_f64 v[1:2], v[7:8], v[1:2], v[5:6]
	s_delay_alu instid0(VALU_DEP_1)
	v_fma_f64 v[1:2], v[9:10], v[3:4], v[1:2]
	ds_store_b64 v28, v[1:2]
	s_waitcnt lgkmcnt(0)
	s_barrier
	buffer_gl0_inv
	s_and_saveexec_b32 s6, s5
	s_cbranch_execz .LBB112_48
; %bb.47:
	v_lshlrev_b32_e32 v13, 3, v27
	ds_load_2addr_b64 v[1:4], v13 offset1:1
	ds_load_2addr_b64 v[5:8], v13 offset0:2 offset1:3
	s_waitcnt lgkmcnt(1)
	v_add_f64 v[1:2], v[1:2], v[3:4]
	s_waitcnt lgkmcnt(0)
	s_delay_alu instid0(VALU_DEP_1) | instskip(NEXT) | instid1(VALU_DEP_1)
	v_add_f64 v[1:2], v[1:2], v[5:6]
	v_add_f64 v[9:10], v[1:2], v[7:8]
	ds_load_2addr_b64 v[1:4], v13 offset0:4 offset1:5
	ds_load_2addr_b64 v[5:8], v13 offset0:6 offset1:7
	s_waitcnt lgkmcnt(1)
	v_add_f64 v[1:2], v[9:10], v[1:2]
	s_delay_alu instid0(VALU_DEP_1) | instskip(SKIP_1) | instid1(VALU_DEP_1)
	v_add_f64 v[1:2], v[1:2], v[3:4]
	s_waitcnt lgkmcnt(0)
	v_add_f64 v[1:2], v[1:2], v[5:6]
	s_delay_alu instid0(VALU_DEP_1)
	v_add_f64 v[17:18], v[1:2], v[7:8]
.LBB112_48:
	s_or_b32 exec_lo, exec_lo, s6
	v_cmp_ne_u32_e32 vcc_lo, 1, v14
	v_sub_co_u32 v23, s6, v15, s20
	s_delay_alu instid0(VALU_DEP_1)
	v_subrev_co_ci_u32_e64 v24, s6, s21, v24, s6
	s_barrier
	buffer_gl0_inv
	s_cbranch_vccnz .LBB112_53
; %bb.49:
	s_lshl_b32 s6, s10, 3
	s_ashr_i32 s11, s10, 31
	s_ashr_i32 s7, s6, 31
	v_mad_u32_u24 v10, v11, 33, v0
	s_lshl_b64 s[6:7], s[6:7], 3
	v_add_nc_u32_e32 v9, 8, v11
	v_add_co_u32 v1, vcc_lo, v23, s6
	v_add_co_ci_u32_e32 v2, vcc_lo, s7, v24, vcc_lo
	s_lshl_b64 s[6:7], s[10:11], 6
	v_lshlrev_b32_e32 v32, 3, v10
	s_delay_alu instid0(VALU_DEP_3) | instskip(NEXT) | instid1(VALU_DEP_3)
	v_add_co_u32 v3, vcc_lo, v1, s6
	v_add_co_ci_u32_e32 v4, vcc_lo, s7, v2, vcc_lo
	v_add_nc_u32_e32 v13, 16, v11
	s_delay_alu instid0(VALU_DEP_3) | instskip(NEXT) | instid1(VALU_DEP_3)
	v_add_co_u32 v5, vcc_lo, v3, s6
	v_add_co_ci_u32_e32 v6, vcc_lo, s7, v4, vcc_lo
	s_clause 0x3
	global_load_b64 v[7:8], v[23:24], off
	global_load_b64 v[14:15], v[1:2], off
	;; [unrolled: 1-line block ×4, first 2 shown]
	v_add_nc_u32_e32 v6, 0x108, v10
	v_add_nc_u32_e32 v1, 0x210, v10
	;; [unrolled: 1-line block ×4, first 2 shown]
	s_waitcnt vmcnt(3)
	ds_store_b64 v32, v[7:8]
	s_waitcnt vmcnt(2)
	ds_store_b64 v32, v[14:15] offset:2112
	s_waitcnt vmcnt(1)
	ds_store_b64 v32, v[3:4] offset:4224
	s_waitcnt vmcnt(0)
	ds_store_b64 v32, v[30:31] offset:6336
	s_cbranch_execz .LBB112_54
	s_branch .LBB112_63
.LBB112_50:
	ds_load_b64 v[1:2], v10
	s_waitcnt lgkmcnt(0)
	ds_store_b64 v29, v[1:2]
	s_or_b32 exec_lo, exec_lo, s9
	s_and_saveexec_b32 s5, s6
	s_cbranch_execz .LBB112_43
.LBB112_51:
	ds_load_b64 v[1:2], v13
	s_waitcnt lgkmcnt(0)
	ds_store_b64 v29, v[1:2] offset:8
	s_or_b32 exec_lo, exec_lo, s5
	s_and_saveexec_b32 s5, s7
	s_cbranch_execz .LBB112_44
.LBB112_52:
	ds_load_b64 v[1:2], v13 offset:264
	s_waitcnt lgkmcnt(0)
	ds_store_b64 v29, v[1:2] offset:16
	s_or_b32 exec_lo, exec_lo, s5
	s_and_saveexec_b32 s5, s8
	s_cbranch_execnz .LBB112_45
	s_branch .LBB112_46
.LBB112_53:
                                        ; implicit-def: $vgpr10
                                        ; implicit-def: $vgpr9
                                        ; implicit-def: $vgpr6
                                        ; implicit-def: $vgpr13
                                        ; implicit-def: $vgpr1
                                        ; implicit-def: $vgpr5
                                        ; implicit-def: $vgpr2
.LBB112_54:
	v_dual_mov_b32 v5, 0 :: v_dual_lshlrev_b32 v14, 3, v0
	s_ashr_i32 s17, s16, 31
	v_or_b32_e32 v3, 32, v0
	s_lshl_b64 s[8:9], s[16:17], 3
	s_delay_alu instid0(VALU_DEP_2) | instskip(SKIP_2) | instid1(VALU_DEP_2)
	v_sub_co_u32 v1, vcc_lo, v23, v14
	v_subrev_co_ci_u32_e32 v2, vcc_lo, 0, v24, vcc_lo
	s_mov_b32 s7, exec_lo
	v_add_co_u32 v1, vcc_lo, v1, s8
	s_delay_alu instid0(VALU_DEP_2) | instskip(NEXT) | instid1(VALU_DEP_2)
	v_add_co_ci_u32_e32 v2, vcc_lo, s9, v2, vcc_lo
	v_add_co_u32 v1, vcc_lo, 0xfffffef8, v1
	s_delay_alu instid0(VALU_DEP_2) | instskip(SKIP_1) | instid1(VALU_DEP_3)
	v_add_co_ci_u32_e32 v2, vcc_lo, -1, v2, vcc_lo
	v_cmp_gt_i32_e32 vcc_lo, s16, v3
	v_dual_mov_b32 v6, 0 :: v_dual_cndmask_b32 v1, v1, v23
	s_delay_alu instid0(VALU_DEP_3) | instskip(NEXT) | instid1(VALU_DEP_2)
	v_dual_cndmask_b32 v2, v2, v24 :: v_dual_mov_b32 v3, v5
	v_mov_b32_e32 v4, v6
	v_cmpx_gt_i32_e64 s16, v11
	s_cbranch_execz .LBB112_56
; %bb.55:
	global_load_b64 v[3:4], v[1:2], off
.LBB112_56:
	s_or_b32 exec_lo, exec_lo, s7
	v_mad_u32_u24 v10, v11, 33, v0
	v_add_nc_u32_e32 v9, 8, v11
	s_mov_b32 s7, exec_lo
	s_delay_alu instid0(VALU_DEP_2)
	v_lshlrev_b32_e32 v0, 3, v10
	s_waitcnt vmcnt(0)
	ds_store_b64 v0, v[3:4]
	v_cmpx_gt_i32_e64 s16, v9
	s_cbranch_execz .LBB112_58
; %bb.57:
	s_lshl_b32 s20, s10, 3
	s_delay_alu instid0(SALU_CYCLE_1) | instskip(NEXT) | instid1(SALU_CYCLE_1)
	s_ashr_i32 s21, s20, 31
	s_lshl_b64 s[20:21], s[20:21], 3
	s_delay_alu instid0(SALU_CYCLE_1) | instskip(NEXT) | instid1(VALU_DEP_1)
	v_add_co_u32 v3, s6, v1, s20
	v_add_co_ci_u32_e64 v4, s6, s21, v2, s6
	global_load_b64 v[5:6], v[3:4], off
.LBB112_58:
	s_or_b32 exec_lo, exec_lo, s7
	v_mov_b32_e32 v3, 0
	v_dual_mov_b32 v4, 0 :: v_dual_add_nc_u32 v13, 16, v11
	s_mov_b32 s7, exec_lo
	s_waitcnt vmcnt(0)
	ds_store_b64 v0, v[5:6] offset:2112
	v_dual_mov_b32 v8, v4 :: v_dual_mov_b32 v7, v3
	v_cmpx_gt_i32_e64 s16, v13
	s_cbranch_execz .LBB112_60
; %bb.59:
	s_lshl_b32 s20, s10, 4
	s_delay_alu instid0(SALU_CYCLE_1) | instskip(NEXT) | instid1(SALU_CYCLE_1)
	s_ashr_i32 s21, s20, 31
	s_lshl_b64 s[20:21], s[20:21], 3
	s_delay_alu instid0(SALU_CYCLE_1) | instskip(NEXT) | instid1(VALU_DEP_1)
	v_add_co_u32 v5, s6, v1, s20
	v_add_co_ci_u32_e64 v6, s6, s21, v2, s6
	global_load_b64 v[7:8], v[5:6], off
.LBB112_60:
	s_or_b32 exec_lo, exec_lo, s7
	v_add_nc_u32_e32 v5, 24, v11
	s_mov_b32 s7, exec_lo
	s_waitcnt vmcnt(0)
	ds_store_b64 v0, v[7:8] offset:4224
	v_cmpx_gt_i32_e64 s16, v5
	s_cbranch_execz .LBB112_62
; %bb.61:
	s_mul_i32 s20, s10, 24
	s_delay_alu instid0(SALU_CYCLE_1) | instskip(NEXT) | instid1(SALU_CYCLE_1)
	s_ashr_i32 s21, s20, 31
	s_lshl_b64 s[20:21], s[20:21], 3
	s_delay_alu instid0(SALU_CYCLE_1) | instskip(NEXT) | instid1(VALU_DEP_1)
	v_add_co_u32 v3, s6, v1, s20
	v_add_co_ci_u32_e64 v4, s6, s21, v2, s6
	global_load_b64 v[3:4], v[3:4], off
.LBB112_62:
	s_or_b32 exec_lo, exec_lo, s7
	v_add_co_u32 v1, s6, v1, v14
	s_delay_alu instid0(VALU_DEP_1) | instskip(SKIP_3) | instid1(VALU_DEP_1)
	v_add_co_ci_u32_e64 v2, s6, 0, v2, s6
	s_waitcnt vmcnt(0)
	ds_store_b64 v0, v[3:4] offset:6336
	v_sub_co_u32 v1, s6, v1, s8
	v_subrev_co_ci_u32_e64 v2, s6, s9, v2, s6
	s_delay_alu instid0(VALU_DEP_2) | instskip(NEXT) | instid1(VALU_DEP_1)
	v_add_co_u32 v7, s6, 0x108, v1
	v_add_co_ci_u32_e64 v8, s6, 0, v2, s6
	s_delay_alu instid0(VALU_DEP_2) | instskip(NEXT) | instid1(VALU_DEP_2)
	v_dual_cndmask_b32 v23, v7, v23 :: v_dual_add_nc_u32 v6, 0x108, v10
	v_dual_cndmask_b32 v24, v8, v24 :: v_dual_add_nc_u32 v1, 0x210, v10
	v_add_nc_u32_e32 v2, 0x318, v10
.LBB112_63:
	v_lshlrev_b32_e32 v0, 3, v10
	v_lshlrev_b32_e32 v7, 3, v11
	s_waitcnt lgkmcnt(0)
	s_barrier
	buffer_gl0_inv
	ds_load_b64 v[3:4], v0
	ds_load_b64 v[7:8], v7 offset:9088
	v_lshlrev_b32_e32 v0, 3, v6
	v_lshlrev_b32_e32 v6, 3, v9
	;; [unrolled: 1-line block ×4, first 2 shown]
	ds_load_b64 v[9:10], v0
	ds_load_b64 v[14:15], v6 offset:9088
	v_lshlrev_b32_e32 v0, 3, v1
	v_lshlrev_b32_e32 v6, 3, v13
	s_waitcnt lgkmcnt(2)
	v_fma_f64 v[3:4], v[3:4], v[7:8], 0
	ds_load_b64 v[0:1], v0
	ds_load_b64 v[6:7], v6 offset:9088
	s_waitcnt lgkmcnt(2)
	v_fma_f64 v[3:4], v[9:10], v[14:15], v[3:4]
	ds_load_b64 v[8:9], v2
	ds_load_b64 v[10:11], v5 offset:9088
	s_waitcnt lgkmcnt(2)
	v_fma_f64 v[0:1], v[0:1], v[6:7], v[3:4]
	s_waitcnt lgkmcnt(0)
	s_delay_alu instid0(VALU_DEP_1)
	v_fma_f64 v[30:31], v[8:9], v[10:11], v[0:1]
	ds_load_b128 v[8:11], v12 offset:256
	ds_load_b128 v[0:3], v12 offset:272
	ds_load_2addr_b64 v[12:15], v29 offset1:1
	ds_load_2addr_b64 v[4:7], v29 offset0:2 offset1:3
	s_waitcnt lgkmcnt(0)
	s_barrier
	buffer_gl0_inv
	ds_store_b64 v28, v[30:31]
	s_waitcnt lgkmcnt(0)
	s_barrier
	buffer_gl0_inv
	s_and_saveexec_b32 s6, s5
	s_cbranch_execz .LBB112_65
; %bb.64:
	v_lshlrev_b32_e32 v37, 3, v27
	ds_load_2addr_b64 v[29:32], v37 offset1:1
	ds_load_2addr_b64 v[33:36], v37 offset0:2 offset1:3
	s_waitcnt lgkmcnt(1)
	v_add_f64 v[17:18], v[17:18], v[29:30]
	s_delay_alu instid0(VALU_DEP_1) | instskip(SKIP_1) | instid1(VALU_DEP_1)
	v_add_f64 v[17:18], v[17:18], v[31:32]
	s_waitcnt lgkmcnt(0)
	v_add_f64 v[17:18], v[17:18], v[33:34]
	s_delay_alu instid0(VALU_DEP_1) | instskip(SKIP_4) | instid1(VALU_DEP_1)
	v_add_f64 v[17:18], v[17:18], v[35:36]
	ds_load_2addr_b64 v[29:32], v37 offset0:4 offset1:5
	ds_load_2addr_b64 v[33:36], v37 offset0:6 offset1:7
	s_waitcnt lgkmcnt(1)
	v_add_f64 v[17:18], v[17:18], v[29:30]
	v_add_f64 v[17:18], v[17:18], v[31:32]
	s_waitcnt lgkmcnt(0)
	s_delay_alu instid0(VALU_DEP_1) | instskip(NEXT) | instid1(VALU_DEP_1)
	v_add_f64 v[17:18], v[17:18], v[33:34]
	v_add_f64 v[17:18], v[17:18], v[35:36]
.LBB112_65:
	s_or_b32 exec_lo, exec_lo, s6
	v_fma_f64 v[8:9], v[12:13], v[8:9], 0
	s_barrier
	buffer_gl0_inv
	v_fma_f64 v[8:9], v[14:15], v[10:11], v[8:9]
	s_delay_alu instid0(VALU_DEP_1) | instskip(NEXT) | instid1(VALU_DEP_1)
	v_fma_f64 v[0:1], v[4:5], v[0:1], v[8:9]
	v_fma_f64 v[0:1], v[6:7], v[2:3], v[0:1]
	ds_store_b64 v28, v[0:1]
	s_waitcnt lgkmcnt(0)
	s_barrier
	buffer_gl0_inv
	s_and_saveexec_b32 s5, s4
	s_cbranch_execz .LBB112_67
; %bb.66:
	v_lshlrev_b32_e32 v10, 3, v27
	ds_load_2addr_b64 v[0:3], v10 offset1:1
	ds_load_2addr_b64 v[4:7], v10 offset0:2 offset1:3
	s_waitcnt lgkmcnt(1)
	v_add_f64 v[0:1], v[17:18], v[0:1]
	s_delay_alu instid0(VALU_DEP_1) | instskip(SKIP_1) | instid1(VALU_DEP_1)
	v_add_f64 v[0:1], v[0:1], v[2:3]
	s_waitcnt lgkmcnt(0)
	v_add_f64 v[0:1], v[0:1], v[4:5]
	s_delay_alu instid0(VALU_DEP_1) | instskip(SKIP_4) | instid1(VALU_DEP_1)
	v_add_f64 v[8:9], v[0:1], v[6:7]
	ds_load_2addr_b64 v[0:3], v10 offset0:4 offset1:5
	ds_load_2addr_b64 v[4:7], v10 offset0:6 offset1:7
	s_waitcnt lgkmcnt(1)
	v_add_f64 v[0:1], v[8:9], v[0:1]
	v_add_f64 v[0:1], v[0:1], v[2:3]
	s_waitcnt lgkmcnt(0)
	s_delay_alu instid0(VALU_DEP_1) | instskip(NEXT) | instid1(VALU_DEP_1)
	v_add_f64 v[0:1], v[0:1], v[4:5]
	v_add_f64 v[17:18], v[0:1], v[6:7]
.LBB112_67:
	s_or_b32 exec_lo, exec_lo, s5
	s_load_b64 s[0:1], s[0:1], 0x68
	s_mul_hi_u32 s4, s25, s15
	s_mul_i32 s27, s27, s15
	s_mul_i32 s5, s25, s15
	s_add_i32 s4, s4, s27
	s_mul_hi_u32 s6, s5, s26
	s_mul_i32 s7, s4, s26
	s_mul_i32 s4, s5, s26
	s_add_i32 s5, s6, s7
	s_mul_i32 s6, s14, s25
	s_lshl_b64 s[4:5], s[4:5], 3
	v_cmp_le_i32_e32 vcc_lo, s16, v25
	v_lshlrev_b32_e32 v72, 3, v25
	s_waitcnt lgkmcnt(0)
	s_barrier
	buffer_gl0_inv
	s_add_u32 s4, s0, s4
	s_addc_u32 s5, s1, s5
	s_ashr_i32 s7, s6, 31
	s_delay_alu instid0(SALU_CYCLE_1) | instskip(NEXT) | instid1(SALU_CYCLE_1)
	s_lshl_b64 s[0:1], s[6:7], 3
	s_add_u32 s15, s4, s0
	s_addc_u32 s20, s5, s1
	s_and_b32 vcc_lo, s13, vcc_lo
	s_cmp_lt_i32 s14, 1
	s_cbranch_scc1 .LBB112_74
; %bb.68:
	v_mul_lo_u32 v0, v71, s10
	v_sub_co_u32 v2, s0, v23, s18
	s_delay_alu instid0(VALU_DEP_1) | instskip(SKIP_1) | instid1(VALU_DEP_2)
	v_subrev_co_ci_u32_e64 v3, s0, s19, v24, s0
	s_mul_i32 s4, s12, s24
	v_sub_co_u32 v2, s0, v2, v21
	s_delay_alu instid0(VALU_DEP_4) | instskip(NEXT) | instid1(VALU_DEP_3)
	v_lshl_add_u32 v0, v0, 2, v25
	v_sub_co_ci_u32_e64 v3, s0, v3, v22, s0
	s_ashr_i32 s5, s4, 31
	s_ashr_i32 s17, s16, 31
	s_delay_alu instid0(VALU_DEP_2)
	v_ashrrev_i32_e32 v1, 31, v0
	s_lshl_b64 s[4:5], s[4:5], 3
	s_lshl_b64 s[6:7], s[16:17], 3
	v_and_b32_e32 v7, 48, v25
	v_lshrrev_b32_e32 v6, 4, v26
	v_lshlrev_b64 v[0:1], 3, v[0:1]
	v_add_nc_u32_e32 v75, 0x2180, v72
	v_lshl_add_u32 v80, v71, 5, 0x2180
	v_mad_u32_u24 v81, 0x860, v71, v72
	v_lshlrev_b32_e32 v8, 5, v6
	s_ashr_i32 s11, s10, 31
	v_add_co_u32 v0, s0, v2, v0
	s_delay_alu instid0(VALU_DEP_1) | instskip(SKIP_1) | instid1(VALU_DEP_2)
	v_add_co_ci_u32_e64 v1, s0, v3, v1, s0
	s_lshl_b32 s18, s24, 6
	v_sub_co_u32 v2, s0, v0, v72
	s_delay_alu instid0(VALU_DEP_1) | instskip(SKIP_1) | instid1(VALU_DEP_1)
	v_subrev_co_ci_u32_e64 v3, s0, 0, v1, s0
	v_sub_co_u32 v73, s0, v19, s4
	v_subrev_co_ci_u32_e64 v74, s0, s5, v20, s0
	s_delay_alu instid0(VALU_DEP_4) | instskip(NEXT) | instid1(VALU_DEP_1)
	v_add_co_u32 v2, s0, v2, s6
	v_add_co_ci_u32_e64 v3, s0, s7, v3, s0
	v_add_co_u32 v0, s0, 0xffffff00, v0
	s_delay_alu instid0(VALU_DEP_1) | instskip(NEXT) | instid1(VALU_DEP_4)
	v_add_co_ci_u32_e64 v4, s0, -1, v1, s0
	v_add_co_u32 v2, s0, 0xfffffef8, v2
	s_delay_alu instid0(VALU_DEP_1) | instskip(NEXT) | instid1(VALU_DEP_2)
	v_add_co_ci_u32_e64 v3, s0, -1, v3, s0
	v_dual_cndmask_b32 v2, v0, v2 :: v_dual_and_b32 v5, 15, v25
	v_dual_mov_b32 v1, 0 :: v_dual_lshlrev_b32 v0, 3, v7
	s_delay_alu instid0(VALU_DEP_3) | instskip(SKIP_2) | instid1(VALU_DEP_4)
	v_dual_cndmask_b32 v3, v4, v3 :: v_dual_add_nc_u32 v76, 0x2380, v72
	v_or_b32_e32 v4, 0x78, v72
	v_cmp_gt_u32_e64 s0, 64, v26
	v_mad_u32_u24 v77, 0x218, v5, v0
	v_lshlrev_b32_e32 v0, 3, v6
	v_mad_u32_u24 v79, 0x218, v5, v8
	v_mad_u32_u24 v78, 0x218, v5, v4
	s_lshl_b64 s[4:5], s[10:11], 3
	s_lshl_b64 s[6:7], s[10:11], 9
	v_mad_u32_u24 v82, 0x218, v5, v0
	v_or_b32_e32 v0, v7, v5
	s_lshl_b64 s[8:9], s[10:11], 4
	s_mul_hi_i32 s19, s10, 24
	s_mul_i32 s21, s10, 24
	s_mul_hi_i32 s22, s10, 0x90
	s_mul_i32 s23, s10, 0x90
	;; [unrolled: 2-line block ×10, first 2 shown]
	s_lshl_b64 s[12:13], s[10:11], 8
	s_mul_hi_i32 s41, s10, 0x88
	s_mul_i32 s42, s10, 0x88
	s_lshl_b64 s[10:11], s[10:11], 7
	s_mov_b32 s16, 0
	s_branch .LBB112_70
.LBB112_69:                             ;   in Loop: Header=BB112_70 Depth=1
	s_or_b32 exec_lo, exec_lo, s17
	v_fma_f64 v[4:5], v[4:5], v[12:13], v[17:18]
	v_add_co_u32 v2, s1, v2, s6
	s_delay_alu instid0(VALU_DEP_1)
	v_add_co_ci_u32_e64 v3, s1, s7, v3, s1
	v_add_nc_u32_e32 v0, 64, v0
	s_add_i32 s14, s14, -1
	s_add_i32 s16, s16, s18
	s_cmp_eq_u32 s14, 0
	s_waitcnt_vscnt null, 0x0
	s_barrier
	buffer_gl0_inv
	v_fma_f64 v[4:5], v[6:7], v[14:15], v[4:5]
	s_delay_alu instid0(VALU_DEP_1) | instskip(NEXT) | instid1(VALU_DEP_1)
	v_fma_f64 v[4:5], v[8:9], v[19:20], v[4:5]
	v_fma_f64 v[4:5], v[10:11], v[21:22], v[4:5]
	s_delay_alu instid0(VALU_DEP_1) | instskip(NEXT) | instid1(VALU_DEP_1)
	v_fma_f64 v[4:5], v[23:24], v[31:32], v[4:5]
	;; [unrolled: 3-line block ×7, first 2 shown]
	v_fma_f64 v[17:18], v[61:62], v[69:70], v[4:5]
	s_cbranch_scc1 .LBB112_74
.LBB112_70:                             ; =>This Inner Loop Header: Depth=1
	s_and_saveexec_b32 s43, s3
	s_cbranch_execz .LBB112_72
; %bb.71:                               ;   in Loop: Header=BB112_70 Depth=1
	s_ashr_i32 s17, s16, 31
	s_delay_alu instid0(SALU_CYCLE_1) | instskip(NEXT) | instid1(SALU_CYCLE_1)
	s_lshl_b64 s[44:45], s[16:17], 3
	v_add_co_u32 v4, s1, v73, s44
	s_delay_alu instid0(VALU_DEP_1)
	v_add_co_ci_u32_e64 v5, s1, s45, v74, s1
	global_load_b64 v[4:5], v[4:5], off
	s_waitcnt vmcnt(0)
	ds_store_b64 v75, v[4:5]
.LBB112_72:                             ;   in Loop: Header=BB112_70 Depth=1
	s_or_b32 exec_lo, exec_lo, s43
	v_add_co_u32 v6, s1, v2, s4
	s_delay_alu instid0(VALU_DEP_1) | instskip(SKIP_1) | instid1(VALU_DEP_1)
	v_add_co_ci_u32_e64 v7, s1, s5, v3, s1
	v_add_co_u32 v8, s1, v2, s8
	v_add_co_ci_u32_e64 v9, s1, s9, v3, s1
	v_add_co_u32 v10, s1, v2, s21
	s_waitcnt lgkmcnt(0)
	s_barrier
	buffer_gl0_inv
	global_load_b64 v[4:5], v[2:3], off
	v_add_co_ci_u32_e64 v11, s1, s19, v3, s1
	s_clause 0x2
	global_load_b64 v[6:7], v[6:7], off
	global_load_b64 v[8:9], v[8:9], off
	;; [unrolled: 1-line block ×3, first 2 shown]
	ds_load_b64 v[14:15], v76
	ds_load_b64 v[12:13], v80
	v_add_co_u32 v27, s1, v2, s10
	s_delay_alu instid0(VALU_DEP_1) | instskip(SKIP_1) | instid1(VALU_DEP_1)
	v_add_co_ci_u32_e64 v28, s1, s11, v3, s1
	v_add_co_u32 v29, s1, v2, s42
	v_add_co_ci_u32_e64 v30, s1, s41, v3, s1
	v_add_co_u32 v31, s1, v2, s23
	s_delay_alu instid0(VALU_DEP_1) | instskip(SKIP_1) | instid1(VALU_DEP_1)
	v_add_co_ci_u32_e64 v32, s1, s22, v3, s1
	v_add_co_u32 v33, s1, v2, s25
	v_add_co_ci_u32_e64 v34, s1, s24, v3, s1
	;; [unrolled: 5-line block ×6, first 2 shown]
	s_waitcnt vmcnt(3) lgkmcnt(1)
	v_mul_f64 v[19:20], v[4:5], v[14:15]
	s_waitcnt vmcnt(2)
	v_mul_f64 v[21:22], v[6:7], v[14:15]
	s_waitcnt vmcnt(1)
	;; [unrolled: 2-line block ×3, first 2 shown]
	v_mul_f64 v[25:26], v[10:11], v[14:15]
	ds_store_b64 v81, v[19:20]
	ds_load_b64 v[14:15], v80 offset:8
	ds_store_b64 v81, v[21:22] offset:536
	ds_load_b64 v[19:20], v80 offset:16
	ds_store_b64 v81, v[23:24] offset:1072
	ds_load_b64 v[21:22], v80 offset:24
	ds_store_b64 v81, v[25:26] offset:1608
	s_waitcnt lgkmcnt(0)
	s_barrier
	buffer_gl0_inv
	ds_load_2addr_b64 v[83:86], v79 offset1:1
	ds_load_2addr_b64 v[87:90], v79 offset0:2 offset1:3
	s_waitcnt lgkmcnt(0)
	s_barrier
	buffer_gl0_inv
	s_clause 0x3
	global_load_b64 v[23:24], v[27:28], off
	global_load_b64 v[25:26], v[29:30], off
	global_load_b64 v[27:28], v[31:32], off
	global_load_b64 v[29:30], v[33:34], off
	ds_load_b64 v[33:34], v76
	ds_load_b64 v[31:32], v80 offset:128
	v_add_f64 v[83:84], v[83:84], 0
	s_delay_alu instid0(VALU_DEP_1) | instskip(NEXT) | instid1(VALU_DEP_1)
	v_add_f64 v[83:84], v[83:84], v[85:86]
	v_add_f64 v[83:84], v[83:84], v[87:88]
	s_delay_alu instid0(VALU_DEP_1)
	v_add_f64 v[83:84], v[83:84], v[89:90]
	s_waitcnt vmcnt(2) lgkmcnt(1)
	v_mul_f64 v[37:38], v[25:26], v[33:34]
	v_mul_f64 v[35:36], v[23:24], v[33:34]
	s_waitcnt vmcnt(1)
	v_mul_f64 v[39:40], v[27:28], v[33:34]
	s_waitcnt vmcnt(0)
	v_mul_f64 v[41:42], v[29:30], v[33:34]
	ds_store_b64 v81, v[35:36]
	ds_load_b64 v[33:34], v80 offset:136
	ds_store_b64 v81, v[37:38] offset:536
	ds_load_b64 v[35:36], v80 offset:144
	ds_store_b64 v81, v[39:40] offset:1072
	ds_load_b64 v[37:38], v80 offset:152
	ds_store_b64 v81, v[41:42] offset:1608
	s_waitcnt lgkmcnt(0)
	s_barrier
	buffer_gl0_inv
	ds_load_2addr_b64 v[91:94], v79 offset1:1
	ds_load_2addr_b64 v[95:98], v79 offset0:2 offset1:3
	s_waitcnt lgkmcnt(0)
	s_barrier
	buffer_gl0_inv
	s_clause 0x3
	global_load_b64 v[39:40], v[43:44], off
	global_load_b64 v[41:42], v[45:46], off
	global_load_b64 v[43:44], v[47:48], off
	global_load_b64 v[45:46], v[49:50], off
	ds_load_b64 v[49:50], v76
	ds_load_b64 v[47:48], v80 offset:256
	v_add_f64 v[91:92], v[91:92], 0
	s_delay_alu instid0(VALU_DEP_1) | instskip(NEXT) | instid1(VALU_DEP_1)
	v_add_f64 v[85:86], v[91:92], v[93:94]
	v_add_f64 v[85:86], v[85:86], v[95:96]
	s_delay_alu instid0(VALU_DEP_1)
	v_add_f64 v[85:86], v[85:86], v[97:98]
	s_waitcnt vmcnt(2) lgkmcnt(1)
	v_mul_f64 v[53:54], v[41:42], v[49:50]
	v_mul_f64 v[51:52], v[39:40], v[49:50]
	s_waitcnt vmcnt(1)
	v_mul_f64 v[55:56], v[43:44], v[49:50]
	s_waitcnt vmcnt(0)
	;; [unrolled: 35-line block ×3, first 2 shown]
	v_mul_f64 v[109:110], v[61:62], v[65:66]
	ds_store_b64 v81, v[67:68]
	ds_load_b64 v[65:66], v80 offset:392
	ds_store_b64 v81, v[69:70] offset:536
	ds_load_b64 v[67:68], v80 offset:400
	ds_store_b64 v81, v[107:108] offset:1072
	;; [unrolled: 2-line block ×3, first 2 shown]
	s_waitcnt lgkmcnt(0)
	s_barrier
	buffer_gl0_inv
	ds_load_2addr_b64 v[107:110], v79 offset1:1
	ds_load_2addr_b64 v[111:114], v79 offset0:2 offset1:3
	s_waitcnt lgkmcnt(0)
	s_barrier
	buffer_gl0_inv
	v_add_f64 v[107:108], v[107:108], 0
	s_delay_alu instid0(VALU_DEP_1) | instskip(NEXT) | instid1(VALU_DEP_1)
	v_add_f64 v[93:94], v[107:108], v[109:110]
	v_add_f64 v[91:92], v[93:94], v[111:112]
	s_delay_alu instid0(VALU_DEP_1)
	v_add_f64 v[89:90], v[91:92], v[113:114]
	ds_store_2addr_b64 v82, v[83:84], v[85:86] offset1:16
	ds_store_2addr_b64 v82, v[87:88], v[89:90] offset0:32 offset1:48
	s_waitcnt lgkmcnt(0)
	s_barrier
	buffer_gl0_inv
	s_and_saveexec_b32 s17, s0
	s_cbranch_execz .LBB112_69
; %bb.73:                               ;   in Loop: Header=BB112_70 Depth=1
	ds_load_2addr_b64 v[83:86], v77 offset1:1
	ds_load_2addr_b64 v[87:90], v77 offset0:2 offset1:3
	s_waitcnt lgkmcnt(1)
	v_add_f64 v[83:84], v[83:84], v[85:86]
	s_waitcnt lgkmcnt(0)
	s_delay_alu instid0(VALU_DEP_1) | instskip(NEXT) | instid1(VALU_DEP_1)
	v_add_f64 v[83:84], v[83:84], v[87:88]
	v_add_f64 v[91:92], v[83:84], v[89:90]
	ds_load_2addr_b64 v[83:86], v77 offset0:4 offset1:5
	ds_load_2addr_b64 v[87:90], v77 offset0:6 offset1:7
	s_waitcnt lgkmcnt(1)
	v_add_f64 v[83:84], v[91:92], v[83:84]
	s_delay_alu instid0(VALU_DEP_1) | instskip(SKIP_1) | instid1(VALU_DEP_1)
	v_add_f64 v[83:84], v[83:84], v[85:86]
	s_waitcnt lgkmcnt(0)
	v_add_f64 v[83:84], v[83:84], v[87:88]
	s_delay_alu instid0(VALU_DEP_1) | instskip(SKIP_4) | instid1(VALU_DEP_1)
	v_add_f64 v[91:92], v[83:84], v[89:90]
	ds_load_2addr_b64 v[83:86], v77 offset0:8 offset1:9
	ds_load_2addr_b64 v[87:90], v77 offset0:10 offset1:11
	s_waitcnt lgkmcnt(1)
	v_add_f64 v[83:84], v[91:92], v[83:84]
	v_add_f64 v[83:84], v[83:84], v[85:86]
	s_waitcnt lgkmcnt(0)
	s_delay_alu instid0(VALU_DEP_1) | instskip(NEXT) | instid1(VALU_DEP_1)
	v_add_f64 v[83:84], v[83:84], v[87:88]
	v_add_f64 v[87:88], v[83:84], v[89:90]
	ds_load_2addr_b64 v[83:86], v77 offset0:12 offset1:13
	ds_load_b64 v[89:90], v77 offset:112
	s_waitcnt lgkmcnt(1)
	v_add_f64 v[83:84], v[87:88], v[83:84]
	s_delay_alu instid0(VALU_DEP_1) | instskip(SKIP_4) | instid1(VALU_DEP_1)
	v_add_f64 v[83:84], v[83:84], v[85:86]
	ds_load_b64 v[85:86], v78
	s_waitcnt lgkmcnt(1)
	v_add_f64 v[83:84], v[83:84], v[89:90]
	s_waitcnt lgkmcnt(0)
	v_add_f64 v[83:84], v[83:84], v[85:86]
	v_lshlrev_b64 v[85:86], 3, v[0:1]
	s_delay_alu instid0(VALU_DEP_1) | instskip(NEXT) | instid1(VALU_DEP_1)
	v_add_co_u32 v85, s1, s15, v85
	v_add_co_ci_u32_e64 v86, s1, s20, v86, s1
	global_store_b64 v[85:86], v[83:84], off
	s_branch .LBB112_69
.LBB112_74:
	v_mad_u32_u24 v0, 0x218, v71, v72
	s_or_b32 s0, s2, vcc_lo
	s_delay_alu instid0(SALU_CYCLE_1)
	s_xor_b32 s0, s0, -1
	ds_store_b64 v0, v[17:18]
	s_waitcnt lgkmcnt(0)
	s_barrier
	buffer_gl0_inv
	s_and_saveexec_b32 s1, s0
	s_cbranch_execz .LBB112_76
; %bb.75:
	ds_load_2addr_b64 v[0:3], v72 offset1:67
	v_ashrrev_i32_e32 v17, 31, v16
	s_waitcnt lgkmcnt(0)
	v_add_f64 v[4:5], v[0:1], v[2:3]
	ds_load_2addr_b64 v[0:3], v72 offset0:134 offset1:201
	s_waitcnt lgkmcnt(0)
	v_add_f64 v[0:1], v[4:5], v[0:1]
	s_delay_alu instid0(VALU_DEP_1) | instskip(SKIP_1) | instid1(VALU_DEP_1)
	v_add_f64 v[0:1], v[0:1], v[2:3]
	v_lshlrev_b64 v[2:3], 3, v[16:17]
	v_add_co_u32 v2, vcc_lo, s15, v2
	s_delay_alu instid0(VALU_DEP_2)
	v_add_co_ci_u32_e32 v3, vcc_lo, s20, v3, vcc_lo
	global_store_b64 v[2:3], v[0:1], off
.LBB112_76:
	s_nop 0
	s_sendmsg sendmsg(MSG_DEALLOC_VGPRS)
	s_endpgm
	.section	.rodata,"a",@progbits
	.p2align	6, 0x0
	.amdhsa_kernel _ZL26rocblas_hemvn_kernel_lowerILb0ELi64ELi4ELi33ELi32ELi16EidPKdPdEviT6_lT7_lT5_lS4_lS5_lS3_lT8_i
		.amdhsa_group_segment_fixed_size 9600
		.amdhsa_private_segment_fixed_size 0
		.amdhsa_kernarg_size 376
		.amdhsa_user_sgpr_count 14
		.amdhsa_user_sgpr_dispatch_ptr 0
		.amdhsa_user_sgpr_queue_ptr 0
		.amdhsa_user_sgpr_kernarg_segment_ptr 1
		.amdhsa_user_sgpr_dispatch_id 0
		.amdhsa_user_sgpr_private_segment_size 0
		.amdhsa_wavefront_size32 1
		.amdhsa_uses_dynamic_stack 0
		.amdhsa_enable_private_segment 0
		.amdhsa_system_sgpr_workgroup_id_x 1
		.amdhsa_system_sgpr_workgroup_id_y 0
		.amdhsa_system_sgpr_workgroup_id_z 1
		.amdhsa_system_sgpr_workgroup_info 0
		.amdhsa_system_vgpr_workitem_id 1
		.amdhsa_next_free_vgpr 115
		.amdhsa_next_free_sgpr 46
		.amdhsa_reserve_vcc 1
		.amdhsa_float_round_mode_32 0
		.amdhsa_float_round_mode_16_64 0
		.amdhsa_float_denorm_mode_32 3
		.amdhsa_float_denorm_mode_16_64 3
		.amdhsa_dx10_clamp 1
		.amdhsa_ieee_mode 1
		.amdhsa_fp16_overflow 0
		.amdhsa_workgroup_processor_mode 1
		.amdhsa_memory_ordered 1
		.amdhsa_forward_progress 0
		.amdhsa_shared_vgpr_count 0
		.amdhsa_exception_fp_ieee_invalid_op 0
		.amdhsa_exception_fp_denorm_src 0
		.amdhsa_exception_fp_ieee_div_zero 0
		.amdhsa_exception_fp_ieee_overflow 0
		.amdhsa_exception_fp_ieee_underflow 0
		.amdhsa_exception_fp_ieee_inexact 0
		.amdhsa_exception_int_div_zero 0
	.end_amdhsa_kernel
	.section	.text._ZL26rocblas_hemvn_kernel_lowerILb0ELi64ELi4ELi33ELi32ELi16EidPKdPdEviT6_lT7_lT5_lS4_lS5_lS3_lT8_i,"axG",@progbits,_ZL26rocblas_hemvn_kernel_lowerILb0ELi64ELi4ELi33ELi32ELi16EidPKdPdEviT6_lT7_lT5_lS4_lS5_lS3_lT8_i,comdat
.Lfunc_end112:
	.size	_ZL26rocblas_hemvn_kernel_lowerILb0ELi64ELi4ELi33ELi32ELi16EidPKdPdEviT6_lT7_lT5_lS4_lS5_lS3_lT8_i, .Lfunc_end112-_ZL26rocblas_hemvn_kernel_lowerILb0ELi64ELi4ELi33ELi32ELi16EidPKdPdEviT6_lT7_lT5_lS4_lS5_lS3_lT8_i
                                        ; -- End function
	.section	.AMDGPU.csdata,"",@progbits
; Kernel info:
; codeLenInByte = 7092
; NumSgprs: 48
; NumVgprs: 115
; ScratchSize: 0
; MemoryBound: 0
; FloatMode: 240
; IeeeMode: 1
; LDSByteSize: 9600 bytes/workgroup (compile time only)
; SGPRBlocks: 5
; VGPRBlocks: 14
; NumSGPRsForWavesPerEU: 48
; NumVGPRsForWavesPerEU: 115
; Occupancy: 12
; WaveLimiterHint : 1
; COMPUTE_PGM_RSRC2:SCRATCH_EN: 0
; COMPUTE_PGM_RSRC2:USER_SGPR: 14
; COMPUTE_PGM_RSRC2:TRAP_HANDLER: 0
; COMPUTE_PGM_RSRC2:TGID_X_EN: 1
; COMPUTE_PGM_RSRC2:TGID_Y_EN: 0
; COMPUTE_PGM_RSRC2:TGID_Z_EN: 1
; COMPUTE_PGM_RSRC2:TIDIG_COMP_CNT: 1
	.section	.text._ZL36rocblas_hemvn_kernel_lower_block_sumILi64EidPddEviT1_lS1_lT2_lT0_lPT3_i,"axG",@progbits,_ZL36rocblas_hemvn_kernel_lower_block_sumILi64EidPddEviT1_lS1_lT2_lT0_lPT3_i,comdat
	.globl	_ZL36rocblas_hemvn_kernel_lower_block_sumILi64EidPddEviT1_lS1_lT2_lT0_lPT3_i ; -- Begin function _ZL36rocblas_hemvn_kernel_lower_block_sumILi64EidPddEviT1_lS1_lT2_lT0_lPT3_i
	.p2align	8
	.type	_ZL36rocblas_hemvn_kernel_lower_block_sumILi64EidPddEviT1_lS1_lT2_lT0_lPT3_i,@function
_ZL36rocblas_hemvn_kernel_lower_block_sumILi64EidPddEviT1_lS1_lT2_lT0_lPT3_i: ; @_ZL36rocblas_hemvn_kernel_lower_block_sumILi64EidPddEviT1_lS1_lT2_lT0_lPT3_i
; %bb.0:
	s_clause 0x1
	s_load_b64 s[4:5], s[0:1], 0x8
	s_load_b64 s[6:7], s[0:1], 0x18
	s_waitcnt lgkmcnt(0)
	v_cmp_eq_f64_e64 s2, s[4:5], 0
	v_cmp_eq_f64_e64 s3, s[6:7], 1.0
	s_delay_alu instid0(VALU_DEP_1) | instskip(NEXT) | instid1(SALU_CYCLE_1)
	s_and_b32 s2, s2, s3
	s_and_b32 vcc_lo, exec_lo, s2
	s_cbranch_vccnz .LBB113_19
; %bb.1:
	v_cmp_neq_f64_e64 s9, s[4:5], 0
	s_clause 0x3
	s_load_b64 s[2:3], s[0:1], 0x40
	s_load_b128 s[16:19], s[0:1], 0x28
	s_load_b32 s12, s[0:1], 0x38
	s_load_b32 s8, s[0:1], 0x0
	v_lshl_or_b32 v0, s14, 6, v0
	s_waitcnt lgkmcnt(0)
	s_mul_i32 s3, s15, s3
	s_mul_hi_u32 s10, s15, s2
	s_mul_i32 s2, s15, s2
	s_add_i32 s3, s10, s3
	s_delay_alu instid0(SALU_CYCLE_1) | instskip(NEXT) | instid1(SALU_CYCLE_1)
	s_lshl_b64 s[2:3], s[2:3], 3
	s_add_u32 s2, s16, s2
	s_addc_u32 s13, s17, s3
	s_lshl_b64 s[10:11], s[18:19], 3
	s_delay_alu instid0(SALU_CYCLE_1) | instskip(SKIP_3) | instid1(VALU_DEP_3)
	s_add_u32 s3, s2, s10
	v_cmp_gt_i32_e64 s2, s8, v0
	s_addc_u32 s10, s13, s11
	s_mov_b32 s11, 0
	s_and_b32 vcc_lo, exec_lo, s9
	s_cbranch_vccnz .LBB113_6
; %bb.2:
	s_mov_b32 s9, 0
                                        ; implicit-def: $vgpr3_vgpr4
                                        ; implicit-def: $vgpr1_vgpr2
	s_and_saveexec_b32 s13, s2
	s_cbranch_execz .LBB113_7
; %bb.3:
	v_cmp_eq_f64_e64 s2, s[6:7], 0
	v_mul_lo_u32 v1, v0, s12
	v_mov_b32_e32 v3, 0
	v_mov_b32_e32 v4, 0
	s_delay_alu instid0(VALU_DEP_3)
	v_ashrrev_i32_e32 v2, 31, v1
	s_and_b32 vcc_lo, exec_lo, s2
	s_cbranch_vccnz .LBB113_5
; %bb.4:
	s_delay_alu instid0(VALU_DEP_1) | instskip(NEXT) | instid1(VALU_DEP_1)
	v_lshlrev_b64 v[3:4], 3, v[1:2]
	v_add_co_u32 v3, vcc_lo, s3, v3
	s_delay_alu instid0(VALU_DEP_2)
	v_add_co_ci_u32_e32 v4, vcc_lo, s10, v4, vcc_lo
	global_load_b64 v[3:4], v[3:4], off
	s_waitcnt vmcnt(0)
	v_mul_f64 v[3:4], v[3:4], s[6:7]
.LBB113_5:
	s_mov_b32 s11, exec_lo
	s_or_b32 exec_lo, exec_lo, s13
	s_delay_alu instid0(SALU_CYCLE_1)
	s_and_b32 vcc_lo, exec_lo, s9
	s_cbranch_vccnz .LBB113_8
	s_branch .LBB113_17
.LBB113_6:
                                        ; implicit-def: $vgpr3_vgpr4
                                        ; implicit-def: $vgpr1_vgpr2
	s_cbranch_execnz .LBB113_8
	s_branch .LBB113_17
.LBB113_7:
	s_or_b32 exec_lo, exec_lo, s13
	s_delay_alu instid0(SALU_CYCLE_1)
	s_and_b32 vcc_lo, exec_lo, s9
	s_cbranch_vccz .LBB113_17
.LBB113_8:
	s_mov_b32 s2, exec_lo
                                        ; implicit-def: $vgpr3_vgpr4
                                        ; implicit-def: $vgpr1_vgpr2
	v_cmpx_gt_i32_e64 s8, v0
	s_cbranch_execz .LBB113_16
; %bb.9:
	s_load_b32 s13, s[0:1], 0x58
	v_mov_b32_e32 v5, 0
	v_mov_b32_e32 v6, 0
	s_waitcnt lgkmcnt(0)
	s_cmp_ge_i32 s14, s13
	s_cbranch_scc1 .LBB113_12
; %bb.10:
	s_load_b64 s[0:1], s[0:1], 0x48
	v_mad_u64_u32 v[1:2], null, s14, s8, v[0:1]
	s_ashr_i32 s9, s8, 31
	s_mul_hi_u32 s16, s8, s15
	s_mul_i32 s17, s9, s15
	s_mul_i32 s15, s8, s15
	s_add_i32 s16, s16, s17
	s_mul_hi_u32 s17, s15, s13
	s_delay_alu instid0(VALU_DEP_1)
	v_ashrrev_i32_e32 v2, 31, v1
	s_mul_i32 s18, s16, s13
	s_mul_i32 s16, s15, s13
	s_add_i32 s17, s17, s18
	v_mov_b32_e32 v5, 0
	v_lshlrev_b64 v[1:2], 3, v[1:2]
	s_lshl_b64 s[16:17], s[16:17], 3
	v_mov_b32_e32 v6, 0
	s_waitcnt lgkmcnt(0)
	s_add_u32 s0, s0, s16
	s_addc_u32 s1, s1, s17
	v_add_co_u32 v1, vcc_lo, s0, v1
	v_add_co_ci_u32_e32 v2, vcc_lo, s1, v2, vcc_lo
	s_lshl_b64 s[0:1], s[8:9], 3
.LBB113_11:                             ; =>This Inner Loop Header: Depth=1
	global_load_b64 v[3:4], v[1:2], off
	v_add_co_u32 v1, vcc_lo, v1, s0
	v_add_co_ci_u32_e32 v2, vcc_lo, s1, v2, vcc_lo
	s_add_i32 s14, s14, 1
	s_delay_alu instid0(SALU_CYCLE_1)
	s_cmp_ge_i32 s14, s13
	s_waitcnt vmcnt(0)
	v_add_f64 v[5:6], v[5:6], v[3:4]
	s_cbranch_scc0 .LBB113_11
.LBB113_12:
	v_cmp_eq_f64_e64 s0, s[6:7], 0
	v_mul_lo_u32 v1, v0, s12
	s_delay_alu instid0(VALU_DEP_1) | instskip(NEXT) | instid1(VALU_DEP_3)
	v_ashrrev_i32_e32 v2, 31, v1
	s_and_b32 vcc_lo, exec_lo, s0
	s_cbranch_vccz .LBB113_20
; %bb.13:
	s_delay_alu instid0(VALU_DEP_4)
	v_mul_f64 v[3:4], v[5:6], s[4:5]
	s_cbranch_execnz .LBB113_15
.LBB113_14:
	s_delay_alu instid0(VALU_DEP_1) | instskip(NEXT) | instid1(VALU_DEP_1)
	v_lshlrev_b64 v[3:4], 3, v[1:2]
	v_add_co_u32 v3, vcc_lo, s3, v3
	s_delay_alu instid0(VALU_DEP_2) | instskip(SKIP_3) | instid1(VALU_DEP_1)
	v_add_co_ci_u32_e32 v4, vcc_lo, s10, v4, vcc_lo
	global_load_b64 v[3:4], v[3:4], off
	s_waitcnt vmcnt(0)
	v_mul_f64 v[3:4], v[3:4], s[6:7]
	v_fma_f64 v[3:4], v[5:6], s[4:5], v[3:4]
.LBB113_15:
	s_or_b32 s11, s11, exec_lo
.LBB113_16:
	s_or_b32 exec_lo, exec_lo, s2
.LBB113_17:
	s_and_saveexec_b32 s0, s11
	s_cbranch_execz .LBB113_19
; %bb.18:
	v_lshlrev_b64 v[0:1], 3, v[1:2]
	s_delay_alu instid0(VALU_DEP_1) | instskip(NEXT) | instid1(VALU_DEP_2)
	v_add_co_u32 v0, vcc_lo, s3, v0
	v_add_co_ci_u32_e32 v1, vcc_lo, s10, v1, vcc_lo
	global_store_b64 v[0:1], v[3:4], off
.LBB113_19:
	s_nop 0
	s_sendmsg sendmsg(MSG_DEALLOC_VGPRS)
	s_endpgm
.LBB113_20:
                                        ; implicit-def: $vgpr3_vgpr4
	s_branch .LBB113_14
	.section	.rodata,"a",@progbits
	.p2align	6, 0x0
	.amdhsa_kernel _ZL36rocblas_hemvn_kernel_lower_block_sumILi64EidPddEviT1_lS1_lT2_lT0_lPT3_i
		.amdhsa_group_segment_fixed_size 0
		.amdhsa_private_segment_fixed_size 0
		.amdhsa_kernarg_size 344
		.amdhsa_user_sgpr_count 14
		.amdhsa_user_sgpr_dispatch_ptr 0
		.amdhsa_user_sgpr_queue_ptr 0
		.amdhsa_user_sgpr_kernarg_segment_ptr 1
		.amdhsa_user_sgpr_dispatch_id 0
		.amdhsa_user_sgpr_private_segment_size 0
		.amdhsa_wavefront_size32 1
		.amdhsa_uses_dynamic_stack 0
		.amdhsa_enable_private_segment 0
		.amdhsa_system_sgpr_workgroup_id_x 1
		.amdhsa_system_sgpr_workgroup_id_y 0
		.amdhsa_system_sgpr_workgroup_id_z 1
		.amdhsa_system_sgpr_workgroup_info 0
		.amdhsa_system_vgpr_workitem_id 0
		.amdhsa_next_free_vgpr 7
		.amdhsa_next_free_sgpr 20
		.amdhsa_reserve_vcc 1
		.amdhsa_float_round_mode_32 0
		.amdhsa_float_round_mode_16_64 0
		.amdhsa_float_denorm_mode_32 3
		.amdhsa_float_denorm_mode_16_64 3
		.amdhsa_dx10_clamp 1
		.amdhsa_ieee_mode 1
		.amdhsa_fp16_overflow 0
		.amdhsa_workgroup_processor_mode 1
		.amdhsa_memory_ordered 1
		.amdhsa_forward_progress 0
		.amdhsa_shared_vgpr_count 0
		.amdhsa_exception_fp_ieee_invalid_op 0
		.amdhsa_exception_fp_denorm_src 0
		.amdhsa_exception_fp_ieee_div_zero 0
		.amdhsa_exception_fp_ieee_overflow 0
		.amdhsa_exception_fp_ieee_underflow 0
		.amdhsa_exception_fp_ieee_inexact 0
		.amdhsa_exception_int_div_zero 0
	.end_amdhsa_kernel
	.section	.text._ZL36rocblas_hemvn_kernel_lower_block_sumILi64EidPddEviT1_lS1_lT2_lT0_lPT3_i,"axG",@progbits,_ZL36rocblas_hemvn_kernel_lower_block_sumILi64EidPddEviT1_lS1_lT2_lT0_lPT3_i,comdat
.Lfunc_end113:
	.size	_ZL36rocblas_hemvn_kernel_lower_block_sumILi64EidPddEviT1_lS1_lT2_lT0_lPT3_i, .Lfunc_end113-_ZL36rocblas_hemvn_kernel_lower_block_sumILi64EidPddEviT1_lS1_lT2_lT0_lPT3_i
                                        ; -- End function
	.section	.AMDGPU.csdata,"",@progbits
; Kernel info:
; codeLenInByte = 696
; NumSgprs: 22
; NumVgprs: 7
; ScratchSize: 0
; MemoryBound: 0
; FloatMode: 240
; IeeeMode: 1
; LDSByteSize: 0 bytes/workgroup (compile time only)
; SGPRBlocks: 2
; VGPRBlocks: 0
; NumSGPRsForWavesPerEU: 22
; NumVGPRsForWavesPerEU: 7
; Occupancy: 16
; WaveLimiterHint : 0
; COMPUTE_PGM_RSRC2:SCRATCH_EN: 0
; COMPUTE_PGM_RSRC2:USER_SGPR: 14
; COMPUTE_PGM_RSRC2:TRAP_HANDLER: 0
; COMPUTE_PGM_RSRC2:TGID_X_EN: 1
; COMPUTE_PGM_RSRC2:TGID_Y_EN: 0
; COMPUTE_PGM_RSRC2:TGID_Z_EN: 1
; COMPUTE_PGM_RSRC2:TIDIG_COMP_CNT: 0
	.section	.text._ZL26rocblas_hemvn_kernel_upperILb0ELi64ELi4ELi33ELi32ELi16ElPK19rocblas_complex_numIfES3_PS1_EviT6_lT7_lT5_lS6_lS7_lS5_lT8_i,"axG",@progbits,_ZL26rocblas_hemvn_kernel_upperILb0ELi64ELi4ELi33ELi32ELi16ElPK19rocblas_complex_numIfES3_PS1_EviT6_lT7_lT5_lS6_lS7_lS5_lT8_i,comdat
	.globl	_ZL26rocblas_hemvn_kernel_upperILb0ELi64ELi4ELi33ELi32ELi16ElPK19rocblas_complex_numIfES3_PS1_EviT6_lT7_lT5_lS6_lS7_lS5_lT8_i ; -- Begin function _ZL26rocblas_hemvn_kernel_upperILb0ELi64ELi4ELi33ELi32ELi16ElPK19rocblas_complex_numIfES3_PS1_EviT6_lT7_lT5_lS6_lS7_lS5_lT8_i
	.p2align	8
	.type	_ZL26rocblas_hemvn_kernel_upperILb0ELi64ELi4ELi33ELi32ELi16ElPK19rocblas_complex_numIfES3_PS1_EviT6_lT7_lT5_lS6_lS7_lS5_lT8_i,@function
_ZL26rocblas_hemvn_kernel_upperILb0ELi64ELi4ELi33ELi32ELi16ElPK19rocblas_complex_numIfES3_PS1_EviT6_lT7_lT5_lS6_lS7_lS5_lT8_i: ; @_ZL26rocblas_hemvn_kernel_upperILb0ELi64ELi4ELi33ELi32ELi16ElPK19rocblas_complex_numIfES3_PS1_EviT6_lT7_lT5_lS6_lS7_lS5_lT8_i
; %bb.0:
	s_load_b64 s[4:5], s[0:1], 0x84
	s_add_u32 s2, s0, 0x78
	s_addc_u32 s3, s1, 0
	s_waitcnt lgkmcnt(0)
	s_lshr_b32 s6, s4, 16
	s_and_b32 s4, s4, 0xffff
	s_and_b32 s5, s5, 0xffff
	s_mul_i32 s4, s6, s4
	s_delay_alu instid0(SALU_CYCLE_1) | instskip(NEXT) | instid1(SALU_CYCLE_1)
	s_mul_i32 s4, s4, s5
	s_cmpk_lg_i32 s4, 0x100
	s_cbranch_scc1 .LBB114_154
; %bb.1:
	s_load_b512 s[16:31], s[0:1], 0x8
	s_waitcnt lgkmcnt(0)
	s_mul_i32 s4, s15, s19
	s_mul_hi_u32 s5, s15, s18
	s_delay_alu instid0(SALU_CYCLE_1) | instskip(SKIP_1) | instid1(SALU_CYCLE_1)
	s_add_i32 s5, s5, s4
	s_mul_i32 s4, s15, s18
	s_lshl_b64 s[4:5], s[4:5], 3
	s_delay_alu instid0(SALU_CYCLE_1)
	s_add_u32 s4, s16, s4
	s_addc_u32 s5, s17, s5
	s_load_b64 s[4:5], s[4:5], 0x0
	s_clause 0x1
	s_load_b64 s[12:13], s[0:1], 0x68
	s_load_b256 s[36:43], s[0:1], 0x48
	s_waitcnt lgkmcnt(0)
	s_or_b32 s4, s4, s5
	s_mov_b32 s5, -1
	s_bitset0_b32 s4, 31
	s_delay_alu instid0(SALU_CYCLE_1) | instskip(SKIP_1) | instid1(SALU_CYCLE_1)
	s_cmp_lg_u32 s4, 0
	s_cselect_b32 s4, -1, 0
	s_and_b32 vcc_lo, exec_lo, s4
	s_cbranch_vccnz .LBB114_3
; %bb.2:
	s_mul_i32 s5, s15, s43
	s_mul_hi_u32 s7, s15, s42
	s_mul_i32 s6, s15, s42
	s_add_i32 s7, s7, s5
	s_delay_alu instid0(SALU_CYCLE_1) | instskip(NEXT) | instid1(SALU_CYCLE_1)
	s_lshl_b64 s[6:7], s[6:7], 3
	s_add_u32 s6, s40, s6
	s_addc_u32 s7, s41, s7
	s_load_b64 s[6:7], s[6:7], 0x0
	s_waitcnt lgkmcnt(0)
	v_cmp_neq_f32_e64 s5, s6, 1.0
	v_cmp_neq_f32_e64 s6, s7, 0
	s_delay_alu instid0(VALU_DEP_1)
	s_or_b32 s5, s5, s6
.LBB114_3:
	s_delay_alu instid0(SALU_CYCLE_1)
	s_and_not1_b32 vcc_lo, exec_lo, s5
	s_cbranch_vccnz .LBB114_154
; %bb.4:
	s_and_not1_b32 vcc_lo, exec_lo, s4
	s_cbranch_vccnz .LBB114_154
; %bb.5:
	s_mul_i32 s5, s15, s39
	s_mul_hi_u32 s6, s15, s38
	s_mul_i32 s4, s15, s38
	s_add_i32 s5, s6, s5
	s_load_b32 s33, s[0:1], 0x0
	s_lshl_b64 s[4:5], s[4:5], 3
	v_and_b32_e32 v93, 0x3ff, v0
	s_add_u32 s4, s28, s4
	s_addc_u32 s5, s29, s5
	s_lshl_b64 s[0:1], s[30:31], 3
	s_load_b32 s7, s[2:3], 0x0
	s_add_u32 s0, s4, s0
	s_addc_u32 s1, s5, s1
	s_lshl_b32 s10, s14, 6
	v_bfe_u32 v94, v0, 10, 10
	v_add_nc_u32_e32 v24, s10, v93
	s_delay_alu instid0(VALU_DEP_1)
	v_ashrrev_i32_e32 v25, 31, v24
	v_mul_lo_u32 v3, v24, s37
	v_mad_u64_u32 v[1:2], null, v24, s36, 0
	s_waitcnt lgkmcnt(0)
	s_ashr_i32 s28, s33, 31
	v_mul_lo_u32 v4, v25, s36
	s_lshr_b32 s2, s28, 26
	s_delay_alu instid0(SALU_CYCLE_1) | instskip(NEXT) | instid1(SALU_CYCLE_1)
	s_add_i32 s2, s33, s2
	s_and_not1_b32 s2, s2, 63
	s_add_i32 s3, s7, -1
	s_sub_i32 s18, s33, s2
	s_delay_alu instid0(VALU_DEP_1) | instskip(SKIP_3) | instid1(VALU_DEP_1)
	v_add3_u32 v2, v2, v3, v4
	s_cmp_eq_u32 s14, s3
	s_mov_b32 s2, -1
	s_cselect_b32 s8, s18, 0
	v_lshlrev_b64 v[1:2], 3, v[1:2]
	s_delay_alu instid0(VALU_DEP_1) | instskip(NEXT) | instid1(VALU_DEP_2)
	v_add_co_u32 v14, vcc_lo, s0, v1
	v_add_co_ci_u32_e32 v15, vcc_lo, s1, v2, vcc_lo
	v_cmp_eq_u32_e64 s0, 0, v94
	s_delay_alu instid0(VALU_DEP_1)
	s_and_saveexec_b32 s1, s0
	s_cbranch_execz .LBB114_10
; %bb.6:
	v_cmp_le_i32_e32 vcc_lo, s8, v93
	s_cmp_lg_u32 s8, 0
	v_lshl_add_u32 v0, v93, 3, 0x2380
	s_cselect_b32 s3, -1, 0
	s_delay_alu instid0(SALU_CYCLE_1) | instskip(NEXT) | instid1(SALU_CYCLE_1)
	s_and_b32 s3, s3, vcc_lo
	s_and_saveexec_b32 s4, s3
	s_delay_alu instid0(SALU_CYCLE_1)
	s_xor_b32 s3, exec_lo, s4
	s_cbranch_execz .LBB114_8
; %bb.7:
	v_mov_b32_e32 v1, 0
	s_delay_alu instid0(VALU_DEP_1)
	v_mov_b32_e32 v2, v1
	ds_store_b64 v0, v[1:2]
                                        ; implicit-def: $vgpr0
.LBB114_8:
	s_and_not1_saveexec_b32 s3, s3
	s_cbranch_execz .LBB114_10
; %bb.9:
	global_load_b64 v[1:2], v[14:15], off
	s_waitcnt vmcnt(0)
	ds_store_b64 v0, v[1:2]
.LBB114_10:
	s_or_b32 exec_lo, exec_lo, s1
	v_lshl_add_u32 v22, v94, 6, v93
	v_dual_mov_b32 v1, 0 :: v_dual_and_b32 v0, 31, v93
	s_mul_i32 s1, s15, s27
	s_mul_hi_u32 s3, s15, s26
	s_delay_alu instid0(VALU_DEP_2)
	v_lshrrev_b32_e32 v7, 5, v22
	s_add_i32 s5, s3, s1
	s_mul_i32 s4, s15, s26
	v_lshlrev_b32_e32 v9, 3, v0
	s_lshl_b64 s[4:5], s[4:5], 3
	v_mad_u64_u32 v[2:3], null, v7, s24, v[0:1]
	s_add_u32 s1, s20, s4
	s_addc_u32 s3, s21, s5
	s_lshl_b64 s[4:5], s[22:23], 3
	v_mul_u32_u24_e32 v8, 33, v7
	s_add_u32 s1, s1, s4
	s_addc_u32 s3, s3, s5
	s_delay_alu instid0(VALU_DEP_2) | instskip(SKIP_1) | instid1(SALU_CYCLE_1)
	v_mov_b32_e32 v1, v3
	s_ashr_i32 s11, s10, 31
	s_lshl_b64 s[4:5], s[10:11], 3
	s_delay_alu instid0(SALU_CYCLE_1) | instskip(NEXT) | instid1(VALU_DEP_1)
	s_add_u32 s1, s1, s4
	v_mad_u64_u32 v[3:4], null, v7, s25, v[1:2]
	s_addc_u32 s3, s3, s5
	s_mul_i32 s4, s10, s25
	s_mul_hi_u32 s5, s10, s24
	s_delay_alu instid0(SALU_CYCLE_1) | instskip(SKIP_1) | instid1(VALU_DEP_1)
	s_add_i32 s4, s5, s4
	s_mul_i32 s5, s11, s24
	v_lshlrev_b64 v[12:13], 3, v[2:3]
	s_add_i32 s5, s4, s5
	s_mul_i32 s4, s10, s24
	s_delay_alu instid0(SALU_CYCLE_1) | instskip(NEXT) | instid1(SALU_CYCLE_1)
	s_lshl_b64 s[4:5], s[4:5], 3
	s_add_u32 s1, s4, s1
	s_addc_u32 s3, s5, s3
	s_cmp_eq_u32 s8, 0
	v_add_co_u32 v3, s1, s1, v12
	s_cselect_b32 s19, -1, 0
	s_cmp_lg_u32 s8, 0
	v_add_co_ci_u32_e64 v4, s1, s3, v13, s1
	v_cmp_gt_i32_e64 s1, s8, v0
	s_cselect_b32 s20, -1, 0
	s_delay_alu instid0(SALU_CYCLE_1)
	s_and_b32 vcc_lo, exec_lo, s20
	s_cbranch_vccz .LBB114_28
; %bb.11:
	v_sub_co_u32 v1, vcc_lo, v3, v9
	s_ashr_i32 s9, s8, 31
	v_subrev_co_ci_u32_e32 v2, vcc_lo, 0, v4, vcc_lo
	s_lshl_b64 s[2:3], s[8:9], 3
	v_add_lshl_u32 v5, v8, v0, 3
	v_add_co_u32 v1, vcc_lo, v1, s2
	s_delay_alu instid0(VALU_DEP_3) | instskip(SKIP_1) | instid1(VALU_DEP_2)
	v_add_co_ci_u32_e32 v2, vcc_lo, s3, v2, vcc_lo
	s_mov_b32 s4, exec_lo
	v_add_co_u32 v1, vcc_lo, v1, -8
	s_delay_alu instid0(VALU_DEP_2) | instskip(NEXT) | instid1(VALU_DEP_2)
	v_add_co_ci_u32_e32 v2, vcc_lo, -1, v2, vcc_lo
	v_cndmask_b32_e64 v1, v1, v3, s1
	s_delay_alu instid0(VALU_DEP_2)
	v_cndmask_b32_e64 v2, v2, v4, s1
	v_cmpx_le_i32_e64 s8, v7
	s_xor_b32 s4, exec_lo, s4
	s_cbranch_execz .LBB114_13
; %bb.12:
	v_mov_b32_e32 v10, 0
	s_delay_alu instid0(VALU_DEP_1)
	v_mov_b32_e32 v11, v10
	ds_store_b64 v5, v[10:11]
.LBB114_13:
	s_and_not1_saveexec_b32 s4, s4
	s_cbranch_execz .LBB114_15
; %bb.14:
	global_load_b64 v[10:11], v[1:2], off
	s_waitcnt vmcnt(0)
	ds_store_b64 v5, v[10:11]
.LBB114_15:
	s_or_b32 exec_lo, exec_lo, s4
	v_add_nc_u32_e32 v6, 8, v7
	s_mov_b32 s4, exec_lo
	s_delay_alu instid0(VALU_DEP_1)
	v_cmpx_le_i32_e64 s8, v6
	s_xor_b32 s4, exec_lo, s4
	s_cbranch_execz .LBB114_17
; %bb.16:
	v_mul_u32_u24_e32 v6, 33, v6
	v_mov_b32_e32 v10, 0
	s_delay_alu instid0(VALU_DEP_2) | instskip(NEXT) | instid1(VALU_DEP_2)
	v_add_lshl_u32 v6, v6, v0, 3
	v_mov_b32_e32 v11, v10
	ds_store_b64 v6, v[10:11]
.LBB114_17:
	s_and_not1_saveexec_b32 s4, s4
	s_cbranch_execz .LBB114_19
; %bb.18:
	s_lshl_b64 s[16:17], s[24:25], 6
	s_delay_alu instid0(SALU_CYCLE_1)
	v_add_co_u32 v10, vcc_lo, v1, s16
	v_add_co_ci_u32_e32 v11, vcc_lo, s17, v2, vcc_lo
	global_load_b64 v[10:11], v[10:11], off
	s_waitcnt vmcnt(0)
	ds_store_b64 v5, v[10:11] offset:2112
.LBB114_19:
	s_or_b32 exec_lo, exec_lo, s4
	v_add_nc_u32_e32 v6, 16, v7
	s_mov_b32 s4, exec_lo
	s_delay_alu instid0(VALU_DEP_1)
	v_cmpx_le_i32_e64 s8, v6
	s_xor_b32 s4, exec_lo, s4
	s_cbranch_execz .LBB114_21
; %bb.20:
	v_mov_b32_e32 v10, 0
	s_delay_alu instid0(VALU_DEP_1)
	v_mov_b32_e32 v11, v10
	ds_store_b64 v5, v[10:11] offset:4224
.LBB114_21:
	s_and_not1_saveexec_b32 s4, s4
	s_cbranch_execz .LBB114_23
; %bb.22:
	s_lshl_b64 s[16:17], s[24:25], 7
	s_delay_alu instid0(SALU_CYCLE_1)
	v_add_co_u32 v10, vcc_lo, v1, s16
	v_add_co_ci_u32_e32 v11, vcc_lo, s17, v2, vcc_lo
	global_load_b64 v[10:11], v[10:11], off
	s_waitcnt vmcnt(0)
	ds_store_b64 v5, v[10:11] offset:4224
.LBB114_23:
	s_or_b32 exec_lo, exec_lo, s4
	v_add_nc_u32_e32 v6, 24, v7
	s_mov_b32 s4, exec_lo
	s_delay_alu instid0(VALU_DEP_1)
	v_cmpx_le_i32_e64 s8, v6
	s_xor_b32 s4, exec_lo, s4
	s_cbranch_execz .LBB114_25
; %bb.24:
	v_mov_b32_e32 v10, 0
	s_delay_alu instid0(VALU_DEP_1)
	v_mov_b32_e32 v11, v10
	ds_store_b64 v5, v[10:11] offset:6336
                                        ; implicit-def: $vgpr5
.LBB114_25:
	s_and_not1_saveexec_b32 s4, s4
	s_cbranch_execz .LBB114_27
; %bb.26:
	v_mad_u64_u32 v[10:11], null, 0xc0, s24, v[1:2]
	s_delay_alu instid0(VALU_DEP_1) | instskip(NEXT) | instid1(VALU_DEP_1)
	v_mov_b32_e32 v6, v11
	v_mad_u64_u32 v[16:17], null, 0xc0, s25, v[6:7]
	s_delay_alu instid0(VALU_DEP_1)
	v_mov_b32_e32 v11, v16
	global_load_b64 v[10:11], v[10:11], off
	s_waitcnt vmcnt(0)
	ds_store_b64 v5, v[10:11] offset:6336
.LBB114_27:
	s_or_b32 exec_lo, exec_lo, s4
	v_add_co_u32 v1, vcc_lo, v1, v9
	v_add_co_ci_u32_e32 v2, vcc_lo, 0, v2, vcc_lo
	s_delay_alu instid0(VALU_DEP_2) | instskip(NEXT) | instid1(VALU_DEP_2)
	v_sub_co_u32 v1, vcc_lo, v1, s2
	v_subrev_co_ci_u32_e32 v2, vcc_lo, s3, v2, vcc_lo
	s_delay_alu instid0(VALU_DEP_2) | instskip(NEXT) | instid1(VALU_DEP_2)
	v_add_co_u32 v1, vcc_lo, v1, 8
	v_add_co_ci_u32_e32 v2, vcc_lo, 0, v2, vcc_lo
	s_delay_alu instid0(VALU_DEP_2) | instskip(NEXT) | instid1(VALU_DEP_2)
	v_cndmask_b32_e64 v1, v1, v3, s1
	v_cndmask_b32_e64 v2, v2, v4, s1
	s_branch .LBB114_30
.LBB114_28:
                                        ; implicit-def: $vgpr1_vgpr2
	s_and_b32 vcc_lo, exec_lo, s2
	s_cbranch_vccz .LBB114_30
; %bb.29:
	v_mad_u64_u32 v[1:2], null, 0xc0, s24, v[3:4]
	s_lshl_b64 s[2:3], s[24:25], 6
	v_add_lshl_u32 v20, v8, v0, 3
	v_add_co_u32 v10, vcc_lo, v3, s2
	v_add_co_ci_u32_e32 v11, vcc_lo, s3, v4, vcc_lo
	s_delay_alu instid0(VALU_DEP_4) | instskip(NEXT) | instid1(VALU_DEP_3)
	v_mad_u64_u32 v[5:6], null, 0xc0, s25, v[2:3]
	v_add_co_u32 v16, vcc_lo, v10, s2
	s_delay_alu instid0(VALU_DEP_3) | instskip(NEXT) | instid1(VALU_DEP_3)
	v_add_co_ci_u32_e32 v17, vcc_lo, s3, v11, vcc_lo
	v_mov_b32_e32 v2, v5
	s_clause 0x1
	global_load_b64 v[5:6], v[3:4], off
	global_load_b64 v[10:11], v[10:11], off
	;; [unrolled: 1-line block ×4, first 2 shown]
	v_dual_mov_b32 v1, v3 :: v_dual_mov_b32 v2, v4
	s_waitcnt vmcnt(3)
	ds_store_b64 v20, v[5:6]
	s_waitcnt vmcnt(2)
	ds_store_b64 v20, v[10:11] offset:2112
	s_waitcnt vmcnt(1)
	ds_store_b64 v20, v[16:17] offset:4224
	;; [unrolled: 2-line block ×3, first 2 shown]
.LBB114_30:
	v_lshlrev_b32_e32 v3, 2, v7
	v_mul_u32_u24_e32 v10, 33, v0
	v_mul_u32_u24_e32 v4, 0x84, v7
	s_waitcnt lgkmcnt(0)
	s_barrier
	v_cmp_gt_u32_e64 s2, v3, v0
	v_add_lshl_u32 v16, v3, v10, 3
	buffer_gl0_inv
	s_and_saveexec_b32 s1, s2
	s_cbranch_execz .LBB114_32
; %bb.31:
	v_add_lshl_u32 v5, v4, v0, 3
	ds_load_b64 v[5:6], v5
	s_waitcnt lgkmcnt(0)
	ds_store_b64 v16, v[5:6]
.LBB114_32:
	s_or_b32 exec_lo, exec_lo, s1
	v_cmp_ge_u32_e64 s3, v3, v0
	s_delay_alu instid0(VALU_DEP_1)
	s_and_saveexec_b32 s1, s3
	s_cbranch_execz .LBB114_34
; %bb.33:
	v_or_b32_e32 v5, 1, v3
	s_delay_alu instid0(VALU_DEP_1) | instskip(NEXT) | instid1(VALU_DEP_1)
	v_mul_u32_u24_e32 v5, 33, v5
	v_add_lshl_u32 v5, v5, v0, 3
	ds_load_b64 v[5:6], v5
	s_waitcnt lgkmcnt(0)
	ds_store_b64 v16, v[5:6] offset:8
.LBB114_34:
	s_or_b32 exec_lo, exec_lo, s1
	v_or_b32_e32 v5, 2, v3
	s_delay_alu instid0(VALU_DEP_1) | instskip(NEXT) | instid1(VALU_DEP_1)
	v_cmp_gt_u32_e64 s4, v5, v0
	s_and_saveexec_b32 s1, s4
	s_cbranch_execz .LBB114_36
; %bb.35:
	v_mul_u32_u24_e32 v5, 33, v5
	s_delay_alu instid0(VALU_DEP_1)
	v_add_lshl_u32 v5, v5, v0, 3
	ds_load_b64 v[5:6], v5
	s_waitcnt lgkmcnt(0)
	ds_store_b64 v16, v[5:6] offset:16
.LBB114_36:
	s_or_b32 exec_lo, exec_lo, s1
	v_or_b32_e32 v5, 3, v3
	s_delay_alu instid0(VALU_DEP_1) | instskip(SKIP_1) | instid1(VALU_DEP_2)
	v_mad_u32_u24 v6, v5, 33, v0
	v_cmp_gt_u32_e64 s5, v5, v0
	v_lshlrev_b32_e32 v18, 3, v6
	s_delay_alu instid0(VALU_DEP_2)
	s_and_saveexec_b32 s1, s5
	s_cbranch_execz .LBB114_38
; %bb.37:
	ds_load_b64 v[5:6], v18
	s_waitcnt lgkmcnt(0)
	ds_store_b64 v16, v[5:6] offset:24
.LBB114_38:
	s_or_b32 exec_lo, exec_lo, s1
	v_add_lshl_u32 v11, v4, v0, 3
	v_lshlrev_b32_e32 v17, 3, v3
	v_add_nc_u32_e32 v19, 0xfffffdf0, v18
	s_waitcnt lgkmcnt(0)
	s_barrier
	buffer_gl0_inv
	ds_load_b64 v[20:21], v11
	ds_load_b128 v[3:6], v17 offset:9088
	ds_load_2addr_b64 v[26:29], v19 offset1:33
	ds_load_b128 v[30:33], v17 offset:9104
	ds_load_b64 v[34:35], v18
	v_cmp_gt_u32_e64 s1, 32, v22
	s_waitcnt lgkmcnt(0)
	s_barrier
	buffer_gl0_inv
	v_mul_f32_e32 v23, v4, v21
	v_dual_mul_f32 v21, v3, v21 :: v_dual_mul_f32 v36, v6, v27
	v_mul_f32_e32 v27, v5, v27
	s_delay_alu instid0(VALU_DEP_2) | instskip(NEXT) | instid1(VALU_DEP_4)
	v_dual_fmac_f32 v21, v4, v20 :: v_dual_mul_f32 v4, v33, v35
	v_fma_f32 v3, v3, v20, -v23
	v_dual_mul_f32 v20, v32, v35 :: v_dual_mul_f32 v37, v31, v29
	v_fma_f32 v5, v5, v26, -v36
	v_fmac_f32_e32 v27, v6, v26
	s_delay_alu instid0(VALU_DEP_3) | instskip(SKIP_3) | instid1(VALU_DEP_4)
	v_dual_add_f32 v3, 0, v3 :: v_dual_fmac_f32 v20, v33, v34
	v_mul_f32_e32 v29, v30, v29
	v_add_f32_e32 v6, 0, v21
	v_fma_f32 v21, v30, v28, -v37
	v_add_f32_e32 v3, v3, v5
	v_fma_f32 v4, v32, v34, -v4
	v_fmac_f32_e32 v29, v31, v28
	v_add_f32_e32 v5, v6, v27
	v_add_lshl_u32 v28, v7, v10, 3
	v_dual_add_f32 v3, v3, v21 :: v_dual_mov_b32 v26, 0
	v_lshlrev_b32_e32 v23, 3, v10
	s_delay_alu instid0(VALU_DEP_4) | instskip(SKIP_1) | instid1(VALU_DEP_4)
	v_add_f32_e32 v5, v5, v29
	v_mov_b32_e32 v27, 0
	v_add_f32_e32 v3, v3, v4
	s_delay_alu instid0(VALU_DEP_3)
	v_add_f32_e32 v4, v5, v20
	ds_store_b64 v28, v[3:4]
	s_waitcnt lgkmcnt(0)
	s_barrier
	buffer_gl0_inv
	s_and_saveexec_b32 s6, s1
	s_cbranch_execz .LBB114_40
; %bb.39:
	ds_load_2addr_b64 v[3:6], v23 offset1:7
	ds_load_2addr_b64 v[29:32], v23 offset0:1 offset1:2
	ds_load_2addr_b64 v[33:36], v23 offset0:3 offset1:4
	;; [unrolled: 1-line block ×3, first 2 shown]
	s_waitcnt lgkmcnt(2)
	v_dual_add_f32 v3, v29, v3 :: v_dual_add_f32 v4, v30, v4
	s_delay_alu instid0(VALU_DEP_1) | instskip(SKIP_1) | instid1(VALU_DEP_1)
	v_dual_add_f32 v3, v3, v31 :: v_dual_add_f32 v4, v4, v32
	s_waitcnt lgkmcnt(1)
	v_dual_add_f32 v3, v3, v33 :: v_dual_add_f32 v4, v4, v34
	s_delay_alu instid0(VALU_DEP_1) | instskip(SKIP_1) | instid1(VALU_DEP_1)
	v_dual_add_f32 v3, v3, v35 :: v_dual_add_f32 v4, v4, v36
	s_waitcnt lgkmcnt(0)
	v_dual_add_f32 v3, v3, v37 :: v_dual_add_f32 v4, v4, v38
	s_delay_alu instid0(VALU_DEP_1) | instskip(NEXT) | instid1(VALU_DEP_1)
	v_dual_add_f32 v3, v3, v39 :: v_dual_add_f32 v4, v4, v40
	v_dual_add_f32 v26, v3, v5 :: v_dual_add_f32 v27, v4, v6
.LBB114_40:
	s_or_b32 exec_lo, exec_lo, s6
	s_lshl_b64 s[16:17], s[24:25], 8
	s_delay_alu instid0(SALU_CYCLE_1) | instskip(SKIP_2) | instid1(VALU_DEP_2)
	v_add_co_u32 v5, vcc_lo, v1, s16
	v_add_co_ci_u32_e32 v6, vcc_lo, s17, v2, vcc_lo
	s_barrier
	v_add_co_u32 v3, vcc_lo, 0x100, v5
	s_delay_alu instid0(VALU_DEP_2)
	v_add_co_ci_u32_e32 v4, vcc_lo, 0, v6, vcc_lo
	s_and_b32 vcc_lo, exec_lo, s20
	buffer_gl0_inv
	s_cbranch_vccz .LBB114_58
; %bb.41:
	v_sub_co_u32 v1, vcc_lo, v3, v9
	s_ashr_i32 s9, s8, 31
	v_subrev_co_ci_u32_e32 v2, vcc_lo, 0, v4, vcc_lo
	s_lshl_b64 s[16:17], s[8:9], 3
	v_or_b32_e32 v20, 32, v0
	v_add_co_u32 v1, vcc_lo, v1, s16
	s_delay_alu instid0(VALU_DEP_3) | instskip(SKIP_1) | instid1(VALU_DEP_2)
	v_add_co_ci_u32_e32 v2, vcc_lo, s17, v2, vcc_lo
	s_sub_i32 s9, s8, 32
	v_add_co_u32 v1, vcc_lo, 0xfffffef8, v1
	s_delay_alu instid0(VALU_DEP_2) | instskip(SKIP_3) | instid1(VALU_DEP_4)
	v_add_co_ci_u32_e32 v2, vcc_lo, -1, v2, vcc_lo
	v_cmp_gt_i32_e32 vcc_lo, s8, v20
	v_cmp_le_i32_e64 s6, s9, v7
	v_add_lshl_u32 v20, v8, v0, 3
	v_dual_cndmask_b32 v2, v2, v4 :: v_dual_cndmask_b32 v1, v1, v3
	s_delay_alu instid0(VALU_DEP_3) | instskip(NEXT) | instid1(SALU_CYCLE_1)
	s_and_saveexec_b32 s21, s6
	s_xor_b32 s6, exec_lo, s21
	s_cbranch_execz .LBB114_43
; %bb.42:
	v_mov_b32_e32 v29, 0
	s_delay_alu instid0(VALU_DEP_1)
	v_mov_b32_e32 v30, v29
	ds_store_b64 v20, v[29:30]
.LBB114_43:
	s_and_not1_saveexec_b32 s6, s6
	s_cbranch_execz .LBB114_45
; %bb.44:
	global_load_b64 v[29:30], v[1:2], off
	s_waitcnt vmcnt(0)
	ds_store_b64 v20, v[29:30]
.LBB114_45:
	s_or_b32 exec_lo, exec_lo, s6
	v_add_nc_u32_e32 v21, 8, v7
	s_delay_alu instid0(VALU_DEP_1) | instskip(NEXT) | instid1(VALU_DEP_1)
	v_cmp_le_i32_e64 s6, s9, v21
	s_and_saveexec_b32 s21, s6
	s_delay_alu instid0(SALU_CYCLE_1)
	s_xor_b32 s6, exec_lo, s21
	s_cbranch_execz .LBB114_47
; %bb.46:
	v_mul_u32_u24_e32 v21, 33, v21
	v_mov_b32_e32 v29, 0
	s_delay_alu instid0(VALU_DEP_2) | instskip(NEXT) | instid1(VALU_DEP_2)
	v_add_lshl_u32 v21, v21, v0, 3
	v_mov_b32_e32 v30, v29
	ds_store_b64 v21, v[29:30]
.LBB114_47:
	s_and_not1_saveexec_b32 s21, s6
	s_cbranch_execz .LBB114_49
; %bb.48:
	s_lshl_b64 s[22:23], s[24:25], 6
	s_delay_alu instid0(SALU_CYCLE_1) | instskip(NEXT) | instid1(VALU_DEP_1)
	v_add_co_u32 v29, s6, v1, s22
	v_add_co_ci_u32_e64 v30, s6, s23, v2, s6
	global_load_b64 v[29:30], v[29:30], off
	s_waitcnt vmcnt(0)
	ds_store_b64 v20, v[29:30] offset:2112
.LBB114_49:
	s_or_b32 exec_lo, exec_lo, s21
	v_add_nc_u32_e32 v21, 16, v7
	s_delay_alu instid0(VALU_DEP_1) | instskip(NEXT) | instid1(VALU_DEP_1)
	v_cmp_le_i32_e64 s6, s9, v21
	s_and_saveexec_b32 s21, s6
	s_delay_alu instid0(SALU_CYCLE_1)
	s_xor_b32 s6, exec_lo, s21
	s_cbranch_execz .LBB114_51
; %bb.50:
	v_mov_b32_e32 v29, 0
	s_delay_alu instid0(VALU_DEP_1)
	v_mov_b32_e32 v30, v29
	ds_store_b64 v20, v[29:30] offset:4224
.LBB114_51:
	s_and_not1_saveexec_b32 s21, s6
	s_cbranch_execz .LBB114_53
; %bb.52:
	s_lshl_b64 s[22:23], s[24:25], 7
	s_delay_alu instid0(SALU_CYCLE_1) | instskip(NEXT) | instid1(VALU_DEP_1)
	v_add_co_u32 v29, s6, v1, s22
	v_add_co_ci_u32_e64 v30, s6, s23, v2, s6
	global_load_b64 v[29:30], v[29:30], off
	s_waitcnt vmcnt(0)
	ds_store_b64 v20, v[29:30] offset:4224
.LBB114_53:
	s_or_b32 exec_lo, exec_lo, s21
	v_add_nc_u32_e32 v21, 24, v7
	s_delay_alu instid0(VALU_DEP_1) | instskip(NEXT) | instid1(VALU_DEP_1)
	v_cmp_le_i32_e64 s6, s9, v21
	s_and_saveexec_b32 s9, s6
	s_delay_alu instid0(SALU_CYCLE_1)
	s_xor_b32 s6, exec_lo, s9
	s_cbranch_execz .LBB114_55
; %bb.54:
	v_mov_b32_e32 v29, 0
	s_delay_alu instid0(VALU_DEP_1)
	v_mov_b32_e32 v30, v29
	ds_store_b64 v20, v[29:30] offset:6336
                                        ; implicit-def: $vgpr20
.LBB114_55:
	s_and_not1_saveexec_b32 s6, s6
	s_cbranch_execz .LBB114_57
; %bb.56:
	v_mad_u64_u32 v[29:30], null, 0xc0, s24, v[1:2]
	s_delay_alu instid0(VALU_DEP_1) | instskip(NEXT) | instid1(VALU_DEP_1)
	v_mov_b32_e32 v21, v30
	v_mad_u64_u32 v[30:31], null, 0xc0, s25, v[21:22]
	global_load_b64 v[29:30], v[29:30], off
	s_waitcnt vmcnt(0)
	ds_store_b64 v20, v[29:30] offset:6336
.LBB114_57:
	s_or_b32 exec_lo, exec_lo, s6
	v_add_co_u32 v1, s6, v1, v9
	s_delay_alu instid0(VALU_DEP_1) | instskip(NEXT) | instid1(VALU_DEP_2)
	v_add_co_ci_u32_e64 v2, s6, 0, v2, s6
	v_sub_co_u32 v1, s6, v1, s16
	s_delay_alu instid0(VALU_DEP_1) | instskip(NEXT) | instid1(VALU_DEP_2)
	v_subrev_co_ci_u32_e64 v2, s6, s17, v2, s6
	v_add_co_u32 v1, s6, 0x108, v1
	s_delay_alu instid0(VALU_DEP_1) | instskip(NEXT) | instid1(VALU_DEP_1)
	v_add_co_ci_u32_e64 v2, s6, 0, v2, s6
	v_dual_cndmask_b32 v1, v1, v3 :: v_dual_cndmask_b32 v2, v2, v4
	s_branch .LBB114_60
.LBB114_58:
                                        ; implicit-def: $vgpr1_vgpr2
	s_cbranch_execz .LBB114_60
; %bb.59:
	v_mad_u64_u32 v[1:2], null, 0xc0, s24, v[5:6]
	s_lshl_b64 s[16:17], s[24:25], 6
	v_add_lshl_u32 v33, v8, v0, 3
	v_add_co_u32 v29, vcc_lo, v5, s16
	v_add_co_ci_u32_e32 v30, vcc_lo, s17, v6, vcc_lo
	s_delay_alu instid0(VALU_DEP_4) | instskip(NEXT) | instid1(VALU_DEP_3)
	v_mad_u64_u32 v[20:21], null, 0xc0, s25, v[2:3]
	v_add_co_u32 v31, vcc_lo, v29, s16
	s_delay_alu instid0(VALU_DEP_3) | instskip(NEXT) | instid1(VALU_DEP_3)
	v_add_co_ci_u32_e32 v32, vcc_lo, s17, v30, vcc_lo
	v_mov_b32_e32 v2, v20
	s_clause 0x3
	global_load_b64 v[5:6], v[5:6], off offset:256
	global_load_b64 v[20:21], v[29:30], off offset:256
	;; [unrolled: 1-line block ×4, first 2 shown]
	v_dual_mov_b32 v1, v3 :: v_dual_mov_b32 v2, v4
	s_waitcnt vmcnt(3)
	ds_store_b64 v33, v[5:6]
	s_waitcnt vmcnt(2)
	ds_store_b64 v33, v[20:21] offset:2112
	s_waitcnt vmcnt(1)
	ds_store_b64 v33, v[29:30] offset:4224
	;; [unrolled: 2-line block ×3, first 2 shown]
.LBB114_60:
	s_waitcnt lgkmcnt(0)
	s_barrier
	buffer_gl0_inv
	s_and_saveexec_b32 s6, s2
	s_cbranch_execnz .LBB114_85
; %bb.61:
	s_or_b32 exec_lo, exec_lo, s6
	s_and_saveexec_b32 s2, s3
	s_cbranch_execnz .LBB114_86
.LBB114_62:
	s_or_b32 exec_lo, exec_lo, s2
	s_and_saveexec_b32 s2, s4
	s_cbranch_execnz .LBB114_87
.LBB114_63:
	s_or_b32 exec_lo, exec_lo, s2
	v_add_nc_u32_e32 v29, 0x2380, v17
	s_and_saveexec_b32 s2, s5
	s_cbranch_execz .LBB114_65
.LBB114_64:
	ds_load_b64 v[3:4], v18
	s_waitcnt lgkmcnt(0)
	ds_store_b64 v16, v[3:4] offset:24
.LBB114_65:
	s_or_b32 exec_lo, exec_lo, s2
	s_waitcnt lgkmcnt(0)
	s_barrier
	buffer_gl0_inv
	ds_load_b64 v[16:17], v11
	ds_load_b128 v[3:6], v29 offset:256
	ds_load_2addr_b64 v[30:33], v19 offset1:33
	ds_load_b128 v[34:37], v29 offset:272
	ds_load_b64 v[20:21], v18
	v_cmp_eq_u32_e64 s2, 1, v7
	s_waitcnt lgkmcnt(0)
	s_barrier
	buffer_gl0_inv
	v_dual_mul_f32 v38, v4, v17 :: v_dual_mul_f32 v39, v6, v31
	v_mul_f32_e32 v17, v3, v17
	v_dual_mul_f32 v31, v5, v31 :: v_dual_mul_f32 v40, v35, v33
	s_delay_alu instid0(VALU_DEP_3) | instskip(NEXT) | instid1(VALU_DEP_4)
	v_fma_f32 v3, v3, v16, -v38
	v_fma_f32 v5, v5, v30, -v39
	s_delay_alu instid0(VALU_DEP_4) | instskip(NEXT) | instid1(VALU_DEP_3)
	v_dual_fmac_f32 v17, v4, v16 :: v_dual_mul_f32 v4, v37, v21
	v_dual_mul_f32 v16, v36, v21 :: v_dual_add_f32 v3, 0, v3
	s_delay_alu instid0(VALU_DEP_2) | instskip(SKIP_1) | instid1(VALU_DEP_3)
	v_dual_fmac_f32 v31, v6, v30 :: v_dual_add_f32 v6, 0, v17
	v_fma_f32 v17, v34, v32, -v40
	v_dual_fmac_f32 v16, v37, v20 :: v_dual_mul_f32 v33, v34, v33
	s_delay_alu instid0(VALU_DEP_4) | instskip(NEXT) | instid1(VALU_DEP_4)
	v_add_f32_e32 v3, v3, v5
	v_add_f32_e32 v5, v6, v31
	v_fma_f32 v4, v36, v20, -v4
	s_delay_alu instid0(VALU_DEP_4) | instskip(NEXT) | instid1(VALU_DEP_4)
	v_fmac_f32_e32 v33, v35, v32
	v_add_f32_e32 v3, v3, v17
	s_delay_alu instid0(VALU_DEP_2) | instskip(NEXT) | instid1(VALU_DEP_2)
	v_add_f32_e32 v5, v5, v33
	v_add_f32_e32 v3, v3, v4
	s_delay_alu instid0(VALU_DEP_2)
	v_add_f32_e32 v4, v5, v16
	ds_store_b64 v28, v[3:4]
	s_waitcnt lgkmcnt(0)
	s_barrier
	buffer_gl0_inv
	s_and_saveexec_b32 s3, s2
	s_cbranch_execz .LBB114_67
; %bb.66:
	ds_load_2addr_b64 v[3:6], v23 offset1:7
	ds_load_2addr_b64 v[30:33], v23 offset0:1 offset1:2
	ds_load_2addr_b64 v[34:37], v23 offset0:3 offset1:4
	;; [unrolled: 1-line block ×3, first 2 shown]
	s_waitcnt lgkmcnt(2)
	v_dual_add_f32 v3, v30, v3 :: v_dual_add_f32 v4, v31, v4
	s_delay_alu instid0(VALU_DEP_1) | instskip(SKIP_1) | instid1(VALU_DEP_1)
	v_dual_add_f32 v3, v3, v32 :: v_dual_add_f32 v4, v4, v33
	s_waitcnt lgkmcnt(1)
	v_dual_add_f32 v3, v3, v34 :: v_dual_add_f32 v4, v4, v35
	s_delay_alu instid0(VALU_DEP_1) | instskip(SKIP_1) | instid1(VALU_DEP_1)
	v_dual_add_f32 v3, v3, v36 :: v_dual_add_f32 v4, v4, v37
	s_waitcnt lgkmcnt(0)
	v_dual_add_f32 v3, v3, v38 :: v_dual_add_f32 v4, v4, v39
	s_delay_alu instid0(VALU_DEP_1) | instskip(NEXT) | instid1(VALU_DEP_1)
	v_dual_add_f32 v3, v3, v40 :: v_dual_add_f32 v4, v4, v41
	v_dual_add_f32 v26, v3, v5 :: v_dual_add_f32 v27, v4, v6
.LBB114_67:
	s_or_b32 exec_lo, exec_lo, s3
	v_add_co_u32 v3, vcc_lo, 0xffffff00, v1
	v_add_co_ci_u32_e32 v4, vcc_lo, -1, v2, vcc_lo
	s_and_b32 vcc_lo, exec_lo, s20
	s_barrier
	buffer_gl0_inv
	s_cbranch_vccz .LBB114_88
; %bb.68:
	v_sub_co_u32 v5, vcc_lo, v1, v9
	s_ashr_i32 s9, s8, 31
	v_subrev_co_ci_u32_e32 v6, vcc_lo, 0, v2, vcc_lo
	s_lshl_b64 s[4:5], s[8:9], 3
	s_sub_i32 s6, s8, 32
	v_add_co_u32 v5, vcc_lo, v5, s4
	s_delay_alu instid0(VALU_DEP_2) | instskip(SKIP_1) | instid1(VALU_DEP_3)
	v_add_co_ci_u32_e32 v6, vcc_lo, s5, v6, vcc_lo
	v_cmp_le_i32_e64 s3, s6, v7
	v_add_co_u32 v5, vcc_lo, 0xfffffef8, v5
	s_delay_alu instid0(VALU_DEP_3) | instskip(SKIP_2) | instid1(VALU_DEP_3)
	v_add_co_ci_u32_e32 v6, vcc_lo, -1, v6, vcc_lo
	v_cmp_gt_i32_e32 vcc_lo, s8, v0
	v_add_lshl_u32 v16, v8, v0, 3
	v_dual_cndmask_b32 v6, v6, v4 :: v_dual_cndmask_b32 v5, v5, v3
	s_and_saveexec_b32 s9, s3
	s_delay_alu instid0(SALU_CYCLE_1)
	s_xor_b32 s3, exec_lo, s9
	s_cbranch_execz .LBB114_70
; %bb.69:
	v_mov_b32_e32 v20, 0
	s_delay_alu instid0(VALU_DEP_1)
	v_mov_b32_e32 v21, v20
	ds_store_b64 v16, v[20:21]
.LBB114_70:
	s_and_not1_saveexec_b32 s3, s3
	s_cbranch_execz .LBB114_72
; %bb.71:
	global_load_b64 v[20:21], v[5:6], off
	s_waitcnt vmcnt(0)
	ds_store_b64 v16, v[20:21]
.LBB114_72:
	s_or_b32 exec_lo, exec_lo, s3
	v_add_nc_u32_e32 v20, 8, v7
	s_delay_alu instid0(VALU_DEP_1) | instskip(NEXT) | instid1(VALU_DEP_1)
	v_cmp_le_i32_e64 s3, s6, v20
	s_and_saveexec_b32 s9, s3
	s_delay_alu instid0(SALU_CYCLE_1)
	s_xor_b32 s3, exec_lo, s9
	s_cbranch_execz .LBB114_74
; %bb.73:
	v_mul_u32_u24_e32 v17, 33, v20
	v_mov_b32_e32 v30, 0
	s_delay_alu instid0(VALU_DEP_2) | instskip(NEXT) | instid1(VALU_DEP_2)
	v_add_lshl_u32 v17, v17, v0, 3
	v_mov_b32_e32 v31, v30
	ds_store_b64 v17, v[30:31]
.LBB114_74:
	s_and_not1_saveexec_b32 s9, s3
	s_cbranch_execz .LBB114_76
; %bb.75:
	s_lshl_b64 s[16:17], s[24:25], 6
	s_delay_alu instid0(SALU_CYCLE_1) | instskip(NEXT) | instid1(VALU_DEP_1)
	v_add_co_u32 v30, s3, v5, s16
	v_add_co_ci_u32_e64 v31, s3, s17, v6, s3
	global_load_b64 v[30:31], v[30:31], off
	s_waitcnt vmcnt(0)
	ds_store_b64 v16, v[30:31] offset:2112
.LBB114_76:
	s_or_b32 exec_lo, exec_lo, s9
	v_add_nc_u32_e32 v21, 16, v7
	s_delay_alu instid0(VALU_DEP_1) | instskip(NEXT) | instid1(VALU_DEP_1)
	v_cmp_le_i32_e64 s3, s6, v21
	s_and_saveexec_b32 s9, s3
	s_delay_alu instid0(SALU_CYCLE_1)
	s_xor_b32 s3, exec_lo, s9
	s_cbranch_execz .LBB114_78
; %bb.77:
	v_mov_b32_e32 v30, 0
	s_delay_alu instid0(VALU_DEP_1)
	v_mov_b32_e32 v31, v30
	ds_store_b64 v16, v[30:31] offset:4224
.LBB114_78:
	s_and_not1_saveexec_b32 s9, s3
	s_cbranch_execz .LBB114_80
; %bb.79:
	s_lshl_b64 s[16:17], s[24:25], 7
	s_delay_alu instid0(SALU_CYCLE_1) | instskip(NEXT) | instid1(VALU_DEP_1)
	v_add_co_u32 v30, s3, v5, s16
	v_add_co_ci_u32_e64 v31, s3, s17, v6, s3
	global_load_b64 v[30:31], v[30:31], off
	s_waitcnt vmcnt(0)
	ds_store_b64 v16, v[30:31] offset:4224
.LBB114_80:
	s_or_b32 exec_lo, exec_lo, s9
	v_add_nc_u32_e32 v30, 24, v7
	s_delay_alu instid0(VALU_DEP_1) | instskip(NEXT) | instid1(VALU_DEP_1)
	v_cmp_le_i32_e64 s3, s6, v30
	s_and_saveexec_b32 s6, s3
	s_delay_alu instid0(SALU_CYCLE_1)
	s_xor_b32 s3, exec_lo, s6
	s_cbranch_execz .LBB114_82
; %bb.81:
	v_mov_b32_e32 v31, 0
	s_delay_alu instid0(VALU_DEP_1)
	v_mov_b32_e32 v32, v31
	ds_store_b64 v16, v[31:32] offset:6336
                                        ; implicit-def: $vgpr16
.LBB114_82:
	s_and_not1_saveexec_b32 s3, s3
	s_cbranch_execz .LBB114_84
; %bb.83:
	v_mad_u64_u32 v[31:32], null, 0xc0, s24, v[5:6]
	s_delay_alu instid0(VALU_DEP_1) | instskip(NEXT) | instid1(VALU_DEP_1)
	v_mov_b32_e32 v17, v32
	v_mad_u64_u32 v[32:33], null, 0xc0, s25, v[17:18]
	global_load_b64 v[31:32], v[31:32], off
	s_waitcnt vmcnt(0)
	ds_store_b64 v16, v[31:32] offset:6336
.LBB114_84:
	s_or_b32 exec_lo, exec_lo, s3
	v_add_co_u32 v5, s3, v5, v9
	s_delay_alu instid0(VALU_DEP_1) | instskip(NEXT) | instid1(VALU_DEP_2)
	v_add_co_ci_u32_e64 v6, s3, 0, v6, s3
	v_sub_co_u32 v5, s3, v5, s4
	s_delay_alu instid0(VALU_DEP_1) | instskip(NEXT) | instid1(VALU_DEP_2)
	v_subrev_co_ci_u32_e64 v6, s3, s5, v6, s3
	v_add_co_u32 v5, s3, v5, 8
	s_delay_alu instid0(VALU_DEP_1) | instskip(NEXT) | instid1(VALU_DEP_1)
	v_add_co_ci_u32_e64 v6, s3, 0, v6, s3
	v_dual_cndmask_b32 v16, v5, v3 :: v_dual_cndmask_b32 v17, v6, v4
	s_branch .LBB114_90
.LBB114_85:
	ds_load_b64 v[3:4], v11
	s_waitcnt lgkmcnt(0)
	ds_store_b64 v16, v[3:4]
	s_or_b32 exec_lo, exec_lo, s6
	s_and_saveexec_b32 s2, s3
	s_cbranch_execz .LBB114_62
.LBB114_86:
	ds_load_b64 v[3:4], v19
	s_waitcnt lgkmcnt(0)
	ds_store_b64 v16, v[3:4] offset:8
	s_or_b32 exec_lo, exec_lo, s2
	s_and_saveexec_b32 s2, s4
	s_cbranch_execz .LBB114_63
.LBB114_87:
	ds_load_b64 v[3:4], v19 offset:264
	s_waitcnt lgkmcnt(0)
	ds_store_b64 v16, v[3:4] offset:16
	s_or_b32 exec_lo, exec_lo, s2
	v_add_nc_u32_e32 v29, 0x2380, v17
	s_and_saveexec_b32 s2, s5
	s_cbranch_execnz .LBB114_64
	s_branch .LBB114_65
.LBB114_88:
                                        ; implicit-def: $vgpr16_vgpr17
                                        ; implicit-def: $vgpr20
                                        ; implicit-def: $vgpr21
                                        ; implicit-def: $vgpr30
	s_cbranch_execz .LBB114_90
; %bb.89:
	v_mad_u64_u32 v[5:6], null, 0xc0, s24, v[1:2]
	s_lshl_b64 s[4:5], s[24:25], 6
	v_add_lshl_u32 v0, v8, v0, 3
	v_add_co_u32 v20, vcc_lo, v1, s4
	v_add_co_ci_u32_e32 v21, vcc_lo, s5, v2, vcc_lo
	s_delay_alu instid0(VALU_DEP_4) | instskip(NEXT) | instid1(VALU_DEP_3)
	v_mad_u64_u32 v[16:17], null, 0xc0, s25, v[6:7]
	v_add_co_u32 v30, vcc_lo, v20, s4
	s_delay_alu instid0(VALU_DEP_3) | instskip(NEXT) | instid1(VALU_DEP_3)
	v_add_co_ci_u32_e32 v31, vcc_lo, s5, v21, vcc_lo
	v_mov_b32_e32 v6, v16
	s_clause 0x3
	global_load_b64 v[1:2], v[1:2], off offset:-256
	global_load_b64 v[32:33], v[20:21], off offset:-256
	;; [unrolled: 1-line block ×4, first 2 shown]
	v_add_nc_u32_e32 v21, 16, v7
	v_dual_mov_b32 v17, v4 :: v_dual_add_nc_u32 v20, 8, v7
	v_add_nc_u32_e32 v30, 24, v7
	v_mov_b32_e32 v16, v3
	s_waitcnt vmcnt(3)
	ds_store_b64 v0, v[1:2]
	s_waitcnt vmcnt(2)
	ds_store_b64 v0, v[32:33] offset:2112
	s_waitcnt vmcnt(1)
	ds_store_b64 v0, v[34:35] offset:4224
	;; [unrolled: 2-line block ×3, first 2 shown]
.LBB114_90:
	s_waitcnt lgkmcnt(0)
	s_barrier
	buffer_gl0_inv
	ds_load_b64 v[31:32], v28
	v_lshlrev_b32_e32 v0, 3, v7
	v_add_lshl_u32 v1, v20, v10, 3
	v_lshlrev_b32_e32 v2, 3, v20
	v_add_lshl_u32 v3, v21, v10, 3
	;; [unrolled: 2-line block ×3, first 2 shown]
	v_lshlrev_b32_e32 v6, 3, v30
	ds_load_b64 v[33:34], v0 offset:9088
	ds_load_b64 v[35:36], v1
	ds_load_b64 v[37:38], v2 offset:9088
	ds_load_b64 v[39:40], v3
	;; [unrolled: 2-line block ×4, first 2 shown]
	ds_load_b128 v[8:11], v29 offset:256
	ds_load_b128 v[0:3], v29 offset:272
	ds_load_2addr_b64 v[4:7], v19 offset1:33
	ds_load_b64 v[18:19], v18
	s_waitcnt lgkmcnt(0)
	s_barrier
	buffer_gl0_inv
	v_mul_f32_e32 v29, v34, v32
	v_mul_f32_e32 v32, v33, v32
	v_mul_f32_e32 v47, v42, v40
	s_delay_alu instid0(VALU_DEP_3) | instskip(NEXT) | instid1(VALU_DEP_3)
	v_fma_f32 v29, v33, v31, -v29
	v_dual_fmac_f32 v32, v34, v31 :: v_dual_mul_f32 v33, v45, v44
	s_delay_alu instid0(VALU_DEP_3) | instskip(NEXT) | instid1(VALU_DEP_3)
	v_fma_f32 v34, v41, v39, -v47
	v_dual_mul_f32 v30, v38, v36 :: v_dual_add_f32 v29, 0, v29
	s_delay_alu instid0(VALU_DEP_3) | instskip(SKIP_1) | instid1(VALU_DEP_3)
	v_dual_mul_f32 v36, v37, v36 :: v_dual_fmac_f32 v33, v46, v43
	v_mul_f32_e32 v31, v41, v40
	v_fma_f32 v30, v37, v35, -v30
	v_mul_f32_e32 v48, v46, v44
	s_delay_alu instid0(VALU_DEP_3) | instskip(NEXT) | instid1(VALU_DEP_3)
	v_dual_add_f32 v32, 0, v32 :: v_dual_fmac_f32 v31, v42, v39
	v_add_f32_e32 v29, v29, v30
	s_delay_alu instid0(VALU_DEP_1) | instskip(NEXT) | instid1(VALU_DEP_1)
	v_dual_add_f32 v29, v29, v34 :: v_dual_fmac_f32 v36, v38, v35
	v_add_f32_e32 v30, v32, v36
	v_fma_f32 v32, v45, v43, -v48
	s_delay_alu instid0(VALU_DEP_1) | instskip(NEXT) | instid1(VALU_DEP_1)
	v_dual_add_f32 v30, v30, v31 :: v_dual_add_f32 v29, v29, v32
	v_add_f32_e32 v30, v30, v33
	ds_store_b64 v28, v[29:30]
	s_waitcnt lgkmcnt(0)
	s_barrier
	buffer_gl0_inv
	s_and_saveexec_b32 s3, s2
	s_cbranch_execz .LBB114_92
; %bb.91:
	ds_load_2addr_b64 v[29:32], v23 offset1:1
	ds_load_2addr_b64 v[33:36], v23 offset0:2 offset1:3
	ds_load_2addr_b64 v[37:40], v23 offset0:4 offset1:5
	s_waitcnt lgkmcnt(2)
	v_dual_add_f32 v26, v26, v29 :: v_dual_add_f32 v27, v27, v30
	s_delay_alu instid0(VALU_DEP_1) | instskip(SKIP_3) | instid1(VALU_DEP_1)
	v_dual_add_f32 v26, v26, v31 :: v_dual_add_f32 v27, v27, v32
	ds_load_2addr_b64 v[29:32], v23 offset0:6 offset1:7
	s_waitcnt lgkmcnt(2)
	v_dual_add_f32 v26, v26, v33 :: v_dual_add_f32 v27, v27, v34
	v_dual_add_f32 v26, v26, v35 :: v_dual_add_f32 v27, v27, v36
	s_waitcnt lgkmcnt(1)
	s_delay_alu instid0(VALU_DEP_1) | instskip(NEXT) | instid1(VALU_DEP_1)
	v_dual_add_f32 v26, v26, v37 :: v_dual_add_f32 v27, v27, v38
	v_dual_add_f32 v26, v26, v39 :: v_dual_add_f32 v27, v27, v40
	s_waitcnt lgkmcnt(0)
	s_delay_alu instid0(VALU_DEP_1) | instskip(NEXT) | instid1(VALU_DEP_1)
	v_dual_add_f32 v26, v26, v29 :: v_dual_add_f32 v27, v27, v30
	v_dual_add_f32 v26, v26, v31 :: v_dual_add_f32 v27, v27, v32
.LBB114_92:
	s_or_b32 exec_lo, exec_lo, s3
	v_mul_f32_e32 v29, v9, v21
	v_mul_f32_e32 v21, v8, v21
	v_dual_mul_f32 v30, v11, v5 :: v_dual_mul_f32 v31, v1, v7
	s_delay_alu instid0(VALU_DEP_3) | instskip(NEXT) | instid1(VALU_DEP_3)
	v_fma_f32 v8, v8, v20, -v29
	v_fmac_f32_e32 v21, v9, v20
	v_mul_f32_e32 v7, v0, v7
	s_delay_alu instid0(VALU_DEP_4)
	v_fma_f32 v0, v0, v6, -v31
	s_barrier
	v_dual_add_f32 v8, 0, v8 :: v_dual_mul_f32 v5, v10, v5
	v_fma_f32 v10, v10, v4, -v30
	buffer_gl0_inv
	v_dual_add_f32 v8, v8, v10 :: v_dual_mul_f32 v9, v3, v19
	v_fmac_f32_e32 v5, v11, v4
	s_delay_alu instid0(VALU_DEP_2) | instskip(NEXT) | instid1(VALU_DEP_3)
	v_dual_mul_f32 v11, v2, v19 :: v_dual_add_f32 v0, v8, v0
	v_fma_f32 v2, v2, v18, -v9
	s_delay_alu instid0(VALU_DEP_2) | instskip(NEXT) | instid1(VALU_DEP_2)
	v_fmac_f32_e32 v11, v3, v18
	v_add_f32_e32 v0, v0, v2
	v_dual_add_f32 v4, 0, v21 :: v_dual_fmac_f32 v7, v1, v6
	s_delay_alu instid0(VALU_DEP_1) | instskip(NEXT) | instid1(VALU_DEP_1)
	v_add_f32_e32 v1, v4, v5
	v_add_f32_e32 v1, v1, v7
	s_delay_alu instid0(VALU_DEP_1)
	v_add_f32_e32 v1, v1, v11
	ds_store_b64 v28, v[0:1]
	s_waitcnt lgkmcnt(0)
	s_barrier
	buffer_gl0_inv
	s_and_saveexec_b32 s2, s1
	s_cbranch_execz .LBB114_94
; %bb.93:
	ds_load_2addr_b64 v[0:3], v23 offset1:1
	ds_load_2addr_b64 v[4:7], v23 offset0:2 offset1:3
	ds_load_2addr_b64 v[8:11], v23 offset0:4 offset1:5
	s_waitcnt lgkmcnt(2)
	v_dual_add_f32 v0, v26, v0 :: v_dual_add_f32 v1, v27, v1
	s_delay_alu instid0(VALU_DEP_1) | instskip(SKIP_3) | instid1(VALU_DEP_1)
	v_dual_add_f32 v18, v0, v2 :: v_dual_add_f32 v19, v1, v3
	ds_load_2addr_b64 v[0:3], v23 offset0:6 offset1:7
	s_waitcnt lgkmcnt(2)
	v_dual_add_f32 v4, v18, v4 :: v_dual_add_f32 v5, v19, v5
	v_dual_add_f32 v4, v4, v6 :: v_dual_add_f32 v5, v5, v7
	s_waitcnt lgkmcnt(1)
	s_delay_alu instid0(VALU_DEP_1) | instskip(NEXT) | instid1(VALU_DEP_1)
	v_dual_add_f32 v4, v4, v8 :: v_dual_add_f32 v5, v5, v9
	v_dual_add_f32 v4, v4, v10 :: v_dual_add_f32 v5, v5, v11
	s_waitcnt lgkmcnt(0)
	s_delay_alu instid0(VALU_DEP_1) | instskip(NEXT) | instid1(VALU_DEP_1)
	v_dual_add_f32 v0, v4, v0 :: v_dual_add_f32 v1, v5, v1
	v_dual_add_f32 v26, v0, v2 :: v_dual_add_f32 v27, v1, v3
.LBB114_94:
	s_or_b32 exec_lo, exec_lo, s2
	s_mul_hi_u32 s1, s33, s15
	s_mul_i32 s28, s28, s15
	s_mul_i32 s2, s33, s15
	s_add_i32 s1, s1, s28
	s_mul_hi_u32 s3, s2, s7
	s_mul_i32 s1, s1, s7
	s_mul_i32 s2, s2, s7
	s_add_i32 s3, s3, s1
	s_mul_hi_i32 s5, s33, s14
	s_lshl_b64 s[2:3], s[2:3], 3
	s_mul_i32 s4, s33, s14
	s_add_u32 s1, s12, s2
	s_addc_u32 s9, s13, s3
	s_lshl_b64 s[2:3], s[4:5], 3
	v_lshlrev_b32_e32 v95, 3, v93
	s_add_u32 s6, s1, s2
	s_addc_u32 s9, s9, s3
	s_add_i32 s1, s14, 1
	s_delay_alu instid0(SALU_CYCLE_1)
	s_cmp_ge_u32 s1, s7
	s_barrier
	buffer_gl0_inv
	s_cbranch_scc1 .LBB114_152
; %bb.95:
	v_and_b32_e32 v6, 48, v93
	v_lshrrev_b32_e32 v8, 4, v22
	v_lshlrev_b32_e32 v9, 5, v94
	v_dual_mov_b32 v28, 0 :: v_dual_and_b32 v7, 15, v93
	s_delay_alu instid0(VALU_DEP_4)
	v_lshlrev_b32_e32 v0, 3, v6
	v_or_b32_e32 v1, 0x78, v95
	v_lshlrev_b32_e32 v2, 5, v8
	v_add_nc_u32_e32 v10, 0x100, v9
	v_add_nc_u32_e32 v11, 0x110, v9
	v_mad_u32_u24 v101, 0x218, v7, v0
	v_mad_u32_u24 v102, 0x218, v7, v1
	;; [unrolled: 1-line block ×3, first 2 shown]
	v_mad_u64_u32 v[0:1], null, s24, v10, 0
	v_mad_u64_u32 v[2:3], null, s24, v11, 0
	s_mul_i32 s1, s10, s37
	s_mul_hi_u32 s2, s10, s36
	s_mul_i32 s3, s11, s36
	s_add_i32 s1, s2, s1
	v_lshlrev_b32_e32 v96, 2, v94
	s_add_i32 s3, s1, s3
	s_delay_alu instid0(VALU_DEP_2)
	v_mad_u64_u32 v[4:5], null, s25, v10, v[1:2]
	v_mov_b32_e32 v1, v3
	v_mul_i32_i24_e32 v10, 0xffffffe8, v8
	v_add_nc_u32_e32 v8, 0x108, v9
	s_mul_i32 s2, s10, s36
	v_or_b32_e32 v121, v6, v7
	s_lshl_b64 s[2:3], s[2:3], 3
	v_mov_b32_e32 v7, v4
	v_mad_u64_u32 v[5:6], null, s24, v8, 0
	v_sub_co_u32 v97, vcc_lo, v14, s2
	v_mad_u64_u32 v[3:4], null, s25, v11, v[1:2]
	v_subrev_co_ci_u32_e32 v98, vcc_lo, s3, v15, vcc_lo
	v_sub_co_u32 v1, vcc_lo, v0, v12
	v_dual_mov_b32 v0, v6 :: v_dual_add_nc_u32 v99, 0x2180, v95
	v_sub_co_ci_u32_e32 v4, vcc_lo, v7, v13, vcc_lo
	s_delay_alu instid0(VALU_DEP_3) | instskip(SKIP_1) | instid1(VALU_DEP_3)
	v_add_co_u32 v122, vcc_lo, v16, v1
	v_mov_b32_e32 v7, v3
	v_add_co_ci_u32_e32 v123, vcc_lo, v17, v4, vcc_lo
	v_mad_u64_u32 v[3:4], null, s25, v8, v[0:1]
	v_sub_co_u32 v2, vcc_lo, v2, v12
	s_delay_alu instid0(VALU_DEP_4) | instskip(SKIP_1) | instid1(VALU_DEP_3)
	v_sub_co_ci_u32_e32 v4, vcc_lo, v7, v13, vcc_lo
	v_cmp_gt_u32_e64 s1, 64, v22
	v_add_co_u32 v124, vcc_lo, v16, v2
	s_delay_alu instid0(VALU_DEP_3)
	v_add_co_ci_u32_e32 v125, vcc_lo, v17, v4, vcc_lo
	v_mov_b32_e32 v4, v3
	v_add_nc_u32_e32 v6, 0x118, v9
	v_add_nc_u32_e32 v11, 0x180, v9
	;; [unrolled: 1-line block ×3, first 2 shown]
	v_sub_co_u32 v7, vcc_lo, v5, v12
	s_delay_alu instid0(VALU_DEP_4) | instskip(NEXT) | instid1(VALU_DEP_4)
	v_mad_u64_u32 v[0:1], null, s24, v6, 0
	v_mad_u64_u32 v[2:3], null, s24, v11, 0
	v_sub_co_ci_u32_e32 v8, vcc_lo, v4, v13, vcc_lo
	v_add_nc_u32_e32 v100, 0x2380, v95
	v_add_co_u32 v126, vcc_lo, v16, v7
	s_delay_alu instid0(VALU_DEP_3)
	v_add_co_ci_u32_e32 v127, vcc_lo, v17, v8, vcc_lo
	v_mad_u64_u32 v[4:5], null, s25, v6, v[1:2]
	v_mov_b32_e32 v1, v3
	v_mad_u64_u32 v[5:6], null, s24, v14, 0
	v_add_nc_u32_e32 v110, 17, v96
	v_add_nc_u32_e32 v15, 0x280, v9
	s_delay_alu instid0(VALU_DEP_4) | instskip(SKIP_4) | instid1(VALU_DEP_4)
	v_mad_u64_u32 v[7:8], null, s25, v11, v[1:2]
	v_mov_b32_e32 v3, v4
	v_add_nc_u32_e32 v11, 0x190, v9
	v_mov_b32_e32 v1, v6
	v_sub_co_u32 v6, vcc_lo, v0, v12
	v_sub_co_ci_u32_e32 v8, vcc_lo, v3, v13, vcc_lo
	s_delay_alu instid0(VALU_DEP_3) | instskip(SKIP_1) | instid1(VALU_DEP_4)
	v_mad_u64_u32 v[3:4], null, s25, v14, v[1:2]
	v_mad_u64_u32 v[0:1], null, s24, v11, 0
	v_add_co_u32 v128, vcc_lo, v16, v6
	s_delay_alu instid0(VALU_DEP_4)
	v_add_co_ci_u32_e32 v129, vcc_lo, v17, v8, vcc_lo
	v_add_nc_u32_e32 v107, 0x2180, v9
	v_sub_co_u32 v6, vcc_lo, v2, v12
	v_mov_b32_e32 v2, v3
	v_add_nc_u32_e32 v8, 0x198, v9
	v_sub_co_ci_u32_e32 v7, vcc_lo, v7, v13, vcc_lo
	v_sub_co_u32 v5, vcc_lo, v5, v12
	s_delay_alu instid0(VALU_DEP_4)
	v_sub_co_ci_u32_e32 v14, vcc_lo, v2, v13, vcc_lo
	v_mad_u64_u32 v[2:3], null, s25, v11, v[1:2]
	v_mad_u64_u32 v[3:4], null, s24, v8, 0
	v_add_co_u32 v130, vcc_lo, v16, v6
	v_add_co_ci_u32_e32 v131, vcc_lo, v17, v7, vcc_lo
	v_add_co_u32 v132, vcc_lo, v16, v5
	v_add_co_ci_u32_e32 v133, vcc_lo, v17, v14, vcc_lo
	v_sub_co_u32 v0, vcc_lo, v0, v12
	v_mov_b32_e32 v1, v4
	v_sub_co_ci_u32_e32 v2, vcc_lo, v2, v13, vcc_lo
	v_add_nc_u32_e32 v11, 0x200, v9
	s_delay_alu instid0(VALU_DEP_4) | instskip(NEXT) | instid1(VALU_DEP_3)
	v_add_co_u32 v134, vcc_lo, v16, v0
	v_mad_u64_u32 v[6:7], null, s25, v8, v[1:2]
	s_delay_alu instid0(VALU_DEP_3) | instskip(SKIP_4) | instid1(VALU_DEP_4)
	v_mad_u64_u32 v[4:5], null, s24, v11, 0
	v_add_nc_u32_e32 v7, 0x208, v9
	v_add_co_ci_u32_e32 v135, vcc_lo, v17, v2, vcc_lo
	v_add_nc_u32_e32 v109, 16, v96
	v_dual_mov_b32 v8, v6 :: v_dual_add_nc_u32 v111, 18, v96
	v_mad_u64_u32 v[1:2], null, s24, v7, 0
	v_mov_b32_e32 v0, v5
	v_sub_co_u32 v3, vcc_lo, v3, v12
	v_add_nc_u32_e32 v113, 32, v96
	v_or_b32_e32 v104, 1, v96
	v_or_b32_e32 v105, 2, v96
	v_mad_u64_u32 v[5:6], null, s25, v11, v[0:1]
	v_mov_b32_e32 v0, v2
	v_sub_co_ci_u32_e32 v6, vcc_lo, v8, v13, vcc_lo
	v_add_nc_u32_e32 v112, 19, v96
	v_add_co_u32 v136, vcc_lo, v16, v3
	v_dual_mov_b32 v11, v5 :: v_dual_add_nc_u32 v8, 0x210, v9
	s_delay_alu instid0(VALU_DEP_4) | instskip(SKIP_2) | instid1(VALU_DEP_4)
	v_add_co_ci_u32_e32 v137, vcc_lo, v17, v6, vcc_lo
	v_mad_u64_u32 v[2:3], null, s25, v7, v[0:1]
	v_sub_co_u32 v0, vcc_lo, v4, v12
	v_mad_u64_u32 v[5:6], null, s24, v8, 0
	v_sub_co_ci_u32_e32 v3, vcc_lo, v11, v13, vcc_lo
	v_add_nc_u32_e32 v11, 0x218, v9
	s_delay_alu instid0(VALU_DEP_4) | instskip(SKIP_1) | instid1(VALU_DEP_4)
	v_add_co_u32 v138, vcc_lo, v16, v0
	v_dual_mov_b32 v4, v2 :: v_dual_add_nc_u32 v115, 34, v96
	v_add_co_ci_u32_e32 v139, vcc_lo, v17, v3, vcc_lo
	s_delay_alu instid0(VALU_DEP_4) | instskip(SKIP_4) | instid1(VALU_DEP_3)
	v_mad_u64_u32 v[2:3], null, s24, v11, 0
	v_dual_mov_b32 v0, v6 :: v_dual_add_nc_u32 v117, 48, v96
	v_sub_co_u32 v1, vcc_lo, v1, v12
	v_sub_co_ci_u32_e32 v14, vcc_lo, v4, v13, vcc_lo
	v_or_b32_e32 v106, 3, v96
	v_mad_u64_u32 v[6:7], null, s25, v8, v[0:1]
	v_mov_b32_e32 v0, v3
	v_mad_u64_u32 v[3:4], null, s24, v15, 0
	v_add_nc_u32_e32 v114, 33, v96
	v_add_nc_u32_e32 v119, 50, v96
	v_add_co_u32 v140, vcc_lo, v16, v1
	v_mad_u64_u32 v[7:8], null, s25, v11, v[0:1]
	v_dual_mov_b32 v0, v4 :: v_dual_mov_b32 v1, v6
	v_add_nc_u32_e32 v11, 0x288, v9
	v_add_co_ci_u32_e32 v141, vcc_lo, v17, v14, vcc_lo
	v_sub_co_u32 v6, vcc_lo, v5, v12
	s_delay_alu instid0(VALU_DEP_4) | instskip(SKIP_2) | instid1(VALU_DEP_4)
	v_sub_co_ci_u32_e32 v8, vcc_lo, v1, v13, vcc_lo
	v_mad_u64_u32 v[4:5], null, s25, v15, v[0:1]
	v_mad_u64_u32 v[0:1], null, s24, v11, 0
	v_add_co_u32 v142, vcc_lo, v16, v6
	v_add_nc_u32_e32 v15, 0x290, v9
	v_add_nc_u32_e32 v9, 0x298, v9
	v_add_co_ci_u32_e32 v143, vcc_lo, v17, v8, vcc_lo
	v_sub_co_u32 v8, vcc_lo, v2, v12
	v_mov_b32_e32 v14, v4
	v_mad_u64_u32 v[4:5], null, s25, v11, v[1:2]
	v_sub_co_ci_u32_e32 v7, vcc_lo, v7, v13, vcc_lo
	v_mad_u64_u32 v[5:6], null, s24, v9, 0
	v_add_co_u32 v144, vcc_lo, v16, v8
	v_mad_u64_u32 v[1:2], null, s24, v15, 0
	s_delay_alu instid0(VALU_DEP_4)
	v_add_co_ci_u32_e32 v145, vcc_lo, v17, v7, vcc_lo
	v_sub_co_u32 v11, vcc_lo, v3, v12
	v_dual_mov_b32 v3, v6 :: v_dual_add_nc_u32 v116, 35, v96
	v_sub_co_ci_u32_e32 v14, vcc_lo, v14, v13, vcc_lo
	v_sub_co_u32 v0, vcc_lo, v0, v12
	v_sub_co_ci_u32_e32 v4, vcc_lo, v4, v13, vcc_lo
	s_delay_alu instid0(VALU_DEP_4) | instskip(SKIP_1) | instid1(VALU_DEP_3)
	v_mad_u64_u32 v[6:7], null, s25, v15, v[2:3]
	v_add_co_u32 v146, vcc_lo, v16, v11
	v_mad_u64_u32 v[7:8], null, s25, v9, v[3:4]
	v_add_co_ci_u32_e32 v147, vcc_lo, v17, v14, vcc_lo
	v_add_co_u32 v148, vcc_lo, v16, v0
	v_mov_b32_e32 v0, v6
	v_add_co_ci_u32_e32 v149, vcc_lo, v17, v4, vcc_lo
	v_mov_b32_e32 v2, v7
	v_sub_co_u32 v1, vcc_lo, v1, v12
	s_delay_alu instid0(VALU_DEP_4) | instskip(SKIP_1) | instid1(VALU_DEP_4)
	v_sub_co_ci_u32_e32 v0, vcc_lo, v0, v13, vcc_lo
	v_sub_co_u32 v3, vcc_lo, v5, v12
	v_sub_co_ci_u32_e32 v2, vcc_lo, v2, v13, vcc_lo
	s_delay_alu instid0(VALU_DEP_4) | instskip(NEXT) | instid1(VALU_DEP_4)
	v_add_co_u32 v150, vcc_lo, v16, v1
	v_add_co_ci_u32_e32 v151, vcc_lo, v17, v0, vcc_lo
	s_delay_alu instid0(VALU_DEP_4)
	v_add_co_u32 v152, vcc_lo, v16, v3
	v_mad_u32_u24 v108, 0x860, v94, v95
	v_add_nc_u32_e32 v118, 49, v96
	v_add_nc_u32_e32 v120, 51, v96
	v_add_co_ci_u32_e32 v153, vcc_lo, v17, v2, vcc_lo
	v_add_nc_u32_e32 v154, v103, v10
	s_add_i32 s11, s7, -2
	s_add_i32 s10, s10, 64
	s_lshl_b64 s[4:5], s[24:25], 9
	s_cmp_eq_u32 s11, s14
	s_cselect_b32 s12, s18, 0
	s_and_saveexec_b32 s2, s0
	s_cbranch_execz .LBB114_100
.LBB114_96:
	v_cmp_le_i32_e32 vcc_lo, s12, v93
	s_cmp_lg_u32 s12, 0
	s_cselect_b32 s3, -1, 0
	s_delay_alu instid0(SALU_CYCLE_1) | instskip(NEXT) | instid1(SALU_CYCLE_1)
	s_and_b32 s3, s3, vcc_lo
	s_and_saveexec_b32 s13, s3
	s_delay_alu instid0(SALU_CYCLE_1)
	s_xor_b32 s3, exec_lo, s13
	s_cbranch_execz .LBB114_98
; %bb.97:
	v_mov_b32_e32 v29, v28
	ds_store_b64 v99, v[28:29]
.LBB114_98:
	s_and_not1_saveexec_b32 s3, s3
	s_cbranch_execz .LBB114_100
; %bb.99:
	s_mul_i32 s3, s10, s37
	s_mul_hi_u32 s13, s10, s36
	s_ashr_i32 s15, s10, 31
	s_add_i32 s3, s13, s3
	s_mul_i32 s15, s15, s36
	s_mul_i32 s16, s10, s36
	s_add_i32 s17, s3, s15
	s_delay_alu instid0(SALU_CYCLE_1) | instskip(NEXT) | instid1(SALU_CYCLE_1)
	s_lshl_b64 s[16:17], s[16:17], 3
	v_add_co_u32 v0, vcc_lo, v97, s16
	v_add_co_ci_u32_e32 v1, vcc_lo, s17, v98, vcc_lo
	global_load_b64 v[0:1], v[0:1], off
	s_waitcnt vmcnt(0)
	ds_store_b64 v99, v[0:1]
.LBB114_100:                            ; =>This Inner Loop Header: Depth=1
	s_or_b32 exec_lo, exec_lo, s2
	s_cmp_eq_u32 s12, 0
	v_add_co_u32 v0, vcc_lo, v122, v95
	s_cselect_b32 s13, -1, 0
	s_cmp_lg_u32 s12, 0
	v_add_co_ci_u32_e32 v1, vcc_lo, 0, v123, vcc_lo
	s_cselect_b32 s15, -1, 0
	s_waitcnt lgkmcnt(0)
	s_and_b32 vcc_lo, exec_lo, s15
	s_barrier
	buffer_gl0_inv
	s_cbranch_vccz .LBB114_108
; %bb.101:                              ;   in Loop: Header=BB114_100 Depth=1
	v_mov_b32_e32 v29, 0
	v_mov_b32_e32 v30, 0
	s_mov_b32 s2, exec_lo
	s_delay_alu instid0(VALU_DEP_1)
	v_dual_mov_b32 v32, v30 :: v_dual_mov_b32 v31, v29
	v_cmpx_gt_i32_e64 s12, v96
	s_cbranch_execz .LBB114_103
; %bb.102:                              ;   in Loop: Header=BB114_100 Depth=1
	global_load_b64 v[31:32], v[0:1], off
.LBB114_103:                            ;   in Loop: Header=BB114_100 Depth=1
	s_or_b32 exec_lo, exec_lo, s2
	s_delay_alu instid0(SALU_CYCLE_1)
	s_mov_b32 s2, exec_lo
	v_cmpx_gt_i32_e64 s12, v104
	s_cbranch_execz .LBB114_105
; %bb.104:                              ;   in Loop: Header=BB114_100 Depth=1
	v_add_co_u32 v2, vcc_lo, v126, v95
	v_add_co_ci_u32_e32 v3, vcc_lo, 0, v127, vcc_lo
	global_load_b64 v[29:30], v[2:3], off
.LBB114_105:                            ;   in Loop: Header=BB114_100 Depth=1
	s_or_b32 exec_lo, exec_lo, s2
	v_mov_b32_e32 v33, 0
	v_mov_b32_e32 v34, 0
	s_mov_b32 s2, exec_lo
	v_cmpx_gt_i32_e64 s12, v105
	s_cbranch_execz .LBB114_107
; %bb.106:                              ;   in Loop: Header=BB114_100 Depth=1
	v_add_co_u32 v2, vcc_lo, v124, v95
	v_add_co_ci_u32_e32 v3, vcc_lo, 0, v125, vcc_lo
	global_load_b64 v[33:34], v[2:3], off
.LBB114_107:                            ;   in Loop: Header=BB114_100 Depth=1
	s_or_b32 exec_lo, exec_lo, s2
	v_cmp_gt_i32_e64 s16, s12, v106
	s_mov_b64 s[2:3], 0
	s_branch .LBB114_110
.LBB114_108:                            ;   in Loop: Header=BB114_100 Depth=1
	s_mov_b32 s16, 0
                                        ; implicit-def: $sgpr2_sgpr3
                                        ; implicit-def: $vgpr33_vgpr34
                                        ; implicit-def: $vgpr29_vgpr30
                                        ; implicit-def: $vgpr31_vgpr32
	s_cbranch_execz .LBB114_110
; %bb.109:                              ;   in Loop: Header=BB114_100 Depth=1
	v_add_co_u32 v2, vcc_lo, v126, v95
	v_add_co_ci_u32_e32 v3, vcc_lo, 0, v127, vcc_lo
	v_add_co_u32 v4, vcc_lo, v124, v95
	v_add_co_ci_u32_e32 v5, vcc_lo, 0, v125, vcc_lo
	global_load_b64 v[31:32], v[0:1], off
	global_load_b64 v[29:30], v[2:3], off
	;; [unrolled: 1-line block ×3, first 2 shown]
	s_or_b32 s16, s16, exec_lo
                                        ; implicit-def: $sgpr2_sgpr3
.LBB114_110:                            ;   in Loop: Header=BB114_100 Depth=1
	v_dual_mov_b32 v36, s3 :: v_dual_mov_b32 v35, s2
	s_delay_alu instid0(VALU_DEP_2)
	s_and_saveexec_b32 s2, s16
	s_cbranch_execz .LBB114_112
; %bb.111:                              ;   in Loop: Header=BB114_100 Depth=1
	v_add_co_u32 v0, vcc_lo, v128, v95
	v_add_co_ci_u32_e32 v1, vcc_lo, 0, v129, vcc_lo
	global_load_b64 v[35:36], v[0:1], off
.LBB114_112:                            ;   in Loop: Header=BB114_100 Depth=1
	s_or_b32 exec_lo, exec_lo, s2
	ds_load_b64 v[0:1], v100
	ds_load_b64 v[37:38], v107
	v_cndmask_b32_e64 v77, 0, 1, s15
	s_waitcnt vmcnt(0) lgkmcnt(1)
	v_mul_f32_e32 v3, v1, v31
	v_mul_f32_e32 v5, v1, v29
	;; [unrolled: 1-line block ×3, first 2 shown]
	v_dual_mul_f32 v4, v1, v30 :: v_dual_mul_f32 v9, v0, v36
	s_delay_alu instid0(VALU_DEP_4) | instskip(SKIP_4) | instid1(VALU_DEP_4)
	v_dual_mul_f32 v6, v1, v34 :: v_dual_fmac_f32 v3, v0, v32
	v_mul_f32_e32 v7, v1, v33
	v_dual_mul_f32 v8, v1, v36 :: v_dual_fmac_f32 v5, v0, v30
	v_fma_f32 v2, v0, v31, -v2
	v_fma_f32 v4, v0, v29, -v4
	v_fmac_f32_e32 v7, v0, v34
	v_fma_f32 v6, v0, v33, -v6
	v_fma_f32 v8, v0, v35, -v8
	v_fmac_f32_e32 v9, v1, v35
	ds_store_b64 v108, v[2:3]
	ds_load_b64 v[43:44], v107 offset:8
	ds_store_b64 v108, v[4:5] offset:536
	ds_load_b64 v[41:42], v107 offset:16
	ds_store_b64 v108, v[6:7] offset:1072
	;; [unrolled: 2-line block ×3, first 2 shown]
	s_waitcnt lgkmcnt(0)
	s_barrier
	buffer_gl0_inv
	ds_load_2addr_b64 v[4:7], v103 offset1:1
	ds_load_2addr_b64 v[0:3], v103 offset0:2 offset1:3
	v_add_co_u32 v8, vcc_lo, v130, v95
	v_add_co_ci_u32_e32 v9, vcc_lo, 0, v131, vcc_lo
	s_and_not1_b32 vcc_lo, exec_lo, s15
	s_waitcnt lgkmcnt(0)
	s_barrier
	buffer_gl0_inv
	s_cbranch_vccnz .LBB114_120
; %bb.113:                              ;   in Loop: Header=BB114_100 Depth=1
	v_mov_b32_e32 v45, 0
	v_mov_b32_e32 v46, 0
	s_mov_b32 s2, exec_lo
	s_delay_alu instid0(VALU_DEP_1)
	v_dual_mov_b32 v48, v46 :: v_dual_mov_b32 v47, v45
	v_cmpx_gt_i32_e64 s12, v109
	s_cbranch_execz .LBB114_115
; %bb.114:                              ;   in Loop: Header=BB114_100 Depth=1
	global_load_b64 v[47:48], v[8:9], off
.LBB114_115:                            ;   in Loop: Header=BB114_100 Depth=1
	s_or_b32 exec_lo, exec_lo, s2
	s_delay_alu instid0(SALU_CYCLE_1)
	s_mov_b32 s2, exec_lo
	v_cmpx_gt_i32_e64 s12, v110
	s_cbranch_execz .LBB114_117
; %bb.116:                              ;   in Loop: Header=BB114_100 Depth=1
	v_add_co_u32 v10, vcc_lo, v132, v95
	v_add_co_ci_u32_e32 v11, vcc_lo, 0, v133, vcc_lo
	global_load_b64 v[45:46], v[10:11], off
.LBB114_117:                            ;   in Loop: Header=BB114_100 Depth=1
	s_or_b32 exec_lo, exec_lo, s2
	v_mov_b32_e32 v49, 0
	v_mov_b32_e32 v50, 0
	s_mov_b32 s2, exec_lo
	v_cmpx_gt_i32_e64 s12, v111
	s_cbranch_execz .LBB114_119
; %bb.118:                              ;   in Loop: Header=BB114_100 Depth=1
	v_add_co_u32 v10, vcc_lo, v134, v95
	v_add_co_ci_u32_e32 v11, vcc_lo, 0, v135, vcc_lo
	global_load_b64 v[49:50], v[10:11], off
.LBB114_119:                            ;   in Loop: Header=BB114_100 Depth=1
	s_or_b32 exec_lo, exec_lo, s2
	v_cmp_gt_i32_e64 s15, s12, v112
	s_mov_b64 s[2:3], 0
	s_branch .LBB114_122
.LBB114_120:                            ;   in Loop: Header=BB114_100 Depth=1
	s_mov_b32 s15, 0
                                        ; implicit-def: $sgpr2_sgpr3
                                        ; implicit-def: $vgpr49_vgpr50
                                        ; implicit-def: $vgpr45_vgpr46
                                        ; implicit-def: $vgpr47_vgpr48
	s_cbranch_execz .LBB114_122
; %bb.121:                              ;   in Loop: Header=BB114_100 Depth=1
	v_add_co_u32 v10, vcc_lo, v132, v95
	v_add_co_ci_u32_e32 v11, vcc_lo, 0, v133, vcc_lo
	v_add_co_u32 v12, vcc_lo, v134, v95
	v_add_co_ci_u32_e32 v13, vcc_lo, 0, v135, vcc_lo
	global_load_b64 v[47:48], v[8:9], off
	global_load_b64 v[45:46], v[10:11], off
	;; [unrolled: 1-line block ×3, first 2 shown]
	s_or_b32 s15, s15, exec_lo
                                        ; implicit-def: $sgpr2_sgpr3
.LBB114_122:                            ;   in Loop: Header=BB114_100 Depth=1
	v_dual_mov_b32 v52, s3 :: v_dual_mov_b32 v51, s2
	s_delay_alu instid0(VALU_DEP_2)
	s_and_saveexec_b32 s2, s15
	s_cbranch_execz .LBB114_124
; %bb.123:                              ;   in Loop: Header=BB114_100 Depth=1
	v_add_co_u32 v8, vcc_lo, v136, v95
	v_add_co_ci_u32_e32 v9, vcc_lo, 0, v137, vcc_lo
	global_load_b64 v[51:52], v[8:9], off
.LBB114_124:                            ;   in Loop: Header=BB114_100 Depth=1
	s_or_b32 exec_lo, exec_lo, s2
	ds_load_b64 v[8:9], v100
	ds_load_b64 v[53:54], v107 offset:128
	v_cmp_ne_u32_e32 vcc_lo, 1, v77
	s_and_b32 vcc_lo, exec_lo, vcc_lo
	s_waitcnt vmcnt(0) lgkmcnt(1)
	v_mul_f32_e32 v11, v9, v47
	v_mul_f32_e32 v13, v9, v45
	;; [unrolled: 1-line block ×3, first 2 shown]
	v_dual_mul_f32 v12, v9, v46 :: v_dual_mul_f32 v17, v8, v52
	s_delay_alu instid0(VALU_DEP_4) | instskip(SKIP_4) | instid1(VALU_DEP_4)
	v_dual_mul_f32 v14, v9, v50 :: v_dual_fmac_f32 v11, v8, v48
	v_mul_f32_e32 v15, v9, v49
	v_dual_mul_f32 v16, v9, v52 :: v_dual_fmac_f32 v13, v8, v46
	v_fma_f32 v10, v8, v47, -v10
	v_fma_f32 v12, v8, v45, -v12
	v_fmac_f32_e32 v15, v8, v50
	v_fma_f32 v14, v8, v49, -v14
	v_fma_f32 v16, v8, v51, -v16
	v_fmac_f32_e32 v17, v9, v51
	ds_store_b64 v108, v[10:11]
	ds_load_b64 v[59:60], v107 offset:136
	ds_store_b64 v108, v[12:13] offset:536
	ds_load_b64 v[57:58], v107 offset:144
	ds_store_b64 v108, v[14:15] offset:1072
	;; [unrolled: 2-line block ×3, first 2 shown]
	s_waitcnt lgkmcnt(0)
	s_barrier
	buffer_gl0_inv
	ds_load_2addr_b64 v[12:15], v103 offset1:1
	ds_load_2addr_b64 v[8:11], v103 offset0:2 offset1:3
	v_add_co_u32 v16, s2, v138, v95
	s_delay_alu instid0(VALU_DEP_1)
	v_add_co_ci_u32_e64 v17, s2, 0, v139, s2
	s_waitcnt lgkmcnt(0)
	s_barrier
	buffer_gl0_inv
	s_cbranch_vccnz .LBB114_132
; %bb.125:                              ;   in Loop: Header=BB114_100 Depth=1
	v_mov_b32_e32 v61, 0
	v_mov_b32_e32 v62, 0
	s_mov_b32 s2, exec_lo
	s_delay_alu instid0(VALU_DEP_1)
	v_dual_mov_b32 v64, v62 :: v_dual_mov_b32 v63, v61
	v_cmpx_gt_i32_e64 s12, v113
	s_cbranch_execz .LBB114_127
; %bb.126:                              ;   in Loop: Header=BB114_100 Depth=1
	global_load_b64 v[63:64], v[16:17], off
.LBB114_127:                            ;   in Loop: Header=BB114_100 Depth=1
	s_or_b32 exec_lo, exec_lo, s2
	s_delay_alu instid0(SALU_CYCLE_1)
	s_mov_b32 s2, exec_lo
	v_cmpx_gt_i32_e64 s12, v114
	s_cbranch_execz .LBB114_129
; %bb.128:                              ;   in Loop: Header=BB114_100 Depth=1
	v_add_co_u32 v18, vcc_lo, v140, v95
	v_add_co_ci_u32_e32 v19, vcc_lo, 0, v141, vcc_lo
	global_load_b64 v[61:62], v[18:19], off
.LBB114_129:                            ;   in Loop: Header=BB114_100 Depth=1
	s_or_b32 exec_lo, exec_lo, s2
	v_mov_b32_e32 v65, 0
	v_mov_b32_e32 v66, 0
	s_mov_b32 s2, exec_lo
	v_cmpx_gt_i32_e64 s12, v115
	s_cbranch_execz .LBB114_131
; %bb.130:                              ;   in Loop: Header=BB114_100 Depth=1
	v_add_co_u32 v18, vcc_lo, v142, v95
	v_add_co_ci_u32_e32 v19, vcc_lo, 0, v143, vcc_lo
	global_load_b64 v[65:66], v[18:19], off
.LBB114_131:                            ;   in Loop: Header=BB114_100 Depth=1
	s_or_b32 exec_lo, exec_lo, s2
	v_cmp_gt_i32_e64 s15, s12, v116
	s_mov_b64 s[2:3], 0
	s_branch .LBB114_134
.LBB114_132:                            ;   in Loop: Header=BB114_100 Depth=1
	s_mov_b32 s15, 0
                                        ; implicit-def: $sgpr2_sgpr3
                                        ; implicit-def: $vgpr65_vgpr66
                                        ; implicit-def: $vgpr61_vgpr62
                                        ; implicit-def: $vgpr63_vgpr64
	s_cbranch_execz .LBB114_134
; %bb.133:                              ;   in Loop: Header=BB114_100 Depth=1
	v_add_co_u32 v18, vcc_lo, v140, v95
	v_add_co_ci_u32_e32 v19, vcc_lo, 0, v141, vcc_lo
	v_add_co_u32 v20, vcc_lo, v142, v95
	v_add_co_ci_u32_e32 v21, vcc_lo, 0, v143, vcc_lo
	global_load_b64 v[63:64], v[16:17], off
	global_load_b64 v[61:62], v[18:19], off
	;; [unrolled: 1-line block ×3, first 2 shown]
	s_or_b32 s15, s15, exec_lo
                                        ; implicit-def: $sgpr2_sgpr3
.LBB114_134:                            ;   in Loop: Header=BB114_100 Depth=1
	v_dual_mov_b32 v68, s3 :: v_dual_mov_b32 v67, s2
	s_delay_alu instid0(VALU_DEP_2)
	s_and_saveexec_b32 s2, s15
	s_cbranch_execz .LBB114_136
; %bb.135:                              ;   in Loop: Header=BB114_100 Depth=1
	v_add_co_u32 v16, vcc_lo, v144, v95
	v_add_co_ci_u32_e32 v17, vcc_lo, 0, v145, vcc_lo
	global_load_b64 v[67:68], v[16:17], off
.LBB114_136:                            ;   in Loop: Header=BB114_100 Depth=1
	s_or_b32 exec_lo, exec_lo, s2
	ds_load_b64 v[16:17], v100
	ds_load_b64 v[69:70], v107 offset:256
	v_cmp_ne_u32_e32 vcc_lo, 1, v77
	v_add_co_u32 v83, s2, v146, v95
	s_delay_alu instid0(VALU_DEP_1)
	v_add_co_ci_u32_e64 v84, s2, 0, v147, s2
	s_and_b32 vcc_lo, exec_lo, vcc_lo
	s_waitcnt vmcnt(0) lgkmcnt(1)
	v_mul_f32_e32 v19, v17, v63
	v_mul_f32_e32 v21, v17, v61
	;; [unrolled: 1-line block ×3, first 2 shown]
	v_dual_mul_f32 v20, v17, v62 :: v_dual_mul_f32 v79, v16, v68
	s_delay_alu instid0(VALU_DEP_4)
	v_dual_mul_f32 v22, v17, v66 :: v_dual_fmac_f32 v19, v16, v64
	v_mul_f32_e32 v23, v17, v65
	v_mul_f32_e32 v71, v17, v68
	v_fmac_f32_e32 v21, v16, v62
	v_fma_f32 v18, v16, v63, -v18
	v_fma_f32 v20, v16, v61, -v20
	;; [unrolled: 1-line block ×3, first 2 shown]
	v_fmac_f32_e32 v23, v16, v66
	v_fma_f32 v78, v16, v67, -v71
	v_fmac_f32_e32 v79, v17, v67
	ds_store_b64 v108, v[18:19]
	ds_load_b64 v[75:76], v107 offset:264
	ds_store_b64 v108, v[20:21] offset:536
	ds_load_b64 v[73:74], v107 offset:272
	ds_store_b64 v108, v[22:23] offset:1072
	;; [unrolled: 2-line block ×3, first 2 shown]
	s_waitcnt lgkmcnt(0)
	s_barrier
	buffer_gl0_inv
	ds_load_2addr_b64 v[20:23], v103 offset1:1
	ds_load_2addr_b64 v[16:19], v103 offset0:2 offset1:3
	s_waitcnt lgkmcnt(0)
	s_barrier
	buffer_gl0_inv
	s_cbranch_vccnz .LBB114_144
; %bb.137:                              ;   in Loop: Header=BB114_100 Depth=1
	v_mov_b32_e32 v77, 0
	v_mov_b32_e32 v78, 0
	s_mov_b32 s2, exec_lo
	s_delay_alu instid0(VALU_DEP_1)
	v_dual_mov_b32 v80, v78 :: v_dual_mov_b32 v79, v77
	v_cmpx_gt_i32_e64 s12, v117
	s_cbranch_execz .LBB114_139
; %bb.138:                              ;   in Loop: Header=BB114_100 Depth=1
	global_load_b64 v[79:80], v[83:84], off
.LBB114_139:                            ;   in Loop: Header=BB114_100 Depth=1
	s_or_b32 exec_lo, exec_lo, s2
	s_delay_alu instid0(SALU_CYCLE_1)
	s_mov_b32 s2, exec_lo
	v_cmpx_gt_i32_e64 s12, v118
	s_cbranch_execz .LBB114_141
; %bb.140:                              ;   in Loop: Header=BB114_100 Depth=1
	v_add_co_u32 v77, vcc_lo, v148, v95
	v_add_co_ci_u32_e32 v78, vcc_lo, 0, v149, vcc_lo
	global_load_b64 v[77:78], v[77:78], off
.LBB114_141:                            ;   in Loop: Header=BB114_100 Depth=1
	s_or_b32 exec_lo, exec_lo, s2
	v_mov_b32_e32 v81, 0
	v_mov_b32_e32 v82, 0
	s_mov_b32 s2, exec_lo
	v_cmpx_gt_i32_e64 s12, v119
	s_cbranch_execz .LBB114_143
; %bb.142:                              ;   in Loop: Header=BB114_100 Depth=1
	v_add_co_u32 v81, vcc_lo, v150, v95
	v_add_co_ci_u32_e32 v82, vcc_lo, 0, v151, vcc_lo
	global_load_b64 v[81:82], v[81:82], off
.LBB114_143:                            ;   in Loop: Header=BB114_100 Depth=1
	s_or_b32 exec_lo, exec_lo, s2
	v_cmp_gt_i32_e64 s15, s12, v120
	s_mov_b64 s[2:3], 0
	s_branch .LBB114_146
.LBB114_144:                            ;   in Loop: Header=BB114_100 Depth=1
	s_mov_b32 s15, 0
                                        ; implicit-def: $sgpr2_sgpr3
                                        ; implicit-def: $vgpr81_vgpr82
                                        ; implicit-def: $vgpr77_vgpr78
                                        ; implicit-def: $vgpr79_vgpr80
	s_cbranch_execz .LBB114_146
; %bb.145:                              ;   in Loop: Header=BB114_100 Depth=1
	s_waitcnt vmcnt(0)
	v_add_co_u32 v77, vcc_lo, v148, v95
	v_add_co_ci_u32_e32 v78, vcc_lo, 0, v149, vcc_lo
	v_add_co_u32 v81, vcc_lo, v150, v95
	v_add_co_ci_u32_e32 v82, vcc_lo, 0, v151, vcc_lo
	global_load_b64 v[79:80], v[83:84], off
	global_load_b64 v[77:78], v[77:78], off
	;; [unrolled: 1-line block ×3, first 2 shown]
	s_or_b32 s15, s15, exec_lo
                                        ; implicit-def: $sgpr2_sgpr3
.LBB114_146:                            ;   in Loop: Header=BB114_100 Depth=1
	v_dual_mov_b32 v84, s3 :: v_dual_mov_b32 v83, s2
	s_delay_alu instid0(VALU_DEP_2)
	s_and_saveexec_b32 s2, s15
	s_cbranch_execz .LBB114_148
; %bb.147:                              ;   in Loop: Header=BB114_100 Depth=1
	v_add_co_u32 v83, vcc_lo, v152, v95
	v_add_co_ci_u32_e32 v84, vcc_lo, 0, v153, vcc_lo
	global_load_b64 v[83:84], v[83:84], off
.LBB114_148:                            ;   in Loop: Header=BB114_100 Depth=1
	s_or_b32 exec_lo, exec_lo, s2
	ds_load_b64 v[87:88], v100
	ds_load_b64 v[85:86], v107 offset:384
	v_cmp_gt_i32_e32 vcc_lo, s12, v93
	v_add_f32_e32 v13, 0, v13
	v_add_f32_e32 v21, 0, v21
	;; [unrolled: 1-line block ×3, first 2 shown]
	s_or_b32 s2, s13, vcc_lo
	s_delay_alu instid0(VALU_DEP_3) | instskip(SKIP_1) | instid1(VALU_DEP_2)
	v_add_f32_e32 v13, v13, v15
	s_and_b32 s3, s1, s2
	v_dual_add_f32 v5, v5, v7 :: v_dual_add_f32 v4, 0, v4
	s_delay_alu instid0(VALU_DEP_2) | instskip(NEXT) | instid1(VALU_DEP_2)
	v_add_f32_e32 v9, v13, v9
	v_dual_add_f32 v15, v5, v1 :: v_dual_add_f32 v4, v4, v6
	s_waitcnt vmcnt(0) lgkmcnt(1)
	v_mul_f32_e32 v90, v88, v79
	v_mul_f32_e32 v92, v88, v82
	;; [unrolled: 1-line block ×4, first 2 shown]
	v_dual_mul_f32 v91, v88, v78 :: v_dual_mul_f32 v160, v87, v84
	v_fmac_f32_e32 v90, v87, v80
	v_mul_f32_e32 v158, v88, v81
	v_dual_mul_f32 v159, v88, v84 :: v_dual_fmac_f32 v156, v87, v78
	v_fma_f32 v89, v87, v79, -v89
	v_fma_f32 v155, v87, v77, -v91
	s_delay_alu instid0(VALU_DEP_4)
	v_fmac_f32_e32 v158, v87, v82
	v_fma_f32 v157, v87, v81, -v92
	v_fma_f32 v159, v87, v83, -v159
	v_fmac_f32_e32 v160, v88, v83
	ds_store_b64 v108, v[89:90]
	ds_load_b64 v[91:92], v107 offset:392
	ds_store_b64 v108, v[155:156] offset:536
	ds_load_b64 v[89:90], v107 offset:400
	ds_store_b64 v108, v[157:158] offset:1072
	;; [unrolled: 2-line block ×3, first 2 shown]
	s_waitcnt lgkmcnt(0)
	s_barrier
	buffer_gl0_inv
	ds_load_2addr_b64 v[155:158], v103 offset1:1
	v_dual_add_f32 v160, v21, v23 :: v_dual_add_f32 v13, v4, v0
	v_dual_add_f32 v20, 0, v20 :: v_dual_add_f32 v3, v15, v3
	s_delay_alu instid0(VALU_DEP_2) | instskip(NEXT) | instid1(VALU_DEP_2)
	v_dual_add_f32 v7, v160, v17 :: v_dual_add_f32 v12, 0, v12
	v_add_f32_e32 v159, v20, v22
	ds_load_2addr_b64 v[20:23], v103 offset0:2 offset1:3
	v_dual_add_f32 v2, v13, v2 :: v_dual_add_f32 v1, v7, v19
	v_add_f32_e32 v12, v12, v14
	s_waitcnt lgkmcnt(0)
	s_barrier
	buffer_gl0_inv
	v_add_f32_e32 v8, v12, v8
	v_add_f32_e32 v12, 0, v155
	;; [unrolled: 1-line block ×4, first 2 shown]
	s_delay_alu instid0(VALU_DEP_4) | instskip(NEXT) | instid1(VALU_DEP_3)
	v_add_f32_e32 v4, v8, v10
	v_dual_add_f32 v5, v12, v157 :: v_dual_add_f32 v12, v14, v158
	s_delay_alu instid0(VALU_DEP_3) | instskip(NEXT) | instid1(VALU_DEP_2)
	v_add_f32_e32 v0, v6, v18
	v_dual_add_f32 v6, v5, v20 :: v_dual_add_f32 v7, v12, v21
	s_delay_alu instid0(VALU_DEP_1) | instskip(NEXT) | instid1(VALU_DEP_2)
	v_dual_add_f32 v5, v9, v11 :: v_dual_add_f32 v6, v6, v22
	v_add_f32_e32 v7, v7, v23
	ds_store_2addr_b64 v154, v[2:3], v[4:5] offset1:16
	ds_store_2addr_b64 v154, v[0:1], v[6:7] offset0:32 offset1:48
	s_waitcnt lgkmcnt(0)
	s_barrier
	buffer_gl0_inv
	s_and_saveexec_b32 s2, s3
	s_cbranch_execz .LBB114_150
; %bb.149:                              ;   in Loop: Header=BB114_100 Depth=1
	ds_load_b64 v[11:12], v101
	ds_load_2addr_b64 v[0:3], v101 offset0:1 offset1:2
	ds_load_2addr_b64 v[4:7], v101 offset0:3 offset1:4
	s_waitcnt lgkmcnt(1)
	v_dual_add_f32 v0, v0, v11 :: v_dual_add_f32 v1, v1, v12
	ds_load_2addr_b64 v[8:11], v101 offset0:5 offset1:6
	v_add_f32_e32 v0, v0, v2
	v_add_f32_e32 v12, v1, v3
	s_waitcnt lgkmcnt(1)
	s_delay_alu instid0(VALU_DEP_2) | instskip(SKIP_3) | instid1(VALU_DEP_2)
	v_add_f32_e32 v4, v0, v4
	ds_load_2addr_b64 v[0:3], v101 offset0:7 offset1:8
	v_add_f32_e32 v5, v12, v5
	v_add_f32_e32 v4, v4, v6
	;; [unrolled: 1-line block ×3, first 2 shown]
	s_waitcnt lgkmcnt(1)
	s_delay_alu instid0(VALU_DEP_2) | instskip(SKIP_3) | instid1(VALU_DEP_2)
	v_add_f32_e32 v8, v4, v8
	ds_load_2addr_b64 v[4:7], v101 offset0:9 offset1:10
	v_add_f32_e32 v9, v12, v9
	v_add_f32_e32 v8, v8, v10
	;; [unrolled: 1-line block ×3, first 2 shown]
	s_waitcnt lgkmcnt(1)
	s_delay_alu instid0(VALU_DEP_2) | instskip(SKIP_4) | instid1(VALU_DEP_1)
	v_add_f32_e32 v0, v8, v0
	ds_load_2addr_b64 v[8:11], v101 offset0:11 offset1:12
	v_add_f32_e32 v1, v12, v1
	v_add_f32_e32 v12, v0, v2
	s_waitcnt lgkmcnt(1)
	v_add_f32_e32 v4, v12, v4
	s_delay_alu instid0(VALU_DEP_1) | instskip(SKIP_1) | instid1(VALU_DEP_1)
	v_add_f32_e32 v6, v4, v6
	s_waitcnt lgkmcnt(0)
	v_add_f32_e32 v6, v6, v8
	s_delay_alu instid0(VALU_DEP_1) | instskip(SKIP_3) | instid1(VALU_DEP_1)
	v_dual_add_f32 v8, v6, v10 :: v_dual_add_f32 v13, v1, v3
	ds_load_2addr_b64 v[0:3], v101 offset0:13 offset1:14
	v_add_nc_u32_e32 v6, s10, v121
	v_add_f32_e32 v5, v13, v5
	v_add_f32_e32 v7, v5, v7
	ds_load_b64 v[4:5], v102
	v_add_f32_e32 v7, v7, v9
	s_waitcnt lgkmcnt(1)
	s_delay_alu instid0(VALU_DEP_1) | instskip(NEXT) | instid1(VALU_DEP_1)
	v_dual_add_f32 v7, v7, v11 :: v_dual_add_f32 v0, v8, v0
	v_add_f32_e32 v1, v7, v1
	v_ashrrev_i32_e32 v7, 31, v6
	s_delay_alu instid0(VALU_DEP_2) | instskip(NEXT) | instid1(VALU_DEP_2)
	v_dual_add_f32 v2, v0, v2 :: v_dual_add_f32 v3, v1, v3
	v_lshlrev_b64 v[0:1], 3, v[6:7]
	s_waitcnt lgkmcnt(0)
	s_delay_alu instid0(VALU_DEP_2) | instskip(NEXT) | instid1(VALU_DEP_2)
	v_dual_add_f32 v2, v2, v4 :: v_dual_add_f32 v3, v3, v5
	v_add_co_u32 v0, vcc_lo, s6, v0
	s_delay_alu instid0(VALU_DEP_3)
	v_add_co_ci_u32_e32 v1, vcc_lo, s9, v1, vcc_lo
	global_store_b64 v[0:1], v[2:3], off
.LBB114_150:                            ;   in Loop: Header=BB114_100 Depth=1
	s_or_b32 exec_lo, exec_lo, s2
	v_dual_mul_f32 v0, v38, v32 :: v_dual_mul_f32 v3, v44, v29
	v_dual_mul_f32 v1, v38, v31 :: v_dual_mul_f32 v2, v44, v30
	;; [unrolled: 1-line block ×3, first 2 shown]
	s_delay_alu instid0(VALU_DEP_3) | instskip(SKIP_1) | instid1(VALU_DEP_4)
	v_fma_f32 v0, v37, v31, -v0
	v_dual_mul_f32 v5, v42, v33 :: v_dual_mul_f32 v6, v40, v36
	v_fma_f32 v2, v43, v29, -v2
	v_fmac_f32_e32 v1, v37, v32
	s_delay_alu instid0(VALU_DEP_4) | instskip(SKIP_3) | instid1(VALU_DEP_4)
	v_dual_add_f32 v0, v26, v0 :: v_dual_fmac_f32 v3, v43, v30
	v_mul_f32_e32 v9, v54, v47
	v_fma_f32 v4, v41, v33, -v4
	v_fma_f32 v6, v39, v35, -v6
	v_add_f32_e32 v0, v0, v2
	v_mul_f32_e32 v2, v60, v46
	v_dual_mul_f32 v8, v54, v48 :: v_dual_add_f32 v1, v27, v1
	s_delay_alu instid0(VALU_DEP_3) | instskip(SKIP_1) | instid1(VALU_DEP_4)
	v_dual_fmac_f32 v5, v41, v34 :: v_dual_add_f32 v0, v0, v4
	v_mul_f32_e32 v4, v60, v45
	v_fma_f32 v2, v59, v45, -v2
	s_delay_alu instid0(VALU_DEP_4) | instskip(SKIP_2) | instid1(VALU_DEP_3)
	v_add_f32_e32 v1, v1, v3
	v_fma_f32 v3, v53, v47, -v8
	v_dual_add_f32 v0, v0, v6 :: v_dual_fmac_f32 v7, v39, v36
	v_dual_mul_f32 v6, v58, v50 :: v_dual_add_f32 v1, v1, v5
	s_delay_alu instid0(VALU_DEP_2) | instskip(SKIP_1) | instid1(VALU_DEP_3)
	v_dual_fmac_f32 v9, v53, v48 :: v_dual_add_f32 v0, v0, v3
	v_mul_f32_e32 v3, v56, v52
	v_fma_f32 v5, v57, v49, -v6
	s_delay_alu instid0(VALU_DEP_4) | instskip(SKIP_3) | instid1(VALU_DEP_4)
	v_add_f32_e32 v1, v1, v7
	v_add_co_u32 v122, vcc_lo, v122, s4
	v_add_f32_e32 v0, v0, v2
	v_mul_f32_e32 v2, v58, v49
	v_dual_fmac_f32 v4, v59, v46 :: v_dual_add_f32 v1, v1, v9
	v_fma_f32 v3, v55, v51, -v3
	s_delay_alu instid0(VALU_DEP_4) | instskip(NEXT) | instid1(VALU_DEP_4)
	v_dual_add_f32 v0, v0, v5 :: v_dual_mul_f32 v5, v70, v64
	v_fmac_f32_e32 v2, v57, v50
	s_delay_alu instid0(VALU_DEP_4) | instskip(NEXT) | instid1(VALU_DEP_3)
	v_dual_add_f32 v1, v1, v4 :: v_dual_mul_f32 v4, v56, v51
	v_add_f32_e32 v0, v0, v3
	s_delay_alu instid0(VALU_DEP_4) | instskip(SKIP_3) | instid1(VALU_DEP_4)
	v_fma_f32 v3, v69, v63, -v5
	v_mul_f32_e32 v5, v76, v62
	v_add_co_ci_u32_e32 v123, vcc_lo, s5, v123, vcc_lo
	v_fmac_f32_e32 v4, v55, v52
	v_add_f32_e32 v0, v0, v3
	s_delay_alu instid0(VALU_DEP_4) | instskip(SKIP_3) | instid1(VALU_DEP_4)
	v_fma_f32 v3, v75, v61, -v5
	v_mul_f32_e32 v5, v74, v66
	v_add_co_u32 v124, vcc_lo, v124, s4
	v_add_co_ci_u32_e32 v125, vcc_lo, s5, v125, vcc_lo
	v_add_f32_e32 v0, v0, v3
	s_delay_alu instid0(VALU_DEP_4) | instskip(SKIP_3) | instid1(VALU_DEP_2)
	v_fma_f32 v3, v73, v65, -v5
	v_mul_f32_e32 v5, v72, v68
	v_dual_add_f32 v1, v1, v2 :: v_dual_mul_f32 v2, v70, v63
	v_add_co_u32 v126, vcc_lo, v126, s4
	v_dual_add_f32 v0, v0, v3 :: v_dual_add_f32 v1, v1, v4
	s_delay_alu instid0(VALU_DEP_3)
	v_fmac_f32_e32 v2, v69, v64
	v_fma_f32 v3, v71, v67, -v5
	v_mul_f32_e32 v5, v72, v67
	v_mul_f32_e32 v4, v76, v61
	v_add_co_ci_u32_e32 v127, vcc_lo, s5, v127, vcc_lo
	v_dual_add_f32 v1, v1, v2 :: v_dual_mul_f32 v2, v74, v65
	v_add_f32_e32 v0, v0, v3
	v_mul_f32_e32 v3, v92, v78
	v_fmac_f32_e32 v5, v71, v68
	v_fmac_f32_e32 v4, v75, v62
	v_fmac_f32_e32 v2, v73, v66
	v_add_co_u32 v128, vcc_lo, v128, s4
	v_add_co_ci_u32_e32 v129, vcc_lo, s5, v129, vcc_lo
	s_delay_alu instid0(VALU_DEP_4)
	v_add_f32_e32 v1, v1, v4
	v_mul_f32_e32 v4, v86, v80
	v_add_co_u32 v130, vcc_lo, v130, s4
	v_add_co_ci_u32_e32 v131, vcc_lo, s5, v131, vcc_lo
	v_add_co_u32 v132, vcc_lo, v132, s4
	v_add_f32_e32 v1, v1, v2
	v_fma_f32 v2, v85, v79, -v4
	v_add_co_ci_u32_e32 v133, vcc_lo, s5, v133, vcc_lo
	v_add_co_u32 v134, vcc_lo, v134, s4
	v_add_co_ci_u32_e32 v135, vcc_lo, s5, v135, vcc_lo
	v_add_co_u32 v136, vcc_lo, v136, s4
	v_add_f32_e32 v1, v1, v5
	v_mul_f32_e32 v5, v90, v82
	v_add_f32_e32 v0, v0, v2
	v_fma_f32 v2, v91, v77, -v3
	v_dual_mul_f32 v3, v92, v77 :: v_dual_mul_f32 v4, v86, v79
	v_add_co_ci_u32_e32 v137, vcc_lo, s5, v137, vcc_lo
	v_add_co_u32 v138, vcc_lo, v138, s4
	s_delay_alu instid0(VALU_DEP_3)
	v_fmac_f32_e32 v3, v91, v78
	v_add_co_ci_u32_e32 v139, vcc_lo, s5, v139, vcc_lo
	v_fmac_f32_e32 v4, v85, v80
	v_add_co_u32 v140, vcc_lo, v140, s4
	v_add_co_ci_u32_e32 v141, vcc_lo, s5, v141, vcc_lo
	v_add_co_u32 v142, vcc_lo, v142, s4
	s_delay_alu instid0(VALU_DEP_4)
	v_dual_add_f32 v1, v1, v4 :: v_dual_add_f32 v0, v0, v2
	v_mul_f32_e32 v2, v90, v81
	v_add_co_ci_u32_e32 v143, vcc_lo, s5, v143, vcc_lo
	v_add_co_u32 v144, vcc_lo, v144, s4
	v_add_co_ci_u32_e32 v145, vcc_lo, s5, v145, vcc_lo
	v_add_co_u32 v146, vcc_lo, v146, s4
	v_fma_f32 v4, v89, v81, -v5
	v_dual_mul_f32 v5, v88, v84 :: v_dual_fmac_f32 v2, v89, v82
	v_add_f32_e32 v1, v1, v3
	v_mul_f32_e32 v6, v88, v83
	v_add_co_ci_u32_e32 v147, vcc_lo, s5, v147, vcc_lo
	v_add_co_u32 v148, vcc_lo, v148, s4
	s_delay_alu instid0(VALU_DEP_4)
	v_add_f32_e32 v1, v1, v2
	v_add_co_ci_u32_e32 v149, vcc_lo, s5, v149, vcc_lo
	v_fma_f32 v3, v87, v83, -v5
	v_fmac_f32_e32 v6, v87, v84
	v_add_f32_e32 v0, v0, v4
	v_add_co_u32 v150, vcc_lo, v150, s4
	v_add_co_ci_u32_e32 v151, vcc_lo, s5, v151, vcc_lo
	s_delay_alu instid0(VALU_DEP_4)
	v_add_f32_e32 v27, v1, v6
	v_add_co_u32 v152, vcc_lo, v152, s4
	v_add_f32_e32 v26, v0, v3
	v_add_co_ci_u32_e32 v153, vcc_lo, s5, v153, vcc_lo
	s_add_i32 s3, s14, 2
	s_add_i32 s2, s14, 1
	;; [unrolled: 1-line block ×3, first 2 shown]
	s_cmp_ge_u32 s3, s7
	s_waitcnt_vscnt null, 0x0
	s_barrier
	buffer_gl0_inv
	s_cbranch_scc1 .LBB114_152
; %bb.151:                              ;   in Loop: Header=BB114_100 Depth=1
	s_mov_b32 s14, s2
	s_delay_alu instid0(SALU_CYCLE_1)
	s_cmp_eq_u32 s11, s14
	s_cselect_b32 s12, s18, 0
	s_and_saveexec_b32 s2, s0
	s_cbranch_execnz .LBB114_96
	s_branch .LBB114_100
.LBB114_152:
	v_cmp_gt_i32_e32 vcc_lo, s8, v93
	v_mad_u32_u24 v0, 0x218, v94, v95
	s_or_b32 s1, s19, vcc_lo
	ds_store_b64 v0, v[26:27]
	s_and_b32 s0, s0, s1
	s_waitcnt lgkmcnt(0)
	s_barrier
	buffer_gl0_inv
	s_and_saveexec_b32 s1, s0
	s_cbranch_execz .LBB114_154
; %bb.153:
	ds_load_2addr_b64 v[0:3], v95 offset1:67
	ds_load_2addr_b64 v[4:7], v95 offset0:134 offset1:201
	s_waitcnt lgkmcnt(1)
	v_dual_add_f32 v0, v2, v0 :: v_dual_add_f32 v1, v3, v1
	s_waitcnt lgkmcnt(0)
	s_delay_alu instid0(VALU_DEP_1) | instskip(SKIP_1) | instid1(VALU_DEP_2)
	v_dual_add_f32 v2, v0, v4 :: v_dual_add_f32 v3, v1, v5
	v_lshlrev_b64 v[0:1], 3, v[24:25]
	v_dual_add_f32 v2, v2, v6 :: v_dual_add_f32 v3, v3, v7
	s_delay_alu instid0(VALU_DEP_2) | instskip(NEXT) | instid1(VALU_DEP_3)
	v_add_co_u32 v0, vcc_lo, s6, v0
	v_add_co_ci_u32_e32 v1, vcc_lo, s9, v1, vcc_lo
	global_store_b64 v[0:1], v[2:3], off
.LBB114_154:
	s_nop 0
	s_sendmsg sendmsg(MSG_DEALLOC_VGPRS)
	s_endpgm
	.section	.rodata,"a",@progbits
	.p2align	6, 0x0
	.amdhsa_kernel _ZL26rocblas_hemvn_kernel_upperILb0ELi64ELi4ELi33ELi32ELi16ElPK19rocblas_complex_numIfES3_PS1_EviT6_lT7_lT5_lS6_lS7_lS5_lT8_i
		.amdhsa_group_segment_fixed_size 9600
		.amdhsa_private_segment_fixed_size 0
		.amdhsa_kernarg_size 376
		.amdhsa_user_sgpr_count 14
		.amdhsa_user_sgpr_dispatch_ptr 0
		.amdhsa_user_sgpr_queue_ptr 0
		.amdhsa_user_sgpr_kernarg_segment_ptr 1
		.amdhsa_user_sgpr_dispatch_id 0
		.amdhsa_user_sgpr_private_segment_size 0
		.amdhsa_wavefront_size32 1
		.amdhsa_uses_dynamic_stack 0
		.amdhsa_enable_private_segment 0
		.amdhsa_system_sgpr_workgroup_id_x 1
		.amdhsa_system_sgpr_workgroup_id_y 0
		.amdhsa_system_sgpr_workgroup_id_z 1
		.amdhsa_system_sgpr_workgroup_info 0
		.amdhsa_system_vgpr_workitem_id 1
		.amdhsa_next_free_vgpr 161
		.amdhsa_next_free_sgpr 44
		.amdhsa_reserve_vcc 1
		.amdhsa_float_round_mode_32 0
		.amdhsa_float_round_mode_16_64 0
		.amdhsa_float_denorm_mode_32 3
		.amdhsa_float_denorm_mode_16_64 3
		.amdhsa_dx10_clamp 1
		.amdhsa_ieee_mode 1
		.amdhsa_fp16_overflow 0
		.amdhsa_workgroup_processor_mode 1
		.amdhsa_memory_ordered 1
		.amdhsa_forward_progress 0
		.amdhsa_shared_vgpr_count 0
		.amdhsa_exception_fp_ieee_invalid_op 0
		.amdhsa_exception_fp_denorm_src 0
		.amdhsa_exception_fp_ieee_div_zero 0
		.amdhsa_exception_fp_ieee_overflow 0
		.amdhsa_exception_fp_ieee_underflow 0
		.amdhsa_exception_fp_ieee_inexact 0
		.amdhsa_exception_int_div_zero 0
	.end_amdhsa_kernel
	.section	.text._ZL26rocblas_hemvn_kernel_upperILb0ELi64ELi4ELi33ELi32ELi16ElPK19rocblas_complex_numIfES3_PS1_EviT6_lT7_lT5_lS6_lS7_lS5_lT8_i,"axG",@progbits,_ZL26rocblas_hemvn_kernel_upperILb0ELi64ELi4ELi33ELi32ELi16ElPK19rocblas_complex_numIfES3_PS1_EviT6_lT7_lT5_lS6_lS7_lS5_lT8_i,comdat
.Lfunc_end114:
	.size	_ZL26rocblas_hemvn_kernel_upperILb0ELi64ELi4ELi33ELi32ELi16ElPK19rocblas_complex_numIfES3_PS1_EviT6_lT7_lT5_lS6_lS7_lS5_lT8_i, .Lfunc_end114-_ZL26rocblas_hemvn_kernel_upperILb0ELi64ELi4ELi33ELi32ELi16ElPK19rocblas_complex_numIfES3_PS1_EviT6_lT7_lT5_lS6_lS7_lS5_lT8_i
                                        ; -- End function
	.section	.AMDGPU.csdata,"",@progbits
; Kernel info:
; codeLenInByte = 10024
; NumSgprs: 46
; NumVgprs: 161
; ScratchSize: 0
; MemoryBound: 1
; FloatMode: 240
; IeeeMode: 1
; LDSByteSize: 9600 bytes/workgroup (compile time only)
; SGPRBlocks: 5
; VGPRBlocks: 20
; NumSGPRsForWavesPerEU: 46
; NumVGPRsForWavesPerEU: 161
; Occupancy: 9
; WaveLimiterHint : 0
; COMPUTE_PGM_RSRC2:SCRATCH_EN: 0
; COMPUTE_PGM_RSRC2:USER_SGPR: 14
; COMPUTE_PGM_RSRC2:TRAP_HANDLER: 0
; COMPUTE_PGM_RSRC2:TGID_X_EN: 1
; COMPUTE_PGM_RSRC2:TGID_Y_EN: 0
; COMPUTE_PGM_RSRC2:TGID_Z_EN: 1
; COMPUTE_PGM_RSRC2:TIDIG_COMP_CNT: 1
	.section	.text._ZL26rocblas_hemvn_kernel_upperILb0ELi64ELi4ELi33ELi32ELi16EiPK19rocblas_complex_numIfES3_PS1_EviT6_lT7_lT5_lS6_lS7_lS5_lT8_i,"axG",@progbits,_ZL26rocblas_hemvn_kernel_upperILb0ELi64ELi4ELi33ELi32ELi16EiPK19rocblas_complex_numIfES3_PS1_EviT6_lT7_lT5_lS6_lS7_lS5_lT8_i,comdat
	.globl	_ZL26rocblas_hemvn_kernel_upperILb0ELi64ELi4ELi33ELi32ELi16EiPK19rocblas_complex_numIfES3_PS1_EviT6_lT7_lT5_lS6_lS7_lS5_lT8_i ; -- Begin function _ZL26rocblas_hemvn_kernel_upperILb0ELi64ELi4ELi33ELi32ELi16EiPK19rocblas_complex_numIfES3_PS1_EviT6_lT7_lT5_lS6_lS7_lS5_lT8_i
	.p2align	8
	.type	_ZL26rocblas_hemvn_kernel_upperILb0ELi64ELi4ELi33ELi32ELi16EiPK19rocblas_complex_numIfES3_PS1_EviT6_lT7_lT5_lS6_lS7_lS5_lT8_i,@function
_ZL26rocblas_hemvn_kernel_upperILb0ELi64ELi4ELi33ELi32ELi16EiPK19rocblas_complex_numIfES3_PS1_EviT6_lT7_lT5_lS6_lS7_lS5_lT8_i: ; @_ZL26rocblas_hemvn_kernel_upperILb0ELi64ELi4ELi33ELi32ELi16EiPK19rocblas_complex_numIfES3_PS1_EviT6_lT7_lT5_lS6_lS7_lS5_lT8_i
; %bb.0:
	s_load_b64 s[4:5], s[0:1], 0x84
	s_add_u32 s2, s0, 0x78
	s_addc_u32 s3, s1, 0
	s_waitcnt lgkmcnt(0)
	s_lshr_b32 s6, s4, 16
	s_and_b32 s4, s4, 0xffff
	s_and_b32 s5, s5, 0xffff
	s_mul_i32 s4, s6, s4
	s_delay_alu instid0(SALU_CYCLE_1) | instskip(NEXT) | instid1(SALU_CYCLE_1)
	s_mul_i32 s4, s4, s5
	s_cmpk_lg_i32 s4, 0x100
	s_cbranch_scc1 .LBB115_154
; %bb.1:
	s_load_b256 s[16:23], s[0:1], 0x8
	s_waitcnt lgkmcnt(0)
	s_mul_i32 s4, s15, s19
	s_mul_hi_u32 s5, s15, s18
	s_delay_alu instid0(SALU_CYCLE_1) | instskip(SKIP_1) | instid1(SALU_CYCLE_1)
	s_add_i32 s5, s5, s4
	s_mul_i32 s4, s15, s18
	s_lshl_b64 s[4:5], s[4:5], 3
	s_delay_alu instid0(SALU_CYCLE_1)
	s_add_u32 s4, s16, s4
	s_addc_u32 s5, s17, s5
	s_load_b64 s[12:13], s[4:5], 0x0
	s_load_b256 s[4:11], s[0:1], 0x50
	s_waitcnt lgkmcnt(0)
	s_or_b32 s12, s12, s13
	s_mov_b32 s13, -1
	s_bitset0_b32 s12, 31
	s_delay_alu instid0(SALU_CYCLE_1) | instskip(SKIP_1) | instid1(SALU_CYCLE_1)
	s_cmp_lg_u32 s12, 0
	s_cselect_b32 s12, -1, 0
	s_and_b32 vcc_lo, exec_lo, s12
	s_cbranch_vccnz .LBB115_3
; %bb.2:
	s_mul_i32 s9, s15, s9
	s_mul_hi_u32 s13, s15, s8
	s_mul_i32 s8, s15, s8
	s_add_i32 s9, s13, s9
	s_delay_alu instid0(SALU_CYCLE_1) | instskip(NEXT) | instid1(SALU_CYCLE_1)
	s_lshl_b64 s[8:9], s[8:9], 3
	s_add_u32 s6, s6, s8
	s_addc_u32 s7, s7, s9
	s_load_b64 s[6:7], s[6:7], 0x0
	s_waitcnt lgkmcnt(0)
	v_cmp_neq_f32_e64 s6, s6, 1.0
	v_cmp_neq_f32_e64 s7, s7, 0
	s_delay_alu instid0(VALU_DEP_1)
	s_or_b32 s13, s6, s7
.LBB115_3:
	s_delay_alu instid0(SALU_CYCLE_1)
	s_and_not1_b32 vcc_lo, exec_lo, s13
	s_cbranch_vccnz .LBB115_154
; %bb.4:
	s_and_not1_b32 vcc_lo, exec_lo, s12
	s_cbranch_vccnz .LBB115_154
; %bb.5:
	s_clause 0x2
	s_load_b128 s[16:19], s[0:1], 0x30
	s_load_b64 s[8:9], s[0:1], 0x40
	s_load_b32 s7, s[0:1], 0x48
	s_mul_i32 s5, s15, s5
	s_mul_hi_u32 s6, s15, s4
	s_mul_i32 s4, s15, s4
	s_add_i32 s5, s6, s5
	v_and_b32_e32 v25, 0x3ff, v0
	s_lshl_b64 s[4:5], s[4:5], 3
	s_load_b32 s24, s[0:1], 0x0
	s_load_b32 s28, s[2:3], 0x0
	v_bfe_u32 v95, v0, 10, 10
	s_waitcnt lgkmcnt(0)
	s_add_u32 s6, s18, s4
	s_addc_u32 s12, s19, s5
	s_lshl_b64 s[4:5], s[8:9], 3
	s_delay_alu instid0(SALU_CYCLE_1) | instskip(SKIP_2) | instid1(SALU_CYCLE_1)
	s_add_u32 s4, s6, s4
	s_addc_u32 s5, s12, s5
	s_lshl_b32 s18, s14, 6
	v_add_nc_u32_e32 v24, s18, v25
	s_ashr_i32 s25, s24, 31
	s_add_i32 s3, s28, -1
	s_lshr_b32 s2, s25, 26
	s_delay_alu instid0(VALU_DEP_1) | instskip(SKIP_1) | instid1(SALU_CYCLE_1)
	v_mul_lo_u32 v1, v24, s7
	s_add_i32 s2, s24, s2
	s_and_not1_b32 s2, s2, 63
	s_delay_alu instid0(SALU_CYCLE_1) | instskip(SKIP_2) | instid1(VALU_DEP_2)
	s_sub_i32 s29, s24, s2
	v_cmp_eq_u32_e64 s2, 0, v95
	s_cmp_eq_u32 s14, s3
	v_ashrrev_i32_e32 v2, 31, v1
	s_mov_b32 s3, -1
	s_cselect_b32 s8, s29, 0
	s_delay_alu instid0(VALU_DEP_1) | instskip(NEXT) | instid1(VALU_DEP_1)
	v_lshlrev_b64 v[1:2], 3, v[1:2]
	v_add_co_u32 v12, vcc_lo, s4, v1
	s_delay_alu instid0(VALU_DEP_2)
	v_add_co_ci_u32_e32 v13, vcc_lo, s5, v2, vcc_lo
	s_and_saveexec_b32 s4, s2
	s_cbranch_execz .LBB115_10
; %bb.6:
	v_cmp_le_i32_e32 vcc_lo, s8, v25
	s_cmp_lg_u32 s8, 0
	v_lshl_add_u32 v0, v25, 3, 0x2380
	s_cselect_b32 s5, -1, 0
	s_delay_alu instid0(SALU_CYCLE_1) | instskip(NEXT) | instid1(SALU_CYCLE_1)
	s_and_b32 s5, s5, vcc_lo
	s_and_saveexec_b32 s6, s5
	s_delay_alu instid0(SALU_CYCLE_1)
	s_xor_b32 s5, exec_lo, s6
	s_cbranch_execz .LBB115_8
; %bb.7:
	v_mov_b32_e32 v1, 0
	s_delay_alu instid0(VALU_DEP_1)
	v_mov_b32_e32 v2, v1
	ds_store_b64 v0, v[1:2]
                                        ; implicit-def: $vgpr0
.LBB115_8:
	s_and_not1_saveexec_b32 s5, s5
	s_cbranch_execz .LBB115_10
; %bb.9:
	global_load_b64 v[1:2], v[12:13], off
	s_waitcnt vmcnt(0)
	ds_store_b64 v0, v[1:2]
.LBB115_10:
	s_or_b32 exec_lo, exec_lo, s4
	s_load_b32 s12, s[0:1], 0x28
	v_lshl_add_u32 v22, v95, 6, v25
	v_and_b32_e32 v0, 31, v25
	s_mul_i32 s1, s15, s17
	s_mul_hi_u32 s4, s15, s16
	s_mul_i32 s0, s15, s16
	v_lshrrev_b32_e32 v7, 5, v22
	s_add_i32 s1, s4, s1
	v_lshlrev_b32_e32 v9, 3, v0
	s_lshl_b64 s[0:1], s[0:1], 3
	s_delay_alu instid0(SALU_CYCLE_1)
	s_add_u32 s4, s20, s0
	s_addc_u32 s5, s21, s1
	s_lshl_b64 s[0:1], s[22:23], 3
	v_mul_u32_u24_e32 v8, 33, v7
	s_add_u32 s4, s4, s0
	s_addc_u32 s5, s5, s1
	s_ashr_i32 s19, s18, 31
	s_delay_alu instid0(SALU_CYCLE_1)
	s_lshl_b64 s[0:1], s[18:19], 3
	s_waitcnt lgkmcnt(0)
	v_mad_u64_u32 v[1:2], null, v7, s12, v[0:1]
	s_add_u32 s4, s4, s0
	s_mul_i32 s0, s18, s12
	s_addc_u32 s5, s5, s1
	s_ashr_i32 s1, s0, 31
	s_delay_alu instid0(SALU_CYCLE_1) | instskip(NEXT) | instid1(VALU_DEP_1)
	s_lshl_b64 s[0:1], s[0:1], 3
	v_ashrrev_i32_e32 v2, 31, v1
	s_add_u32 s4, s0, s4
	s_addc_u32 s5, s1, s5
	s_cmp_eq_u32 s8, 0
	v_cmp_gt_i32_e64 s0, s8, v0
	v_lshlrev_b64 v[14:15], 3, v[1:2]
	s_cselect_b32 s30, -1, 0
	s_cmp_lg_u32 s8, 0
	s_cselect_b32 s19, -1, 0
	s_delay_alu instid0(SALU_CYCLE_1) | instskip(NEXT) | instid1(VALU_DEP_1)
	s_and_b32 vcc_lo, exec_lo, s19
	v_add_co_u32 v3, s1, s4, v14
	s_delay_alu instid0(VALU_DEP_1)
	v_add_co_ci_u32_e64 v4, s1, s5, v15, s1
	s_cbranch_vccz .LBB115_28
; %bb.11:
	s_delay_alu instid0(VALU_DEP_2) | instskip(SKIP_1) | instid1(VALU_DEP_2)
	v_sub_co_u32 v1, vcc_lo, v3, v9
	s_ashr_i32 s9, s8, 31
	v_subrev_co_ci_u32_e32 v2, vcc_lo, 0, v4, vcc_lo
	s_lshl_b64 s[4:5], s[8:9], 3
	v_add_lshl_u32 v5, v8, v0, 3
	v_add_co_u32 v1, vcc_lo, v1, s4
	s_delay_alu instid0(VALU_DEP_3) | instskip(SKIP_1) | instid1(VALU_DEP_2)
	v_add_co_ci_u32_e32 v2, vcc_lo, s5, v2, vcc_lo
	s_mov_b32 s1, exec_lo
	v_add_co_u32 v1, vcc_lo, v1, -8
	s_delay_alu instid0(VALU_DEP_2) | instskip(NEXT) | instid1(VALU_DEP_2)
	v_add_co_ci_u32_e32 v2, vcc_lo, -1, v2, vcc_lo
	v_cndmask_b32_e64 v1, v1, v3, s0
	s_delay_alu instid0(VALU_DEP_2)
	v_cndmask_b32_e64 v2, v2, v4, s0
	v_cmpx_le_i32_e64 s8, v7
	s_xor_b32 s1, exec_lo, s1
	s_cbranch_execz .LBB115_13
; %bb.12:
	v_mov_b32_e32 v10, 0
	s_delay_alu instid0(VALU_DEP_1)
	v_mov_b32_e32 v11, v10
	ds_store_b64 v5, v[10:11]
.LBB115_13:
	s_and_not1_saveexec_b32 s1, s1
	s_cbranch_execz .LBB115_15
; %bb.14:
	global_load_b64 v[10:11], v[1:2], off
	s_waitcnt vmcnt(0)
	ds_store_b64 v5, v[10:11]
.LBB115_15:
	s_or_b32 exec_lo, exec_lo, s1
	v_add_nc_u32_e32 v6, 8, v7
	s_mov_b32 s1, exec_lo
	s_delay_alu instid0(VALU_DEP_1)
	v_cmpx_le_i32_e64 s8, v6
	s_xor_b32 s1, exec_lo, s1
	s_cbranch_execz .LBB115_17
; %bb.16:
	v_mul_u32_u24_e32 v6, 33, v6
	v_mov_b32_e32 v10, 0
	s_delay_alu instid0(VALU_DEP_2) | instskip(NEXT) | instid1(VALU_DEP_2)
	v_add_lshl_u32 v6, v6, v0, 3
	v_mov_b32_e32 v11, v10
	ds_store_b64 v6, v[10:11]
.LBB115_17:
	s_and_not1_saveexec_b32 s1, s1
	s_cbranch_execz .LBB115_19
; %bb.18:
	s_lshl_b32 s16, s12, 3
	s_delay_alu instid0(SALU_CYCLE_1) | instskip(NEXT) | instid1(SALU_CYCLE_1)
	s_ashr_i32 s17, s16, 31
	s_lshl_b64 s[16:17], s[16:17], 3
	s_delay_alu instid0(SALU_CYCLE_1)
	v_add_co_u32 v10, vcc_lo, v1, s16
	v_add_co_ci_u32_e32 v11, vcc_lo, s17, v2, vcc_lo
	global_load_b64 v[10:11], v[10:11], off
	s_waitcnt vmcnt(0)
	ds_store_b64 v5, v[10:11] offset:2112
.LBB115_19:
	s_or_b32 exec_lo, exec_lo, s1
	v_add_nc_u32_e32 v6, 16, v7
	s_mov_b32 s1, exec_lo
	s_delay_alu instid0(VALU_DEP_1)
	v_cmpx_le_i32_e64 s8, v6
	s_xor_b32 s1, exec_lo, s1
	s_cbranch_execz .LBB115_21
; %bb.20:
	v_mul_u32_u24_e32 v6, 33, v6
	v_mov_b32_e32 v10, 0
	s_delay_alu instid0(VALU_DEP_2) | instskip(NEXT) | instid1(VALU_DEP_2)
	v_add_lshl_u32 v6, v6, v0, 3
	v_mov_b32_e32 v11, v10
	ds_store_b64 v6, v[10:11]
.LBB115_21:
	s_and_not1_saveexec_b32 s1, s1
	s_cbranch_execz .LBB115_23
; %bb.22:
	s_lshl_b32 s16, s12, 4
	s_delay_alu instid0(SALU_CYCLE_1) | instskip(NEXT) | instid1(SALU_CYCLE_1)
	s_ashr_i32 s17, s16, 31
	s_lshl_b64 s[16:17], s[16:17], 3
	s_delay_alu instid0(SALU_CYCLE_1)
	v_add_co_u32 v10, vcc_lo, v1, s16
	v_add_co_ci_u32_e32 v11, vcc_lo, s17, v2, vcc_lo
	global_load_b64 v[10:11], v[10:11], off
	s_waitcnt vmcnt(0)
	ds_store_b64 v5, v[10:11] offset:4224
.LBB115_23:
	s_or_b32 exec_lo, exec_lo, s1
	v_add_nc_u32_e32 v6, 24, v7
	s_mov_b32 s1, exec_lo
	s_delay_alu instid0(VALU_DEP_1)
	v_cmpx_le_i32_e64 s8, v6
	s_xor_b32 s1, exec_lo, s1
	s_cbranch_execz .LBB115_25
; %bb.24:
	v_mov_b32_e32 v10, 0
	s_delay_alu instid0(VALU_DEP_1)
	v_mov_b32_e32 v11, v10
	ds_store_b64 v5, v[10:11] offset:6336
                                        ; implicit-def: $vgpr5
.LBB115_25:
	s_and_not1_saveexec_b32 s1, s1
	s_cbranch_execz .LBB115_27
; %bb.26:
	s_mul_i32 s16, s12, 24
	s_delay_alu instid0(SALU_CYCLE_1) | instskip(NEXT) | instid1(SALU_CYCLE_1)
	s_ashr_i32 s17, s16, 31
	s_lshl_b64 s[16:17], s[16:17], 3
	s_delay_alu instid0(SALU_CYCLE_1)
	v_add_co_u32 v10, vcc_lo, v1, s16
	v_add_co_ci_u32_e32 v11, vcc_lo, s17, v2, vcc_lo
	global_load_b64 v[10:11], v[10:11], off
	s_waitcnt vmcnt(0)
	ds_store_b64 v5, v[10:11] offset:6336
.LBB115_27:
	s_or_b32 exec_lo, exec_lo, s1
	v_add_co_u32 v1, vcc_lo, v1, v9
	v_add_co_ci_u32_e32 v2, vcc_lo, 0, v2, vcc_lo
	s_delay_alu instid0(VALU_DEP_2) | instskip(NEXT) | instid1(VALU_DEP_2)
	v_sub_co_u32 v1, vcc_lo, v1, s4
	v_subrev_co_ci_u32_e32 v2, vcc_lo, s5, v2, vcc_lo
	s_delay_alu instid0(VALU_DEP_2) | instskip(NEXT) | instid1(VALU_DEP_2)
	v_add_co_u32 v1, vcc_lo, v1, 8
	v_add_co_ci_u32_e32 v2, vcc_lo, 0, v2, vcc_lo
	s_delay_alu instid0(VALU_DEP_2) | instskip(NEXT) | instid1(VALU_DEP_2)
	v_cndmask_b32_e64 v1, v1, v3, s0
	v_cndmask_b32_e64 v2, v2, v4, s0
	s_branch .LBB115_30
.LBB115_28:
                                        ; implicit-def: $vgpr1_vgpr2
	s_and_b32 vcc_lo, exec_lo, s3
	s_cbranch_vccz .LBB115_30
; %bb.29:
	s_lshl_b32 s0, s12, 3
	s_ashr_i32 s13, s12, 31
	s_ashr_i32 s1, s0, 31
	v_add_lshl_u32 v20, v8, v0, 3
	s_lshl_b64 s[0:1], s[0:1], 3
	s_delay_alu instid0(SALU_CYCLE_1)
	v_add_co_u32 v1, vcc_lo, v3, s0
	v_add_co_ci_u32_e32 v2, vcc_lo, s1, v4, vcc_lo
	s_lshl_b64 s[0:1], s[12:13], 6
	s_delay_alu instid0(VALU_DEP_2) | instid1(SALU_CYCLE_1)
	v_add_co_u32 v5, vcc_lo, v1, s0
	s_delay_alu instid0(VALU_DEP_2) | instskip(NEXT) | instid1(VALU_DEP_2)
	v_add_co_ci_u32_e32 v6, vcc_lo, s1, v2, vcc_lo
	v_add_co_u32 v10, vcc_lo, v5, s0
	s_delay_alu instid0(VALU_DEP_2)
	v_add_co_ci_u32_e32 v11, vcc_lo, s1, v6, vcc_lo
	s_clause 0x1
	global_load_b64 v[16:17], v[3:4], off
	global_load_b64 v[18:19], v[1:2], off
	;; [unrolled: 1-line block ×4, first 2 shown]
	v_dual_mov_b32 v1, v3 :: v_dual_mov_b32 v2, v4
	s_waitcnt vmcnt(3)
	ds_store_b64 v20, v[16:17]
	s_waitcnt vmcnt(2)
	ds_store_b64 v20, v[18:19] offset:2112
	s_waitcnt vmcnt(1)
	ds_store_b64 v20, v[5:6] offset:4224
	;; [unrolled: 2-line block ×3, first 2 shown]
.LBB115_30:
	v_lshlrev_b32_e32 v3, 2, v7
	v_mul_u32_u24_e32 v10, 33, v0
	v_mul_u32_u24_e32 v4, 0x84, v7
	s_waitcnt lgkmcnt(0)
	s_barrier
	v_cmp_gt_u32_e64 s1, v3, v0
	v_add_lshl_u32 v16, v3, v10, 3
	buffer_gl0_inv
	s_and_saveexec_b32 s0, s1
	s_cbranch_execz .LBB115_32
; %bb.31:
	v_add_lshl_u32 v5, v4, v0, 3
	ds_load_b64 v[5:6], v5
	s_waitcnt lgkmcnt(0)
	ds_store_b64 v16, v[5:6]
.LBB115_32:
	s_or_b32 exec_lo, exec_lo, s0
	v_cmp_ge_u32_e64 s3, v3, v0
	s_delay_alu instid0(VALU_DEP_1)
	s_and_saveexec_b32 s0, s3
	s_cbranch_execz .LBB115_34
; %bb.33:
	v_or_b32_e32 v5, 1, v3
	s_delay_alu instid0(VALU_DEP_1) | instskip(NEXT) | instid1(VALU_DEP_1)
	v_mul_u32_u24_e32 v5, 33, v5
	v_add_lshl_u32 v5, v5, v0, 3
	ds_load_b64 v[5:6], v5
	s_waitcnt lgkmcnt(0)
	ds_store_b64 v16, v[5:6] offset:8
.LBB115_34:
	s_or_b32 exec_lo, exec_lo, s0
	v_or_b32_e32 v5, 2, v3
	s_delay_alu instid0(VALU_DEP_1) | instskip(NEXT) | instid1(VALU_DEP_1)
	v_cmp_gt_u32_e64 s4, v5, v0
	s_and_saveexec_b32 s0, s4
	s_cbranch_execz .LBB115_36
; %bb.35:
	v_mul_u32_u24_e32 v5, 33, v5
	s_delay_alu instid0(VALU_DEP_1)
	v_add_lshl_u32 v5, v5, v0, 3
	ds_load_b64 v[5:6], v5
	s_waitcnt lgkmcnt(0)
	ds_store_b64 v16, v[5:6] offset:16
.LBB115_36:
	s_or_b32 exec_lo, exec_lo, s0
	v_or_b32_e32 v5, 3, v3
	s_delay_alu instid0(VALU_DEP_1) | instskip(SKIP_1) | instid1(VALU_DEP_2)
	v_mad_u32_u24 v6, v5, 33, v0
	v_cmp_gt_u32_e64 s5, v5, v0
	v_lshlrev_b32_e32 v18, 3, v6
	s_delay_alu instid0(VALU_DEP_2)
	s_and_saveexec_b32 s0, s5
	s_cbranch_execz .LBB115_38
; %bb.37:
	ds_load_b64 v[5:6], v18
	s_waitcnt lgkmcnt(0)
	ds_store_b64 v16, v[5:6] offset:24
.LBB115_38:
	s_or_b32 exec_lo, exec_lo, s0
	v_add_lshl_u32 v11, v4, v0, 3
	v_lshlrev_b32_e32 v17, 3, v3
	v_add_nc_u32_e32 v19, 0xfffffdf0, v18
	s_waitcnt lgkmcnt(0)
	s_barrier
	buffer_gl0_inv
	ds_load_b64 v[20:21], v11
	ds_load_b128 v[3:6], v17 offset:9088
	ds_load_2addr_b64 v[26:29], v19 offset1:33
	ds_load_b128 v[30:33], v17 offset:9104
	ds_load_b64 v[34:35], v18
	v_cmp_gt_u32_e64 s0, 32, v22
	s_waitcnt lgkmcnt(0)
	s_barrier
	buffer_gl0_inv
	v_mul_f32_e32 v23, v4, v21
	v_dual_mul_f32 v21, v3, v21 :: v_dual_mul_f32 v36, v6, v27
	v_mul_f32_e32 v27, v5, v27
	s_delay_alu instid0(VALU_DEP_2) | instskip(NEXT) | instid1(VALU_DEP_4)
	v_dual_fmac_f32 v21, v4, v20 :: v_dual_mul_f32 v4, v33, v35
	v_fma_f32 v3, v3, v20, -v23
	v_dual_mul_f32 v20, v32, v35 :: v_dual_mul_f32 v37, v31, v29
	v_fma_f32 v5, v5, v26, -v36
	v_fmac_f32_e32 v27, v6, v26
	s_delay_alu instid0(VALU_DEP_3) | instskip(SKIP_3) | instid1(VALU_DEP_4)
	v_dual_add_f32 v3, 0, v3 :: v_dual_fmac_f32 v20, v33, v34
	v_mul_f32_e32 v29, v30, v29
	v_add_f32_e32 v6, 0, v21
	v_fma_f32 v21, v30, v28, -v37
	v_add_f32_e32 v3, v3, v5
	v_fma_f32 v4, v32, v34, -v4
	v_fmac_f32_e32 v29, v31, v28
	v_add_f32_e32 v5, v6, v27
	v_add_lshl_u32 v28, v7, v10, 3
	v_dual_add_f32 v3, v3, v21 :: v_dual_mov_b32 v26, 0
	v_lshlrev_b32_e32 v23, 3, v10
	s_delay_alu instid0(VALU_DEP_4) | instskip(SKIP_1) | instid1(VALU_DEP_4)
	v_add_f32_e32 v5, v5, v29
	v_mov_b32_e32 v27, 0
	v_add_f32_e32 v3, v3, v4
	s_delay_alu instid0(VALU_DEP_3)
	v_add_f32_e32 v4, v5, v20
	ds_store_b64 v28, v[3:4]
	s_waitcnt lgkmcnt(0)
	s_barrier
	buffer_gl0_inv
	s_and_saveexec_b32 s6, s0
	s_cbranch_execz .LBB115_40
; %bb.39:
	ds_load_2addr_b64 v[3:6], v23 offset1:7
	ds_load_2addr_b64 v[29:32], v23 offset0:1 offset1:2
	ds_load_2addr_b64 v[33:36], v23 offset0:3 offset1:4
	;; [unrolled: 1-line block ×3, first 2 shown]
	s_waitcnt lgkmcnt(2)
	v_dual_add_f32 v3, v29, v3 :: v_dual_add_f32 v4, v30, v4
	s_delay_alu instid0(VALU_DEP_1) | instskip(SKIP_1) | instid1(VALU_DEP_1)
	v_dual_add_f32 v3, v3, v31 :: v_dual_add_f32 v4, v4, v32
	s_waitcnt lgkmcnt(1)
	v_dual_add_f32 v3, v3, v33 :: v_dual_add_f32 v4, v4, v34
	s_delay_alu instid0(VALU_DEP_1) | instskip(SKIP_1) | instid1(VALU_DEP_1)
	v_dual_add_f32 v3, v3, v35 :: v_dual_add_f32 v4, v4, v36
	s_waitcnt lgkmcnt(0)
	v_dual_add_f32 v3, v3, v37 :: v_dual_add_f32 v4, v4, v38
	s_delay_alu instid0(VALU_DEP_1) | instskip(NEXT) | instid1(VALU_DEP_1)
	v_dual_add_f32 v3, v3, v39 :: v_dual_add_f32 v4, v4, v40
	v_dual_add_f32 v26, v3, v5 :: v_dual_add_f32 v27, v4, v6
.LBB115_40:
	s_or_b32 exec_lo, exec_lo, s6
	s_lshl_b32 s16, s12, 5
	s_delay_alu instid0(SALU_CYCLE_1)
	s_ashr_i32 s17, s16, 31
	s_barrier
	s_lshl_b64 s[20:21], s[16:17], 3
	buffer_gl0_inv
	v_add_co_u32 v5, vcc_lo, v1, s20
	v_add_co_ci_u32_e32 v6, vcc_lo, s21, v2, vcc_lo
	s_delay_alu instid0(VALU_DEP_2) | instskip(NEXT) | instid1(VALU_DEP_2)
	v_add_co_u32 v3, vcc_lo, 0x100, v5
	v_add_co_ci_u32_e32 v4, vcc_lo, 0, v6, vcc_lo
	s_and_b32 vcc_lo, exec_lo, s19
	s_cbranch_vccz .LBB115_58
; %bb.41:
	s_delay_alu instid0(VALU_DEP_2)
	v_sub_co_u32 v1, vcc_lo, v3, v9
	s_ashr_i32 s9, s8, 31
	v_subrev_co_ci_u32_e32 v2, vcc_lo, 0, v4, vcc_lo
	s_lshl_b64 s[22:23], s[8:9], 3
	v_or_b32_e32 v20, 32, v0
	v_add_co_u32 v1, vcc_lo, v1, s22
	s_delay_alu instid0(VALU_DEP_3) | instskip(SKIP_1) | instid1(VALU_DEP_2)
	v_add_co_ci_u32_e32 v2, vcc_lo, s23, v2, vcc_lo
	s_sub_i32 s9, s8, 32
	v_add_co_u32 v1, vcc_lo, 0xfffffef8, v1
	s_delay_alu instid0(VALU_DEP_2) | instskip(SKIP_3) | instid1(VALU_DEP_4)
	v_add_co_ci_u32_e32 v2, vcc_lo, -1, v2, vcc_lo
	v_cmp_gt_i32_e32 vcc_lo, s8, v20
	v_cmp_le_i32_e64 s6, s9, v7
	v_add_lshl_u32 v20, v8, v0, 3
	v_dual_cndmask_b32 v2, v2, v4 :: v_dual_cndmask_b32 v1, v1, v3
	s_delay_alu instid0(VALU_DEP_3) | instskip(NEXT) | instid1(SALU_CYCLE_1)
	s_and_saveexec_b32 s13, s6
	s_xor_b32 s6, exec_lo, s13
	s_cbranch_execz .LBB115_43
; %bb.42:
	v_mov_b32_e32 v29, 0
	s_delay_alu instid0(VALU_DEP_1)
	v_mov_b32_e32 v30, v29
	ds_store_b64 v20, v[29:30]
.LBB115_43:
	s_and_not1_saveexec_b32 s6, s6
	s_cbranch_execz .LBB115_45
; %bb.44:
	global_load_b64 v[29:30], v[1:2], off
	s_waitcnt vmcnt(0)
	ds_store_b64 v20, v[29:30]
.LBB115_45:
	s_or_b32 exec_lo, exec_lo, s6
	v_add_nc_u32_e32 v21, 8, v7
	s_delay_alu instid0(VALU_DEP_1) | instskip(NEXT) | instid1(VALU_DEP_1)
	v_cmp_le_i32_e64 s6, s9, v21
	s_and_saveexec_b32 s13, s6
	s_delay_alu instid0(SALU_CYCLE_1)
	s_xor_b32 s6, exec_lo, s13
	s_cbranch_execz .LBB115_47
; %bb.46:
	v_mul_u32_u24_e32 v21, 33, v21
	v_mov_b32_e32 v29, 0
	s_delay_alu instid0(VALU_DEP_2) | instskip(NEXT) | instid1(VALU_DEP_2)
	v_add_lshl_u32 v21, v21, v0, 3
	v_mov_b32_e32 v30, v29
	ds_store_b64 v21, v[29:30]
.LBB115_47:
	s_and_not1_saveexec_b32 s13, s6
	s_cbranch_execz .LBB115_49
; %bb.48:
	s_lshl_b32 s26, s12, 3
	s_delay_alu instid0(SALU_CYCLE_1) | instskip(NEXT) | instid1(SALU_CYCLE_1)
	s_ashr_i32 s27, s26, 31
	s_lshl_b64 s[26:27], s[26:27], 3
	s_delay_alu instid0(SALU_CYCLE_1) | instskip(NEXT) | instid1(VALU_DEP_1)
	v_add_co_u32 v29, s6, v1, s26
	v_add_co_ci_u32_e64 v30, s6, s27, v2, s6
	global_load_b64 v[29:30], v[29:30], off
	s_waitcnt vmcnt(0)
	ds_store_b64 v20, v[29:30] offset:2112
.LBB115_49:
	s_or_b32 exec_lo, exec_lo, s13
	v_add_nc_u32_e32 v21, 16, v7
	s_delay_alu instid0(VALU_DEP_1) | instskip(NEXT) | instid1(VALU_DEP_1)
	v_cmp_le_i32_e64 s6, s9, v21
	s_and_saveexec_b32 s13, s6
	s_delay_alu instid0(SALU_CYCLE_1)
	s_xor_b32 s6, exec_lo, s13
	s_cbranch_execz .LBB115_51
; %bb.50:
	v_mul_u32_u24_e32 v21, 33, v21
	v_mov_b32_e32 v29, 0
	s_delay_alu instid0(VALU_DEP_2) | instskip(NEXT) | instid1(VALU_DEP_2)
	v_add_lshl_u32 v21, v21, v0, 3
	v_mov_b32_e32 v30, v29
	ds_store_b64 v21, v[29:30]
.LBB115_51:
	s_and_not1_saveexec_b32 s13, s6
	s_cbranch_execz .LBB115_53
; %bb.52:
	s_lshl_b32 s26, s12, 4
	s_delay_alu instid0(SALU_CYCLE_1) | instskip(NEXT) | instid1(SALU_CYCLE_1)
	s_ashr_i32 s27, s26, 31
	s_lshl_b64 s[26:27], s[26:27], 3
	s_delay_alu instid0(SALU_CYCLE_1) | instskip(NEXT) | instid1(VALU_DEP_1)
	v_add_co_u32 v29, s6, v1, s26
	v_add_co_ci_u32_e64 v30, s6, s27, v2, s6
	global_load_b64 v[29:30], v[29:30], off
	s_waitcnt vmcnt(0)
	ds_store_b64 v20, v[29:30] offset:4224
.LBB115_53:
	s_or_b32 exec_lo, exec_lo, s13
	v_add_nc_u32_e32 v21, 24, v7
	s_delay_alu instid0(VALU_DEP_1) | instskip(NEXT) | instid1(VALU_DEP_1)
	v_cmp_le_i32_e64 s6, s9, v21
	s_and_saveexec_b32 s9, s6
	s_delay_alu instid0(SALU_CYCLE_1)
	s_xor_b32 s6, exec_lo, s9
	s_cbranch_execz .LBB115_55
; %bb.54:
	v_mov_b32_e32 v29, 0
	s_delay_alu instid0(VALU_DEP_1)
	v_mov_b32_e32 v30, v29
	ds_store_b64 v20, v[29:30] offset:6336
                                        ; implicit-def: $vgpr20
.LBB115_55:
	s_and_not1_saveexec_b32 s9, s6
	s_cbranch_execz .LBB115_57
; %bb.56:
	s_mul_i32 s26, s12, 24
	s_delay_alu instid0(SALU_CYCLE_1) | instskip(NEXT) | instid1(SALU_CYCLE_1)
	s_ashr_i32 s27, s26, 31
	s_lshl_b64 s[26:27], s[26:27], 3
	s_delay_alu instid0(SALU_CYCLE_1) | instskip(NEXT) | instid1(VALU_DEP_1)
	v_add_co_u32 v29, s6, v1, s26
	v_add_co_ci_u32_e64 v30, s6, s27, v2, s6
	global_load_b64 v[29:30], v[29:30], off
	s_waitcnt vmcnt(0)
	ds_store_b64 v20, v[29:30] offset:6336
.LBB115_57:
	s_or_b32 exec_lo, exec_lo, s9
	v_add_co_u32 v1, s6, v1, v9
	s_delay_alu instid0(VALU_DEP_1) | instskip(NEXT) | instid1(VALU_DEP_2)
	v_add_co_ci_u32_e64 v2, s6, 0, v2, s6
	v_sub_co_u32 v1, s6, v1, s22
	s_delay_alu instid0(VALU_DEP_1) | instskip(NEXT) | instid1(VALU_DEP_2)
	v_subrev_co_ci_u32_e64 v2, s6, s23, v2, s6
	v_add_co_u32 v1, s6, 0x108, v1
	s_delay_alu instid0(VALU_DEP_1) | instskip(NEXT) | instid1(VALU_DEP_1)
	v_add_co_ci_u32_e64 v2, s6, 0, v2, s6
	v_dual_cndmask_b32 v1, v1, v3 :: v_dual_cndmask_b32 v2, v2, v4
	s_branch .LBB115_60
.LBB115_58:
                                        ; implicit-def: $vgpr1_vgpr2
	s_cbranch_execz .LBB115_60
; %bb.59:
	s_lshl_b32 s22, s12, 3
	s_ashr_i32 s13, s12, 31
	s_ashr_i32 s23, s22, 31
	v_add_lshl_u32 v33, v8, v0, 3
	s_lshl_b64 s[22:23], s[22:23], 3
	s_delay_alu instid0(SALU_CYCLE_1)
	v_add_co_u32 v1, vcc_lo, v5, s22
	v_add_co_ci_u32_e32 v2, vcc_lo, s23, v6, vcc_lo
	s_lshl_b64 s[22:23], s[12:13], 6
	s_delay_alu instid0(VALU_DEP_2) | instid1(SALU_CYCLE_1)
	v_add_co_u32 v20, vcc_lo, v1, s22
	s_delay_alu instid0(VALU_DEP_2) | instskip(NEXT) | instid1(VALU_DEP_2)
	v_add_co_ci_u32_e32 v21, vcc_lo, s23, v2, vcc_lo
	v_add_co_u32 v29, vcc_lo, v20, s22
	s_delay_alu instid0(VALU_DEP_2)
	v_add_co_ci_u32_e32 v30, vcc_lo, s23, v21, vcc_lo
	s_clause 0x3
	global_load_b64 v[5:6], v[5:6], off offset:256
	global_load_b64 v[31:32], v[1:2], off offset:256
	;; [unrolled: 1-line block ×4, first 2 shown]
	v_dual_mov_b32 v1, v3 :: v_dual_mov_b32 v2, v4
	s_waitcnt vmcnt(3)
	ds_store_b64 v33, v[5:6]
	s_waitcnt vmcnt(2)
	ds_store_b64 v33, v[31:32] offset:2112
	s_waitcnt vmcnt(1)
	ds_store_b64 v33, v[20:21] offset:4224
	;; [unrolled: 2-line block ×3, first 2 shown]
.LBB115_60:
	s_waitcnt lgkmcnt(0)
	s_barrier
	buffer_gl0_inv
	s_and_saveexec_b32 s6, s1
	s_cbranch_execnz .LBB115_85
; %bb.61:
	s_or_b32 exec_lo, exec_lo, s6
	s_and_saveexec_b32 s1, s3
	s_cbranch_execnz .LBB115_86
.LBB115_62:
	s_or_b32 exec_lo, exec_lo, s1
	s_and_saveexec_b32 s1, s4
	s_cbranch_execnz .LBB115_87
.LBB115_63:
	s_or_b32 exec_lo, exec_lo, s1
	v_add_nc_u32_e32 v29, 0x2380, v17
	s_and_saveexec_b32 s1, s5
	s_cbranch_execz .LBB115_65
.LBB115_64:
	ds_load_b64 v[3:4], v18
	s_waitcnt lgkmcnt(0)
	ds_store_b64 v16, v[3:4] offset:24
.LBB115_65:
	s_or_b32 exec_lo, exec_lo, s1
	s_waitcnt lgkmcnt(0)
	s_barrier
	buffer_gl0_inv
	ds_load_b64 v[16:17], v11
	ds_load_b128 v[3:6], v29 offset:256
	ds_load_2addr_b64 v[30:33], v19 offset1:33
	ds_load_b128 v[34:37], v29 offset:272
	ds_load_b64 v[20:21], v18
	v_cmp_eq_u32_e64 s1, 1, v7
	s_waitcnt lgkmcnt(0)
	s_barrier
	buffer_gl0_inv
	v_dual_mul_f32 v38, v4, v17 :: v_dual_mul_f32 v39, v6, v31
	v_mul_f32_e32 v17, v3, v17
	v_dual_mul_f32 v31, v5, v31 :: v_dual_mul_f32 v40, v35, v33
	s_delay_alu instid0(VALU_DEP_3) | instskip(NEXT) | instid1(VALU_DEP_4)
	v_fma_f32 v3, v3, v16, -v38
	v_fma_f32 v5, v5, v30, -v39
	s_delay_alu instid0(VALU_DEP_4) | instskip(NEXT) | instid1(VALU_DEP_3)
	v_dual_fmac_f32 v17, v4, v16 :: v_dual_mul_f32 v4, v37, v21
	v_dual_mul_f32 v16, v36, v21 :: v_dual_add_f32 v3, 0, v3
	s_delay_alu instid0(VALU_DEP_2) | instskip(SKIP_1) | instid1(VALU_DEP_3)
	v_dual_fmac_f32 v31, v6, v30 :: v_dual_add_f32 v6, 0, v17
	v_fma_f32 v17, v34, v32, -v40
	v_dual_fmac_f32 v16, v37, v20 :: v_dual_mul_f32 v33, v34, v33
	s_delay_alu instid0(VALU_DEP_4) | instskip(NEXT) | instid1(VALU_DEP_4)
	v_add_f32_e32 v3, v3, v5
	v_add_f32_e32 v5, v6, v31
	v_fma_f32 v4, v36, v20, -v4
	s_delay_alu instid0(VALU_DEP_4) | instskip(NEXT) | instid1(VALU_DEP_4)
	v_fmac_f32_e32 v33, v35, v32
	v_add_f32_e32 v3, v3, v17
	s_delay_alu instid0(VALU_DEP_2) | instskip(NEXT) | instid1(VALU_DEP_2)
	v_add_f32_e32 v5, v5, v33
	v_add_f32_e32 v3, v3, v4
	s_delay_alu instid0(VALU_DEP_2)
	v_add_f32_e32 v4, v5, v16
	ds_store_b64 v28, v[3:4]
	s_waitcnt lgkmcnt(0)
	s_barrier
	buffer_gl0_inv
	s_and_saveexec_b32 s3, s1
	s_cbranch_execz .LBB115_67
; %bb.66:
	ds_load_2addr_b64 v[3:6], v23 offset1:7
	ds_load_2addr_b64 v[30:33], v23 offset0:1 offset1:2
	ds_load_2addr_b64 v[34:37], v23 offset0:3 offset1:4
	;; [unrolled: 1-line block ×3, first 2 shown]
	s_waitcnt lgkmcnt(2)
	v_dual_add_f32 v3, v30, v3 :: v_dual_add_f32 v4, v31, v4
	s_delay_alu instid0(VALU_DEP_1) | instskip(SKIP_1) | instid1(VALU_DEP_1)
	v_dual_add_f32 v3, v3, v32 :: v_dual_add_f32 v4, v4, v33
	s_waitcnt lgkmcnt(1)
	v_dual_add_f32 v3, v3, v34 :: v_dual_add_f32 v4, v4, v35
	s_delay_alu instid0(VALU_DEP_1) | instskip(SKIP_1) | instid1(VALU_DEP_1)
	v_dual_add_f32 v3, v3, v36 :: v_dual_add_f32 v4, v4, v37
	s_waitcnt lgkmcnt(0)
	v_dual_add_f32 v3, v3, v38 :: v_dual_add_f32 v4, v4, v39
	s_delay_alu instid0(VALU_DEP_1) | instskip(NEXT) | instid1(VALU_DEP_1)
	v_dual_add_f32 v3, v3, v40 :: v_dual_add_f32 v4, v4, v41
	v_dual_add_f32 v26, v3, v5 :: v_dual_add_f32 v27, v4, v6
.LBB115_67:
	s_or_b32 exec_lo, exec_lo, s3
	v_add_co_u32 v3, vcc_lo, 0xffffff00, v1
	v_add_co_ci_u32_e32 v4, vcc_lo, -1, v2, vcc_lo
	s_and_b32 vcc_lo, exec_lo, s19
	s_barrier
	buffer_gl0_inv
	s_cbranch_vccz .LBB115_88
; %bb.68:
	v_sub_co_u32 v5, vcc_lo, v1, v9
	s_ashr_i32 s9, s8, 31
	v_subrev_co_ci_u32_e32 v6, vcc_lo, 0, v2, vcc_lo
	s_lshl_b64 s[4:5], s[8:9], 3
	s_sub_i32 s6, s8, 32
	v_add_co_u32 v5, vcc_lo, v5, s4
	s_delay_alu instid0(VALU_DEP_2) | instskip(SKIP_1) | instid1(VALU_DEP_3)
	v_add_co_ci_u32_e32 v6, vcc_lo, s5, v6, vcc_lo
	v_cmp_le_i32_e64 s3, s6, v7
	v_add_co_u32 v5, vcc_lo, 0xfffffef8, v5
	s_delay_alu instid0(VALU_DEP_3) | instskip(SKIP_2) | instid1(VALU_DEP_3)
	v_add_co_ci_u32_e32 v6, vcc_lo, -1, v6, vcc_lo
	v_cmp_gt_i32_e32 vcc_lo, s8, v0
	v_add_lshl_u32 v16, v8, v0, 3
	v_dual_cndmask_b32 v6, v6, v4 :: v_dual_cndmask_b32 v5, v5, v3
	s_and_saveexec_b32 s9, s3
	s_delay_alu instid0(SALU_CYCLE_1)
	s_xor_b32 s3, exec_lo, s9
	s_cbranch_execz .LBB115_70
; %bb.69:
	v_mov_b32_e32 v20, 0
	s_delay_alu instid0(VALU_DEP_1)
	v_mov_b32_e32 v21, v20
	ds_store_b64 v16, v[20:21]
.LBB115_70:
	s_and_not1_saveexec_b32 s3, s3
	s_cbranch_execz .LBB115_72
; %bb.71:
	global_load_b64 v[20:21], v[5:6], off
	s_waitcnt vmcnt(0)
	ds_store_b64 v16, v[20:21]
.LBB115_72:
	s_or_b32 exec_lo, exec_lo, s3
	v_add_nc_u32_e32 v20, 8, v7
	s_delay_alu instid0(VALU_DEP_1) | instskip(NEXT) | instid1(VALU_DEP_1)
	v_cmp_le_i32_e64 s3, s6, v20
	s_and_saveexec_b32 s9, s3
	s_delay_alu instid0(SALU_CYCLE_1)
	s_xor_b32 s3, exec_lo, s9
	s_cbranch_execz .LBB115_74
; %bb.73:
	v_mul_u32_u24_e32 v17, 33, v20
	v_mov_b32_e32 v30, 0
	s_delay_alu instid0(VALU_DEP_2) | instskip(NEXT) | instid1(VALU_DEP_2)
	v_add_lshl_u32 v17, v17, v0, 3
	v_mov_b32_e32 v31, v30
	ds_store_b64 v17, v[30:31]
.LBB115_74:
	s_and_not1_saveexec_b32 s9, s3
	s_cbranch_execz .LBB115_76
; %bb.75:
	s_lshl_b32 s22, s12, 3
	s_delay_alu instid0(SALU_CYCLE_1) | instskip(NEXT) | instid1(SALU_CYCLE_1)
	s_ashr_i32 s23, s22, 31
	s_lshl_b64 s[22:23], s[22:23], 3
	s_delay_alu instid0(SALU_CYCLE_1) | instskip(NEXT) | instid1(VALU_DEP_1)
	v_add_co_u32 v30, s3, v5, s22
	v_add_co_ci_u32_e64 v31, s3, s23, v6, s3
	global_load_b64 v[30:31], v[30:31], off
	s_waitcnt vmcnt(0)
	ds_store_b64 v16, v[30:31] offset:2112
.LBB115_76:
	s_or_b32 exec_lo, exec_lo, s9
	v_add_nc_u32_e32 v21, 16, v7
	s_delay_alu instid0(VALU_DEP_1) | instskip(NEXT) | instid1(VALU_DEP_1)
	v_cmp_le_i32_e64 s3, s6, v21
	s_and_saveexec_b32 s9, s3
	s_delay_alu instid0(SALU_CYCLE_1)
	s_xor_b32 s3, exec_lo, s9
	s_cbranch_execz .LBB115_78
; %bb.77:
	v_mul_u32_u24_e32 v17, 33, v21
	v_mov_b32_e32 v30, 0
	s_delay_alu instid0(VALU_DEP_2) | instskip(NEXT) | instid1(VALU_DEP_2)
	v_add_lshl_u32 v17, v17, v0, 3
	v_mov_b32_e32 v31, v30
	ds_store_b64 v17, v[30:31]
.LBB115_78:
	s_and_not1_saveexec_b32 s9, s3
	s_cbranch_execz .LBB115_80
; %bb.79:
	s_lshl_b32 s22, s12, 4
	s_delay_alu instid0(SALU_CYCLE_1) | instskip(NEXT) | instid1(SALU_CYCLE_1)
	s_ashr_i32 s23, s22, 31
	s_lshl_b64 s[22:23], s[22:23], 3
	s_delay_alu instid0(SALU_CYCLE_1) | instskip(NEXT) | instid1(VALU_DEP_1)
	v_add_co_u32 v30, s3, v5, s22
	v_add_co_ci_u32_e64 v31, s3, s23, v6, s3
	global_load_b64 v[30:31], v[30:31], off
	s_waitcnt vmcnt(0)
	ds_store_b64 v16, v[30:31] offset:4224
.LBB115_80:
	s_or_b32 exec_lo, exec_lo, s9
	v_add_nc_u32_e32 v30, 24, v7
	s_delay_alu instid0(VALU_DEP_1) | instskip(NEXT) | instid1(VALU_DEP_1)
	v_cmp_le_i32_e64 s3, s6, v30
	s_and_saveexec_b32 s6, s3
	s_delay_alu instid0(SALU_CYCLE_1)
	s_xor_b32 s3, exec_lo, s6
	s_cbranch_execz .LBB115_82
; %bb.81:
	v_mov_b32_e32 v31, 0
	s_delay_alu instid0(VALU_DEP_1)
	v_mov_b32_e32 v32, v31
	ds_store_b64 v16, v[31:32] offset:6336
                                        ; implicit-def: $vgpr16
.LBB115_82:
	s_and_not1_saveexec_b32 s6, s3
	s_cbranch_execz .LBB115_84
; %bb.83:
	s_mul_i32 s22, s12, 24
	s_delay_alu instid0(SALU_CYCLE_1) | instskip(NEXT) | instid1(SALU_CYCLE_1)
	s_ashr_i32 s23, s22, 31
	s_lshl_b64 s[22:23], s[22:23], 3
	s_delay_alu instid0(SALU_CYCLE_1) | instskip(NEXT) | instid1(VALU_DEP_1)
	v_add_co_u32 v31, s3, v5, s22
	v_add_co_ci_u32_e64 v32, s3, s23, v6, s3
	global_load_b64 v[31:32], v[31:32], off
	s_waitcnt vmcnt(0)
	ds_store_b64 v16, v[31:32] offset:6336
.LBB115_84:
	s_or_b32 exec_lo, exec_lo, s6
	v_add_co_u32 v5, s3, v5, v9
	s_delay_alu instid0(VALU_DEP_1) | instskip(NEXT) | instid1(VALU_DEP_2)
	v_add_co_ci_u32_e64 v6, s3, 0, v6, s3
	v_sub_co_u32 v5, s3, v5, s4
	s_delay_alu instid0(VALU_DEP_1) | instskip(NEXT) | instid1(VALU_DEP_2)
	v_subrev_co_ci_u32_e64 v6, s3, s5, v6, s3
	v_add_co_u32 v5, s3, v5, 8
	s_delay_alu instid0(VALU_DEP_1) | instskip(NEXT) | instid1(VALU_DEP_1)
	v_add_co_ci_u32_e64 v6, s3, 0, v6, s3
	v_dual_cndmask_b32 v16, v5, v3 :: v_dual_cndmask_b32 v17, v6, v4
	s_branch .LBB115_90
.LBB115_85:
	ds_load_b64 v[3:4], v11
	s_waitcnt lgkmcnt(0)
	ds_store_b64 v16, v[3:4]
	s_or_b32 exec_lo, exec_lo, s6
	s_and_saveexec_b32 s1, s3
	s_cbranch_execz .LBB115_62
.LBB115_86:
	ds_load_b64 v[3:4], v19
	s_waitcnt lgkmcnt(0)
	ds_store_b64 v16, v[3:4] offset:8
	s_or_b32 exec_lo, exec_lo, s1
	s_and_saveexec_b32 s1, s4
	s_cbranch_execz .LBB115_63
.LBB115_87:
	ds_load_b64 v[3:4], v19 offset:264
	s_waitcnt lgkmcnt(0)
	ds_store_b64 v16, v[3:4] offset:16
	s_or_b32 exec_lo, exec_lo, s1
	v_add_nc_u32_e32 v29, 0x2380, v17
	s_and_saveexec_b32 s1, s5
	s_cbranch_execnz .LBB115_64
	s_branch .LBB115_65
.LBB115_88:
                                        ; implicit-def: $vgpr16_vgpr17
                                        ; implicit-def: $vgpr20
                                        ; implicit-def: $vgpr21
                                        ; implicit-def: $vgpr30
	s_cbranch_execz .LBB115_90
; %bb.89:
	s_lshl_b32 s4, s12, 3
	s_ashr_i32 s13, s12, 31
	s_ashr_i32 s5, s4, 31
	v_add_lshl_u32 v0, v8, v0, 3
	s_lshl_b64 s[4:5], s[4:5], 3
	v_add_nc_u32_e32 v30, 24, v7
	v_add_co_u32 v5, vcc_lo, v1, s4
	v_add_co_ci_u32_e32 v6, vcc_lo, s5, v2, vcc_lo
	s_lshl_b64 s[4:5], s[12:13], 6
	s_delay_alu instid0(VALU_DEP_2) | instid1(SALU_CYCLE_1)
	v_add_co_u32 v16, vcc_lo, v5, s4
	s_delay_alu instid0(VALU_DEP_2) | instskip(NEXT) | instid1(VALU_DEP_2)
	v_add_co_ci_u32_e32 v17, vcc_lo, s5, v6, vcc_lo
	v_add_co_u32 v20, vcc_lo, v16, s4
	s_delay_alu instid0(VALU_DEP_2)
	v_add_co_ci_u32_e32 v21, vcc_lo, s5, v17, vcc_lo
	s_clause 0x3
	global_load_b64 v[1:2], v[1:2], off offset:-256
	global_load_b64 v[5:6], v[5:6], off offset:-256
	;; [unrolled: 1-line block ×4, first 2 shown]
	v_dual_mov_b32 v17, v4 :: v_dual_add_nc_u32 v20, 8, v7
	v_dual_mov_b32 v16, v3 :: v_dual_add_nc_u32 v21, 16, v7
	s_waitcnt vmcnt(3)
	ds_store_b64 v0, v[1:2]
	s_waitcnt vmcnt(2)
	ds_store_b64 v0, v[5:6] offset:2112
	s_waitcnt vmcnt(1)
	ds_store_b64 v0, v[31:32] offset:4224
	;; [unrolled: 2-line block ×3, first 2 shown]
.LBB115_90:
	s_waitcnt lgkmcnt(0)
	s_barrier
	buffer_gl0_inv
	ds_load_b64 v[31:32], v28
	v_lshlrev_b32_e32 v0, 3, v7
	v_add_lshl_u32 v1, v20, v10, 3
	v_lshlrev_b32_e32 v2, 3, v20
	v_add_lshl_u32 v3, v21, v10, 3
	;; [unrolled: 2-line block ×3, first 2 shown]
	v_lshlrev_b32_e32 v6, 3, v30
	ds_load_b64 v[33:34], v0 offset:9088
	ds_load_b64 v[35:36], v1
	ds_load_b64 v[37:38], v2 offset:9088
	ds_load_b64 v[39:40], v3
	;; [unrolled: 2-line block ×4, first 2 shown]
	ds_load_b128 v[8:11], v29 offset:256
	ds_load_b128 v[0:3], v29 offset:272
	ds_load_2addr_b64 v[4:7], v19 offset1:33
	ds_load_b64 v[18:19], v18
	s_waitcnt lgkmcnt(0)
	s_barrier
	buffer_gl0_inv
	v_mul_f32_e32 v29, v34, v32
	v_mul_f32_e32 v32, v33, v32
	;; [unrolled: 1-line block ×3, first 2 shown]
	s_delay_alu instid0(VALU_DEP_3) | instskip(NEXT) | instid1(VALU_DEP_3)
	v_fma_f32 v29, v33, v31, -v29
	v_dual_fmac_f32 v32, v34, v31 :: v_dual_mul_f32 v33, v45, v44
	s_delay_alu instid0(VALU_DEP_3) | instskip(NEXT) | instid1(VALU_DEP_3)
	v_fma_f32 v34, v41, v39, -v47
	v_dual_mul_f32 v30, v38, v36 :: v_dual_add_f32 v29, 0, v29
	s_delay_alu instid0(VALU_DEP_3) | instskip(SKIP_1) | instid1(VALU_DEP_3)
	v_dual_mul_f32 v36, v37, v36 :: v_dual_fmac_f32 v33, v46, v43
	v_mul_f32_e32 v31, v41, v40
	v_fma_f32 v30, v37, v35, -v30
	v_mul_f32_e32 v48, v46, v44
	s_delay_alu instid0(VALU_DEP_3) | instskip(NEXT) | instid1(VALU_DEP_3)
	v_dual_add_f32 v32, 0, v32 :: v_dual_fmac_f32 v31, v42, v39
	v_add_f32_e32 v29, v29, v30
	s_delay_alu instid0(VALU_DEP_1) | instskip(NEXT) | instid1(VALU_DEP_1)
	v_dual_add_f32 v29, v29, v34 :: v_dual_fmac_f32 v36, v38, v35
	v_add_f32_e32 v30, v32, v36
	v_fma_f32 v32, v45, v43, -v48
	s_delay_alu instid0(VALU_DEP_1) | instskip(NEXT) | instid1(VALU_DEP_1)
	v_dual_add_f32 v30, v30, v31 :: v_dual_add_f32 v29, v29, v32
	v_add_f32_e32 v30, v30, v33
	ds_store_b64 v28, v[29:30]
	s_waitcnt lgkmcnt(0)
	s_barrier
	buffer_gl0_inv
	s_and_saveexec_b32 s3, s1
	s_cbranch_execz .LBB115_92
; %bb.91:
	ds_load_2addr_b64 v[29:32], v23 offset1:1
	ds_load_2addr_b64 v[33:36], v23 offset0:2 offset1:3
	ds_load_2addr_b64 v[37:40], v23 offset0:4 offset1:5
	s_waitcnt lgkmcnt(2)
	v_dual_add_f32 v26, v26, v29 :: v_dual_add_f32 v27, v27, v30
	s_delay_alu instid0(VALU_DEP_1) | instskip(SKIP_3) | instid1(VALU_DEP_1)
	v_dual_add_f32 v26, v26, v31 :: v_dual_add_f32 v27, v27, v32
	ds_load_2addr_b64 v[29:32], v23 offset0:6 offset1:7
	s_waitcnt lgkmcnt(2)
	v_dual_add_f32 v26, v26, v33 :: v_dual_add_f32 v27, v27, v34
	v_dual_add_f32 v26, v26, v35 :: v_dual_add_f32 v27, v27, v36
	s_waitcnt lgkmcnt(1)
	s_delay_alu instid0(VALU_DEP_1) | instskip(NEXT) | instid1(VALU_DEP_1)
	v_dual_add_f32 v26, v26, v37 :: v_dual_add_f32 v27, v27, v38
	v_dual_add_f32 v26, v26, v39 :: v_dual_add_f32 v27, v27, v40
	s_waitcnt lgkmcnt(0)
	s_delay_alu instid0(VALU_DEP_1) | instskip(NEXT) | instid1(VALU_DEP_1)
	v_dual_add_f32 v26, v26, v29 :: v_dual_add_f32 v27, v27, v30
	v_dual_add_f32 v26, v26, v31 :: v_dual_add_f32 v27, v27, v32
.LBB115_92:
	s_or_b32 exec_lo, exec_lo, s3
	v_mul_f32_e32 v29, v9, v21
	v_mul_f32_e32 v21, v8, v21
	v_dual_mul_f32 v30, v11, v5 :: v_dual_mul_f32 v31, v1, v7
	s_delay_alu instid0(VALU_DEP_3) | instskip(NEXT) | instid1(VALU_DEP_3)
	v_fma_f32 v8, v8, v20, -v29
	v_fmac_f32_e32 v21, v9, v20
	v_mul_f32_e32 v7, v0, v7
	s_delay_alu instid0(VALU_DEP_4)
	v_fma_f32 v0, v0, v6, -v31
	s_barrier
	v_dual_add_f32 v8, 0, v8 :: v_dual_mul_f32 v5, v10, v5
	v_fma_f32 v10, v10, v4, -v30
	buffer_gl0_inv
	v_dual_add_f32 v8, v8, v10 :: v_dual_mul_f32 v9, v3, v19
	v_fmac_f32_e32 v5, v11, v4
	s_delay_alu instid0(VALU_DEP_2) | instskip(NEXT) | instid1(VALU_DEP_3)
	v_dual_mul_f32 v11, v2, v19 :: v_dual_add_f32 v0, v8, v0
	v_fma_f32 v2, v2, v18, -v9
	s_delay_alu instid0(VALU_DEP_2) | instskip(NEXT) | instid1(VALU_DEP_2)
	v_fmac_f32_e32 v11, v3, v18
	v_add_f32_e32 v0, v0, v2
	v_dual_add_f32 v4, 0, v21 :: v_dual_fmac_f32 v7, v1, v6
	s_delay_alu instid0(VALU_DEP_1) | instskip(NEXT) | instid1(VALU_DEP_1)
	v_add_f32_e32 v1, v4, v5
	v_add_f32_e32 v1, v1, v7
	s_delay_alu instid0(VALU_DEP_1)
	v_add_f32_e32 v1, v1, v11
	ds_store_b64 v28, v[0:1]
	s_waitcnt lgkmcnt(0)
	s_barrier
	buffer_gl0_inv
	s_and_saveexec_b32 s1, s0
	s_cbranch_execz .LBB115_94
; %bb.93:
	ds_load_2addr_b64 v[0:3], v23 offset1:1
	ds_load_2addr_b64 v[4:7], v23 offset0:2 offset1:3
	ds_load_2addr_b64 v[8:11], v23 offset0:4 offset1:5
	s_waitcnt lgkmcnt(2)
	v_dual_add_f32 v0, v26, v0 :: v_dual_add_f32 v1, v27, v1
	s_delay_alu instid0(VALU_DEP_1) | instskip(SKIP_3) | instid1(VALU_DEP_1)
	v_dual_add_f32 v18, v0, v2 :: v_dual_add_f32 v19, v1, v3
	ds_load_2addr_b64 v[0:3], v23 offset0:6 offset1:7
	s_waitcnt lgkmcnt(2)
	v_dual_add_f32 v4, v18, v4 :: v_dual_add_f32 v5, v19, v5
	v_dual_add_f32 v4, v4, v6 :: v_dual_add_f32 v5, v5, v7
	s_waitcnt lgkmcnt(1)
	s_delay_alu instid0(VALU_DEP_1) | instskip(NEXT) | instid1(VALU_DEP_1)
	v_dual_add_f32 v4, v4, v8 :: v_dual_add_f32 v5, v5, v9
	v_dual_add_f32 v4, v4, v10 :: v_dual_add_f32 v5, v5, v11
	s_waitcnt lgkmcnt(0)
	s_delay_alu instid0(VALU_DEP_1) | instskip(NEXT) | instid1(VALU_DEP_1)
	v_dual_add_f32 v0, v4, v0 :: v_dual_add_f32 v1, v5, v1
	v_dual_add_f32 v26, v0, v2 :: v_dual_add_f32 v27, v1, v3
.LBB115_94:
	s_or_b32 exec_lo, exec_lo, s1
	s_mul_hi_u32 s0, s24, s15
	s_mul_i32 s25, s25, s15
	s_mul_i32 s1, s24, s15
	s_add_i32 s0, s0, s25
	s_mul_hi_u32 s4, s1, s28
	s_mul_i32 s3, s0, s28
	s_mul_i32 s0, s1, s28
	s_add_i32 s1, s4, s3
	s_mul_hi_i32 s5, s24, s14
	s_lshl_b64 s[0:1], s[0:1], 3
	s_mul_i32 s4, s24, s14
	s_add_u32 s3, s10, s0
	s_addc_u32 s6, s11, s1
	s_lshl_b64 s[0:1], s[4:5], 3
	v_lshlrev_b32_e32 v96, 3, v25
	s_add_u32 s3, s3, s0
	s_addc_u32 s9, s6, s1
	s_add_i32 s1, s14, 1
	s_delay_alu instid0(SALU_CYCLE_1)
	s_cmp_ge_u32 s1, s28
	s_barrier
	buffer_gl0_inv
	s_cbranch_scc1 .LBB115_152
; %bb.95:
	v_dual_mov_b32 v30, 0 :: v_dual_lshlrev_b32 v97, 2, v95
	v_and_b32_e32 v4, 48, v25
	v_and_b32_e32 v2, 15, v25
	v_lshrrev_b32_e32 v3, 4, v22
	s_delay_alu instid0(VALU_DEP_4) | instskip(NEXT) | instid1(VALU_DEP_4)
	v_mad_u64_u32 v[0:1], null, v97, s12, v[25:26]
	v_lshlrev_b32_e32 v5, 3, v4
	s_mul_i32 s4, s18, s7
	v_or_b32_e32 v6, 0x78, v96
	v_lshlrev_b32_e32 v7, 5, v3
	s_ashr_i32 s5, s4, 31
	v_mad_u32_u24 v102, 0x218, v2, v5
	v_ashrrev_i32_e32 v1, 31, v0
	v_mul_i32_i24_e32 v5, 0xffffffe8, v3
	v_add_nc_u32_e32 v3, s18, v4
	s_lshl_b64 s[4:5], s[4:5], 3
	v_mad_u32_u24 v103, 0x218, v2, v6
	v_sub_co_u32 v98, vcc_lo, v12, s4
	v_mad_u32_u24 v104, 0x218, v2, v7
	v_add3_u32 v28, v3, v2, 64
	v_lshlrev_b64 v[2:3], 3, v[0:1]
	v_subrev_co_ci_u32_e32 v99, vcc_lo, s5, v13, vcc_lo
	s_lshl_b32 s10, s12, 4
	s_ashr_i32 s13, s12, 31
	v_sub_co_u32 v122, vcc_lo, 0, v14
	s_lshl_b32 s31, s7, 6
	s_ashr_i32 s11, s10, 31
	s_lshl_b32 s24, s12, 1
	s_mul_i32 s34, s12, 3
	s_mul_i32 s7, s7, s1
	v_sub_co_ci_u32_e32 v123, vcc_lo, 0, v15, vcc_lo
	s_lshl_b64 s[22:23], s[12:13], 4
	s_add_i32 s15, s28, -2
	s_ashr_i32 s25, s24, 31
	s_ashr_i32 s35, s34, 31
	s_lshl_b64 s[18:19], s[12:13], 3
	s_lshl_b32 s4, s7, 6
	v_add_co_u32 v4, vcc_lo, s20, v2
	s_lshl_b64 s[6:7], s[10:11], 5
	s_add_u32 s1, s22, s20
	v_add_co_ci_u32_e32 v6, vcc_lo, s21, v3, vcc_lo
	s_addc_u32 s5, s23, s21
	v_add_co_u32 v7, vcc_lo, s1, v2
	v_add_co_ci_u32_e32 v8, vcc_lo, s5, v3, vcc_lo
	v_add_co_u32 v124, vcc_lo, v16, v4
	v_add_co_ci_u32_e32 v125, vcc_lo, v17, v6, vcc_lo
	s_delay_alu instid0(VALU_DEP_4)
	v_add_co_u32 v126, vcc_lo, v16, v7
	s_add_u32 s13, s18, s20
	v_add_co_ci_u32_e32 v127, vcc_lo, v17, v8, vcc_lo
	s_addc_u32 s33, s19, s21
	v_add_co_u32 v4, vcc_lo, s13, v2
	v_add_co_ci_u32_e32 v6, vcc_lo, s33, v3, vcc_lo
	s_lshl_b64 s[26:27], s[24:25], 3
	s_delay_alu instid0(VALU_DEP_2) | instskip(SKIP_1) | instid1(VALU_DEP_2)
	v_add_co_u32 v128, vcc_lo, v16, v4
	s_add_u32 s24, s20, s26
	v_add_co_ci_u32_e32 v129, vcc_lo, v17, v6, vcc_lo
	s_addc_u32 s25, s21, s27
	v_add_co_u32 v4, vcc_lo, s24, v2
	v_add_co_ci_u32_e32 v6, vcc_lo, s25, v3, vcc_lo
	s_lshl_b64 s[24:25], s[34:35], 3
	s_delay_alu instid0(VALU_DEP_2) | instskip(SKIP_1) | instid1(VALU_DEP_2)
	;; [unrolled: 8-line block ×3, first 2 shown]
	v_add_co_u32 v132, vcc_lo, v16, v4
	s_add_u32 s36, s20, s34
	v_add_co_ci_u32_e32 v133, vcc_lo, v17, v6, vcc_lo
	s_addc_u32 s37, s21, s35
	v_add_co_u32 v4, vcc_lo, s36, v2
	s_add_u32 s13, s13, s34
	v_add_co_ci_u32_e32 v6, vcc_lo, s37, v3, vcc_lo
	s_addc_u32 s33, s33, s35
	v_add_co_u32 v7, vcc_lo, s13, v2
	v_add_co_ci_u32_e32 v8, vcc_lo, s33, v3, vcc_lo
	v_add_co_u32 v134, vcc_lo, v16, v4
	v_add_co_ci_u32_e32 v135, vcc_lo, v17, v6, vcc_lo
	s_delay_alu instid0(VALU_DEP_4)
	v_add_co_u32 v136, vcc_lo, v16, v7
	s_add_u32 s13, s36, s26
	v_add_co_ci_u32_e32 v137, vcc_lo, v17, v8, vcc_lo
	s_addc_u32 s33, s37, s27
	v_add_co_u32 v4, vcc_lo, s13, v2
	s_add_u32 s13, s1, s34
	v_add_co_ci_u32_e32 v6, vcc_lo, s33, v3, vcc_lo
	s_addc_u32 s33, s5, s35
	v_add_co_u32 v7, vcc_lo, s13, v2
	v_add_co_ci_u32_e32 v8, vcc_lo, s33, v3, vcc_lo
	v_add_co_u32 v138, vcc_lo, v16, v4
	v_add_co_ci_u32_e32 v139, vcc_lo, v17, v6, vcc_lo
	s_delay_alu instid0(VALU_DEP_4)
	v_add_co_u32 v140, vcc_lo, v16, v7
	s_add_u32 s13, s36, s24
	v_add_co_ci_u32_e32 v141, vcc_lo, v17, v8, vcc_lo
	s_addc_u32 s33, s37, s25
	s_lshl_b64 s[34:35], s[10:11], 4
	v_add_co_u32 v4, vcc_lo, s13, v2
	s_add_u32 s11, s34, s20
	v_add_co_ci_u32_e32 v6, vcc_lo, s33, v3, vcc_lo
	s_addc_u32 s13, s35, s21
	v_add_co_u32 v7, vcc_lo, s11, v2
	v_add_co_ci_u32_e32 v8, vcc_lo, s13, v3, vcc_lo
	v_add_co_u32 v142, vcc_lo, v16, v4
	v_add_co_ci_u32_e32 v143, vcc_lo, v17, v6, vcc_lo
	s_delay_alu instid0(VALU_DEP_4)
	v_add_co_u32 v144, vcc_lo, v16, v7
	s_add_u32 s20, s11, s18
	v_add_co_ci_u32_e32 v145, vcc_lo, v17, v8, vcc_lo
	s_addc_u32 s21, s13, s19
	v_add_co_u32 v4, vcc_lo, s20, v2
	s_add_u32 s20, s11, s26
	v_add_co_ci_u32_e32 v6, vcc_lo, s21, v3, vcc_lo
	s_addc_u32 s21, s13, s27
	v_add_co_u32 v7, vcc_lo, s20, v2
	v_add_co_ci_u32_e32 v8, vcc_lo, s21, v3, vcc_lo
	v_add_co_u32 v146, vcc_lo, v16, v4
	v_add_co_ci_u32_e32 v147, vcc_lo, v17, v6, vcc_lo
	s_delay_alu instid0(VALU_DEP_4)
	v_add_co_u32 v148, vcc_lo, v16, v7
	s_add_u32 s1, s1, s34
	v_add_co_ci_u32_e32 v149, vcc_lo, v17, v8, vcc_lo
	s_addc_u32 s5, s5, s35
	v_add_co_u32 v4, vcc_lo, s1, v2
	v_add_co_ci_u32_e32 v6, vcc_lo, s5, v3, vcc_lo
	v_add_co_u32 v0, vcc_lo, s16, v0
	v_add_co_ci_u32_e32 v1, vcc_lo, s17, v1, vcc_lo
	s_delay_alu instid0(VALU_DEP_4) | instskip(SKIP_1) | instid1(VALU_DEP_2)
	v_add_co_u32 v150, vcc_lo, v16, v4
	s_add_u32 s1, s11, s24
	v_lshlrev_b64 v[0:1], 3, v[0:1]
	v_add_co_ci_u32_e32 v151, vcc_lo, v17, v6, vcc_lo
	s_addc_u32 s5, s13, s25
	v_add_co_u32 v4, vcc_lo, s1, v2
	v_add_co_ci_u32_e32 v6, vcc_lo, s5, v3, vcc_lo
	s_delay_alu instid0(VALU_DEP_4) | instskip(NEXT) | instid1(VALU_DEP_3)
	v_mad_i64_i32 v[2:3], null, s10, 24, v[0:1]
	v_add_co_u32 v152, vcc_lo, v16, v4
	s_delay_alu instid0(VALU_DEP_3) | instskip(SKIP_2) | instid1(VALU_DEP_3)
	v_add_co_ci_u32_e32 v153, vcc_lo, v17, v6, vcc_lo
	s_mul_i32 s1, s12, 0x180
	s_mul_hi_i32 s5, s10, 24
	v_add_co_u32 v154, vcc_lo, v16, v2
	s_delay_alu instid0(VALU_DEP_4) | instskip(SKIP_4) | instid1(VALU_DEP_4)
	v_add_co_ci_u32_e32 v155, vcc_lo, v17, v3, vcc_lo
	v_add_co_u32 v4, vcc_lo, v2, s18
	v_add_co_ci_u32_e32 v6, vcc_lo, s19, v3, vcc_lo
	v_add_co_u32 v7, vcc_lo, v2, s26
	;; [unrolled: 2-line block ×3, first 2 shown]
	s_delay_alu instid0(VALU_DEP_4) | instskip(NEXT) | instid1(VALU_DEP_4)
	v_add_co_ci_u32_e32 v157, vcc_lo, v17, v6, vcc_lo
	v_add_co_u32 v158, vcc_lo, v16, v7
	s_add_u32 s1, s1, s22
	v_add_co_ci_u32_e32 v159, vcc_lo, v17, v8, vcc_lo
	s_addc_u32 s5, s5, s23
	v_add_co_u32 v0, vcc_lo, s1, v0
	v_add_co_ci_u32_e32 v1, vcc_lo, s5, v1, vcc_lo
	v_add_co_u32 v2, vcc_lo, v2, s24
	v_add_co_ci_u32_e32 v3, vcc_lo, s25, v3, vcc_lo
	s_delay_alu instid0(VALU_DEP_4) | instskip(NEXT) | instid1(VALU_DEP_4)
	v_add_co_u32 v160, vcc_lo, v16, v0
	v_add_co_ci_u32_e32 v161, vcc_lo, v17, v1, vcc_lo
	s_delay_alu instid0(VALU_DEP_4)
	v_add_co_u32 v162, vcc_lo, v16, v2
	v_add_nc_u32_e32 v100, 0x2180, v96
	v_add_nc_u32_e32 v101, 0x2380, v96
	v_cmp_gt_u32_e64 s0, 64, v22
	v_or_b32_e32 v105, 1, v97
	v_or_b32_e32 v106, 2, v97
	;; [unrolled: 1-line block ×3, first 2 shown]
	v_lshl_add_u32 v108, v95, 5, 0x2180
	v_mad_u32_u24 v109, 0x860, v95, v96
	v_add_nc_u32_e32 v110, 16, v97
	v_add_nc_u32_e32 v111, 17, v97
	;; [unrolled: 1-line block ×12, first 2 shown]
	v_add_co_ci_u32_e32 v163, vcc_lo, v17, v3, vcc_lo
	v_add_nc_u32_e32 v164, v104, v5
	s_cmp_eq_u32 s15, s14
	s_cselect_b32 s12, s29, 0
	s_and_saveexec_b32 s1, s2
	s_cbranch_execz .LBB115_100
.LBB115_96:
	v_cmp_le_i32_e32 vcc_lo, s12, v25
	s_cmp_lg_u32 s12, 0
	s_cselect_b32 s5, -1, 0
	s_delay_alu instid0(SALU_CYCLE_1) | instskip(NEXT) | instid1(SALU_CYCLE_1)
	s_and_b32 s5, s5, vcc_lo
	s_and_saveexec_b32 s10, s5
	s_delay_alu instid0(SALU_CYCLE_1)
	s_xor_b32 s5, exec_lo, s10
	s_cbranch_execz .LBB115_98
; %bb.97:
	v_mov_b32_e32 v31, v30
	ds_store_b64 v100, v[30:31]
.LBB115_98:
	s_and_not1_saveexec_b32 s5, s5
	s_cbranch_execz .LBB115_100
; %bb.99:
	s_ashr_i32 s5, s4, 31
	s_delay_alu instid0(SALU_CYCLE_1) | instskip(NEXT) | instid1(SALU_CYCLE_1)
	s_lshl_b64 s[10:11], s[4:5], 3
	v_add_co_u32 v0, vcc_lo, v98, s10
	v_add_co_ci_u32_e32 v1, vcc_lo, s11, v99, vcc_lo
	global_load_b64 v[0:1], v[0:1], off
	s_waitcnt vmcnt(0)
	ds_store_b64 v100, v[0:1]
.LBB115_100:                            ; =>This Inner Loop Header: Depth=1
	s_or_b32 exec_lo, exec_lo, s1
	s_cmp_eq_u32 s12, 0
	v_add_co_u32 v0, vcc_lo, v124, v122
	s_cselect_b32 s5, -1, 0
	s_cmp_lg_u32 s12, 0
	v_add_co_ci_u32_e32 v1, vcc_lo, v125, v123, vcc_lo
	s_cselect_b32 s1, -1, 0
	s_waitcnt lgkmcnt(0)
	s_and_b32 vcc_lo, exec_lo, s1
	s_barrier
	buffer_gl0_inv
	s_cbranch_vccz .LBB115_108
; %bb.101:                              ;   in Loop: Header=BB115_100 Depth=1
	v_mov_b32_e32 v31, 0
	v_mov_b32_e32 v32, 0
	s_mov_b32 s10, exec_lo
	s_delay_alu instid0(VALU_DEP_1)
	v_dual_mov_b32 v34, v32 :: v_dual_mov_b32 v33, v31
	v_cmpx_gt_i32_e64 s12, v97
	s_cbranch_execz .LBB115_103
; %bb.102:                              ;   in Loop: Header=BB115_100 Depth=1
	global_load_b64 v[33:34], v[0:1], off
.LBB115_103:                            ;   in Loop: Header=BB115_100 Depth=1
	s_or_b32 exec_lo, exec_lo, s10
	s_delay_alu instid0(SALU_CYCLE_1)
	s_mov_b32 s10, exec_lo
	v_cmpx_gt_i32_e64 s12, v105
	s_cbranch_execz .LBB115_105
; %bb.104:                              ;   in Loop: Header=BB115_100 Depth=1
	v_add_co_u32 v2, vcc_lo, v128, v122
	v_add_co_ci_u32_e32 v3, vcc_lo, v129, v123, vcc_lo
	global_load_b64 v[31:32], v[2:3], off
.LBB115_105:                            ;   in Loop: Header=BB115_100 Depth=1
	s_or_b32 exec_lo, exec_lo, s10
	v_mov_b32_e32 v35, 0
	v_mov_b32_e32 v36, 0
	s_mov_b32 s10, exec_lo
	v_cmpx_gt_i32_e64 s12, v106
	s_cbranch_execz .LBB115_107
; %bb.106:                              ;   in Loop: Header=BB115_100 Depth=1
	v_add_co_u32 v2, vcc_lo, v130, v122
	v_add_co_ci_u32_e32 v3, vcc_lo, v131, v123, vcc_lo
	global_load_b64 v[35:36], v[2:3], off
.LBB115_107:                            ;   in Loop: Header=BB115_100 Depth=1
	s_or_b32 exec_lo, exec_lo, s10
	v_cmp_gt_i32_e64 s13, s12, v107
	s_mov_b64 s[10:11], 0
	s_branch .LBB115_110
.LBB115_108:                            ;   in Loop: Header=BB115_100 Depth=1
	s_mov_b32 s13, 0
                                        ; implicit-def: $sgpr10_sgpr11
                                        ; implicit-def: $vgpr35_vgpr36
                                        ; implicit-def: $vgpr31_vgpr32
                                        ; implicit-def: $vgpr33_vgpr34
	s_cbranch_execz .LBB115_110
; %bb.109:                              ;   in Loop: Header=BB115_100 Depth=1
	v_add_co_u32 v2, vcc_lo, v128, v122
	v_add_co_ci_u32_e32 v3, vcc_lo, v129, v123, vcc_lo
	v_add_co_u32 v4, vcc_lo, v126, v122
	v_add_co_ci_u32_e32 v5, vcc_lo, v127, v123, vcc_lo
	global_load_b64 v[33:34], v[0:1], off
	global_load_b64 v[31:32], v[2:3], off
	;; [unrolled: 1-line block ×3, first 2 shown]
	s_or_b32 s13, s13, exec_lo
                                        ; implicit-def: $sgpr10_sgpr11
.LBB115_110:                            ;   in Loop: Header=BB115_100 Depth=1
	v_dual_mov_b32 v38, s11 :: v_dual_mov_b32 v37, s10
	s_delay_alu instid0(VALU_DEP_2)
	s_and_saveexec_b32 s10, s13
	s_cbranch_execz .LBB115_112
; %bb.111:                              ;   in Loop: Header=BB115_100 Depth=1
	v_add_co_u32 v0, vcc_lo, v132, v122
	v_add_co_ci_u32_e32 v1, vcc_lo, v133, v123, vcc_lo
	global_load_b64 v[37:38], v[0:1], off
.LBB115_112:                            ;   in Loop: Header=BB115_100 Depth=1
	s_or_b32 exec_lo, exec_lo, s10
	ds_load_b64 v[0:1], v101
	ds_load_b64 v[39:40], v108
	v_cndmask_b32_e64 v29, 0, 1, s1
	s_waitcnt vmcnt(0) lgkmcnt(1)
	v_mul_f32_e32 v3, v1, v33
	v_mul_f32_e32 v5, v1, v31
	;; [unrolled: 1-line block ×3, first 2 shown]
	v_dual_mul_f32 v4, v1, v32 :: v_dual_mul_f32 v9, v0, v38
	s_delay_alu instid0(VALU_DEP_4) | instskip(SKIP_4) | instid1(VALU_DEP_4)
	v_dual_mul_f32 v6, v1, v36 :: v_dual_fmac_f32 v3, v0, v34
	v_mul_f32_e32 v7, v1, v35
	v_dual_mul_f32 v8, v1, v38 :: v_dual_fmac_f32 v5, v0, v32
	v_fma_f32 v2, v0, v33, -v2
	v_fma_f32 v4, v0, v31, -v4
	v_fmac_f32_e32 v7, v0, v36
	v_fma_f32 v6, v0, v35, -v6
	v_fma_f32 v8, v0, v37, -v8
	v_fmac_f32_e32 v9, v1, v37
	ds_store_b64 v109, v[2:3]
	ds_load_b64 v[45:46], v108 offset:8
	ds_store_b64 v109, v[4:5] offset:536
	ds_load_b64 v[43:44], v108 offset:16
	ds_store_b64 v109, v[6:7] offset:1072
	ds_load_b64 v[41:42], v108 offset:24
	ds_store_b64 v109, v[8:9] offset:1608
	s_waitcnt lgkmcnt(0)
	s_barrier
	buffer_gl0_inv
	ds_load_2addr_b64 v[4:7], v104 offset1:1
	ds_load_2addr_b64 v[0:3], v104 offset0:2 offset1:3
	v_add_co_u32 v8, vcc_lo, v134, v122
	v_add_co_ci_u32_e32 v9, vcc_lo, v135, v123, vcc_lo
	s_and_not1_b32 vcc_lo, exec_lo, s1
	s_waitcnt lgkmcnt(0)
	s_barrier
	buffer_gl0_inv
	s_cbranch_vccnz .LBB115_120
; %bb.113:                              ;   in Loop: Header=BB115_100 Depth=1
	v_mov_b32_e32 v47, 0
	v_mov_b32_e32 v48, 0
	s_mov_b32 s1, exec_lo
	s_delay_alu instid0(VALU_DEP_1)
	v_dual_mov_b32 v50, v48 :: v_dual_mov_b32 v49, v47
	v_cmpx_gt_i32_e64 s12, v110
	s_cbranch_execz .LBB115_115
; %bb.114:                              ;   in Loop: Header=BB115_100 Depth=1
	global_load_b64 v[49:50], v[8:9], off
.LBB115_115:                            ;   in Loop: Header=BB115_100 Depth=1
	s_or_b32 exec_lo, exec_lo, s1
	s_delay_alu instid0(SALU_CYCLE_1)
	s_mov_b32 s1, exec_lo
	v_cmpx_gt_i32_e64 s12, v111
	s_cbranch_execz .LBB115_117
; %bb.116:                              ;   in Loop: Header=BB115_100 Depth=1
	v_add_co_u32 v10, vcc_lo, v136, v122
	v_add_co_ci_u32_e32 v11, vcc_lo, v137, v123, vcc_lo
	global_load_b64 v[47:48], v[10:11], off
.LBB115_117:                            ;   in Loop: Header=BB115_100 Depth=1
	s_or_b32 exec_lo, exec_lo, s1
	v_mov_b32_e32 v51, 0
	v_mov_b32_e32 v52, 0
	s_mov_b32 s1, exec_lo
	v_cmpx_gt_i32_e64 s12, v112
	s_cbranch_execz .LBB115_119
; %bb.118:                              ;   in Loop: Header=BB115_100 Depth=1
	v_add_co_u32 v10, vcc_lo, v138, v122
	v_add_co_ci_u32_e32 v11, vcc_lo, v139, v123, vcc_lo
	global_load_b64 v[51:52], v[10:11], off
.LBB115_119:                            ;   in Loop: Header=BB115_100 Depth=1
	s_or_b32 exec_lo, exec_lo, s1
	v_cmp_gt_i32_e64 s1, s12, v113
	s_mov_b64 s[10:11], 0
	s_branch .LBB115_122
.LBB115_120:                            ;   in Loop: Header=BB115_100 Depth=1
	s_mov_b32 s1, 0
                                        ; implicit-def: $sgpr10_sgpr11
                                        ; implicit-def: $vgpr51_vgpr52
                                        ; implicit-def: $vgpr47_vgpr48
                                        ; implicit-def: $vgpr49_vgpr50
	s_cbranch_execz .LBB115_122
; %bb.121:                              ;   in Loop: Header=BB115_100 Depth=1
	v_add_co_u32 v10, vcc_lo, v136, v122
	v_add_co_ci_u32_e32 v11, vcc_lo, v137, v123, vcc_lo
	v_add_co_u32 v12, vcc_lo, v140, v122
	v_add_co_ci_u32_e32 v13, vcc_lo, v141, v123, vcc_lo
	global_load_b64 v[49:50], v[8:9], off
	global_load_b64 v[47:48], v[10:11], off
	;; [unrolled: 1-line block ×3, first 2 shown]
	s_or_b32 s1, s1, exec_lo
                                        ; implicit-def: $sgpr10_sgpr11
.LBB115_122:                            ;   in Loop: Header=BB115_100 Depth=1
	v_dual_mov_b32 v54, s11 :: v_dual_mov_b32 v53, s10
	s_delay_alu instid0(VALU_DEP_2)
	s_and_saveexec_b32 s10, s1
	s_cbranch_execz .LBB115_124
; %bb.123:                              ;   in Loop: Header=BB115_100 Depth=1
	v_add_co_u32 v8, vcc_lo, v142, v122
	v_add_co_ci_u32_e32 v9, vcc_lo, v143, v123, vcc_lo
	global_load_b64 v[53:54], v[8:9], off
.LBB115_124:                            ;   in Loop: Header=BB115_100 Depth=1
	s_or_b32 exec_lo, exec_lo, s10
	ds_load_b64 v[8:9], v101
	ds_load_b64 v[55:56], v108 offset:128
	v_cmp_ne_u32_e32 vcc_lo, 1, v29
	s_and_b32 vcc_lo, exec_lo, vcc_lo
	s_waitcnt vmcnt(0) lgkmcnt(1)
	v_mul_f32_e32 v11, v9, v49
	v_mul_f32_e32 v13, v9, v47
	;; [unrolled: 1-line block ×3, first 2 shown]
	v_dual_mul_f32 v12, v9, v48 :: v_dual_mul_f32 v17, v8, v54
	s_delay_alu instid0(VALU_DEP_4) | instskip(SKIP_4) | instid1(VALU_DEP_4)
	v_dual_mul_f32 v14, v9, v52 :: v_dual_fmac_f32 v11, v8, v50
	v_mul_f32_e32 v15, v9, v51
	v_dual_mul_f32 v16, v9, v54 :: v_dual_fmac_f32 v13, v8, v48
	v_fma_f32 v10, v8, v49, -v10
	v_fma_f32 v12, v8, v47, -v12
	v_fmac_f32_e32 v15, v8, v52
	v_fma_f32 v14, v8, v51, -v14
	v_fma_f32 v16, v8, v53, -v16
	v_fmac_f32_e32 v17, v9, v53
	ds_store_b64 v109, v[10:11]
	ds_load_b64 v[61:62], v108 offset:136
	ds_store_b64 v109, v[12:13] offset:536
	ds_load_b64 v[59:60], v108 offset:144
	ds_store_b64 v109, v[14:15] offset:1072
	;; [unrolled: 2-line block ×3, first 2 shown]
	s_waitcnt lgkmcnt(0)
	s_barrier
	buffer_gl0_inv
	ds_load_2addr_b64 v[12:15], v104 offset1:1
	ds_load_2addr_b64 v[8:11], v104 offset0:2 offset1:3
	v_add_co_u32 v16, s1, v144, v122
	s_delay_alu instid0(VALU_DEP_1)
	v_add_co_ci_u32_e64 v17, s1, v145, v123, s1
	s_waitcnt lgkmcnt(0)
	s_barrier
	buffer_gl0_inv
	s_cbranch_vccnz .LBB115_132
; %bb.125:                              ;   in Loop: Header=BB115_100 Depth=1
	v_mov_b32_e32 v63, 0
	v_mov_b32_e32 v64, 0
	s_mov_b32 s1, exec_lo
	s_delay_alu instid0(VALU_DEP_1)
	v_dual_mov_b32 v66, v64 :: v_dual_mov_b32 v65, v63
	v_cmpx_gt_i32_e64 s12, v114
	s_cbranch_execz .LBB115_127
; %bb.126:                              ;   in Loop: Header=BB115_100 Depth=1
	global_load_b64 v[65:66], v[16:17], off
.LBB115_127:                            ;   in Loop: Header=BB115_100 Depth=1
	s_or_b32 exec_lo, exec_lo, s1
	s_delay_alu instid0(SALU_CYCLE_1)
	s_mov_b32 s1, exec_lo
	v_cmpx_gt_i32_e64 s12, v115
	s_cbranch_execz .LBB115_129
; %bb.128:                              ;   in Loop: Header=BB115_100 Depth=1
	v_add_co_u32 v18, vcc_lo, v146, v122
	v_add_co_ci_u32_e32 v19, vcc_lo, v147, v123, vcc_lo
	global_load_b64 v[63:64], v[18:19], off
.LBB115_129:                            ;   in Loop: Header=BB115_100 Depth=1
	s_or_b32 exec_lo, exec_lo, s1
	v_mov_b32_e32 v67, 0
	v_mov_b32_e32 v68, 0
	s_mov_b32 s1, exec_lo
	v_cmpx_gt_i32_e64 s12, v116
	s_cbranch_execz .LBB115_131
; %bb.130:                              ;   in Loop: Header=BB115_100 Depth=1
	v_add_co_u32 v18, vcc_lo, v148, v122
	v_add_co_ci_u32_e32 v19, vcc_lo, v149, v123, vcc_lo
	global_load_b64 v[67:68], v[18:19], off
.LBB115_131:                            ;   in Loop: Header=BB115_100 Depth=1
	s_or_b32 exec_lo, exec_lo, s1
	v_cmp_gt_i32_e64 s1, s12, v117
	s_mov_b64 s[10:11], 0
	s_branch .LBB115_134
.LBB115_132:                            ;   in Loop: Header=BB115_100 Depth=1
	s_mov_b32 s1, 0
                                        ; implicit-def: $sgpr10_sgpr11
                                        ; implicit-def: $vgpr67_vgpr68
                                        ; implicit-def: $vgpr63_vgpr64
                                        ; implicit-def: $vgpr65_vgpr66
	s_cbranch_execz .LBB115_134
; %bb.133:                              ;   in Loop: Header=BB115_100 Depth=1
	v_add_co_u32 v18, vcc_lo, v146, v122
	v_add_co_ci_u32_e32 v19, vcc_lo, v147, v123, vcc_lo
	v_add_co_u32 v20, vcc_lo, v150, v122
	v_add_co_ci_u32_e32 v21, vcc_lo, v151, v123, vcc_lo
	global_load_b64 v[65:66], v[16:17], off
	global_load_b64 v[63:64], v[18:19], off
	;; [unrolled: 1-line block ×3, first 2 shown]
	s_or_b32 s1, s1, exec_lo
                                        ; implicit-def: $sgpr10_sgpr11
.LBB115_134:                            ;   in Loop: Header=BB115_100 Depth=1
	v_dual_mov_b32 v70, s11 :: v_dual_mov_b32 v69, s10
	s_delay_alu instid0(VALU_DEP_2)
	s_and_saveexec_b32 s10, s1
	s_cbranch_execz .LBB115_136
; %bb.135:                              ;   in Loop: Header=BB115_100 Depth=1
	v_add_co_u32 v16, vcc_lo, v152, v122
	v_add_co_ci_u32_e32 v17, vcc_lo, v153, v123, vcc_lo
	global_load_b64 v[69:70], v[16:17], off
.LBB115_136:                            ;   in Loop: Header=BB115_100 Depth=1
	s_or_b32 exec_lo, exec_lo, s10
	ds_load_b64 v[16:17], v101
	ds_load_b64 v[71:72], v108 offset:256
	v_cmp_ne_u32_e32 vcc_lo, 1, v29
	v_add_co_u32 v85, s1, v154, v122
	s_delay_alu instid0(VALU_DEP_1)
	v_add_co_ci_u32_e64 v86, s1, v155, v123, s1
	s_and_b32 vcc_lo, exec_lo, vcc_lo
	s_waitcnt vmcnt(0) lgkmcnt(1)
	v_dual_mul_f32 v19, v17, v65 :: v_dual_mul_f32 v80, v16, v70
	v_mul_f32_e32 v21, v17, v63
	v_mul_f32_e32 v18, v17, v66
	s_delay_alu instid0(VALU_DEP_3)
	v_dual_mul_f32 v20, v17, v64 :: v_dual_fmac_f32 v19, v16, v66
	v_mul_f32_e32 v22, v17, v68
	v_mul_f32_e32 v23, v17, v67
	;; [unrolled: 1-line block ×3, first 2 shown]
	v_fmac_f32_e32 v21, v16, v64
	v_fma_f32 v18, v16, v65, -v18
	v_fma_f32 v20, v16, v63, -v20
	;; [unrolled: 1-line block ×3, first 2 shown]
	v_dual_fmac_f32 v23, v16, v68 :: v_dual_fmac_f32 v80, v17, v69
	v_fma_f32 v79, v16, v69, -v73
	ds_store_b64 v109, v[18:19]
	ds_load_b64 v[77:78], v108 offset:264
	ds_store_b64 v109, v[20:21] offset:536
	ds_load_b64 v[75:76], v108 offset:272
	ds_store_b64 v109, v[22:23] offset:1072
	;; [unrolled: 2-line block ×3, first 2 shown]
	s_waitcnt lgkmcnt(0)
	s_barrier
	buffer_gl0_inv
	ds_load_2addr_b64 v[20:23], v104 offset1:1
	ds_load_2addr_b64 v[16:19], v104 offset0:2 offset1:3
	s_waitcnt lgkmcnt(0)
	s_barrier
	buffer_gl0_inv
	s_cbranch_vccnz .LBB115_144
; %bb.137:                              ;   in Loop: Header=BB115_100 Depth=1
	v_mov_b32_e32 v79, 0
	v_mov_b32_e32 v80, 0
	s_mov_b32 s1, exec_lo
	s_delay_alu instid0(VALU_DEP_1)
	v_dual_mov_b32 v82, v80 :: v_dual_mov_b32 v81, v79
	v_cmpx_gt_i32_e64 s12, v118
	s_cbranch_execz .LBB115_139
; %bb.138:                              ;   in Loop: Header=BB115_100 Depth=1
	global_load_b64 v[81:82], v[85:86], off
.LBB115_139:                            ;   in Loop: Header=BB115_100 Depth=1
	s_or_b32 exec_lo, exec_lo, s1
	s_delay_alu instid0(SALU_CYCLE_1)
	s_mov_b32 s1, exec_lo
	v_cmpx_gt_i32_e64 s12, v119
	s_cbranch_execz .LBB115_141
; %bb.140:                              ;   in Loop: Header=BB115_100 Depth=1
	v_add_co_u32 v79, vcc_lo, v156, v122
	v_add_co_ci_u32_e32 v80, vcc_lo, v157, v123, vcc_lo
	global_load_b64 v[79:80], v[79:80], off
.LBB115_141:                            ;   in Loop: Header=BB115_100 Depth=1
	s_or_b32 exec_lo, exec_lo, s1
	v_mov_b32_e32 v83, 0
	v_mov_b32_e32 v84, 0
	s_mov_b32 s1, exec_lo
	v_cmpx_gt_i32_e64 s12, v120
	s_cbranch_execz .LBB115_143
; %bb.142:                              ;   in Loop: Header=BB115_100 Depth=1
	v_add_co_u32 v83, vcc_lo, v158, v122
	v_add_co_ci_u32_e32 v84, vcc_lo, v159, v123, vcc_lo
	global_load_b64 v[83:84], v[83:84], off
.LBB115_143:                            ;   in Loop: Header=BB115_100 Depth=1
	s_or_b32 exec_lo, exec_lo, s1
	v_cmp_gt_i32_e64 s1, s12, v121
	s_mov_b64 s[10:11], 0
	s_branch .LBB115_146
.LBB115_144:                            ;   in Loop: Header=BB115_100 Depth=1
	s_mov_b32 s1, 0
                                        ; implicit-def: $sgpr10_sgpr11
                                        ; implicit-def: $vgpr83_vgpr84
                                        ; implicit-def: $vgpr79_vgpr80
                                        ; implicit-def: $vgpr81_vgpr82
	s_cbranch_execz .LBB115_146
; %bb.145:                              ;   in Loop: Header=BB115_100 Depth=1
	s_waitcnt vmcnt(0)
	v_add_co_u32 v79, vcc_lo, v156, v122
	v_add_co_ci_u32_e32 v80, vcc_lo, v157, v123, vcc_lo
	v_add_co_u32 v83, vcc_lo, v160, v122
	v_add_co_ci_u32_e32 v84, vcc_lo, v161, v123, vcc_lo
	global_load_b64 v[81:82], v[85:86], off
	global_load_b64 v[79:80], v[79:80], off
	global_load_b64 v[83:84], v[83:84], off
	s_or_b32 s1, s1, exec_lo
                                        ; implicit-def: $sgpr10_sgpr11
.LBB115_146:                            ;   in Loop: Header=BB115_100 Depth=1
	v_dual_mov_b32 v86, s11 :: v_dual_mov_b32 v85, s10
	s_delay_alu instid0(VALU_DEP_2)
	s_and_saveexec_b32 s10, s1
	s_cbranch_execz .LBB115_148
; %bb.147:                              ;   in Loop: Header=BB115_100 Depth=1
	v_add_co_u32 v85, vcc_lo, v162, v122
	v_add_co_ci_u32_e32 v86, vcc_lo, v163, v123, vcc_lo
	global_load_b64 v[85:86], v[85:86], off
.LBB115_148:                            ;   in Loop: Header=BB115_100 Depth=1
	s_or_b32 exec_lo, exec_lo, s10
	ds_load_b64 v[89:90], v101
	ds_load_b64 v[87:88], v108 offset:384
	v_add_f32_e32 v4, 0, v4
	v_cmp_gt_i32_e32 vcc_lo, s12, v25
	v_add_f32_e32 v13, 0, v13
	v_dual_add_f32 v5, 0, v5 :: v_dual_add_f32 v20, 0, v20
	v_dual_add_f32 v21, 0, v21 :: v_dual_add_f32 v12, 0, v12
	s_or_b32 s1, s5, vcc_lo
	s_delay_alu instid0(VALU_DEP_2) | instskip(SKIP_1) | instid1(VALU_DEP_3)
	v_add_f32_e32 v5, v5, v7
	v_dual_add_f32 v13, v13, v15 :: v_dual_add_f32 v4, v4, v6
	v_add_f32_e32 v12, v12, v14
	s_and_b32 s5, s0, s1
	s_delay_alu instid0(VALU_DEP_3) | instskip(NEXT) | instid1(VALU_DEP_3)
	v_add_f32_e32 v15, v5, v1
	v_add_f32_e32 v9, v13, v9
	;; [unrolled: 1-line block ×3, first 2 shown]
	s_waitcnt vmcnt(0) lgkmcnt(1)
	v_mul_f32_e32 v94, v90, v84
	v_mul_f32_e32 v168, v90, v83
	;; [unrolled: 1-line block ×5, first 2 shown]
	v_dual_mul_f32 v93, v90, v80 :: v_dual_mul_f32 v170, v89, v86
	v_dual_mul_f32 v169, v90, v86 :: v_dual_fmac_f32 v168, v89, v84
	s_delay_alu instid0(VALU_DEP_4) | instskip(NEXT) | instid1(VALU_DEP_4)
	v_fmac_f32_e32 v166, v89, v80
	v_fma_f32 v91, v89, v81, -v29
	v_add_f32_e32 v29, v20, v22
	v_fmac_f32_e32 v92, v89, v82
	v_fma_f32 v165, v89, v79, -v93
	v_fma_f32 v167, v89, v83, -v94
	;; [unrolled: 1-line block ×3, first 2 shown]
	v_fmac_f32_e32 v170, v90, v85
	ds_store_b64 v109, v[91:92]
	ds_load_b64 v[93:94], v108 offset:392
	ds_store_b64 v109, v[165:166] offset:536
	ds_load_b64 v[91:92], v108 offset:400
	ds_store_b64 v109, v[167:168] offset:1072
	;; [unrolled: 2-line block ×3, first 2 shown]
	v_add_f32_e32 v169, v21, v23
	s_waitcnt lgkmcnt(0)
	s_barrier
	buffer_gl0_inv
	ds_load_2addr_b64 v[165:168], v104 offset1:1
	ds_load_2addr_b64 v[20:23], v104 offset0:2 offset1:3
	v_dual_add_f32 v7, v169, v17 :: v_dual_add_f32 v8, v12, v8
	v_add_f32_e32 v2, v13, v2
	s_waitcnt lgkmcnt(0)
	s_barrier
	s_delay_alu instid0(VALU_DEP_2) | instskip(SKIP_3) | instid1(VALU_DEP_2)
	v_dual_add_f32 v1, v7, v19 :: v_dual_add_f32 v4, v8, v10
	buffer_gl0_inv
	v_dual_add_f32 v3, v15, v3 :: v_dual_add_f32 v12, 0, v165
	v_add_f32_e32 v14, 0, v166
	v_dual_add_f32 v6, v29, v16 :: v_dual_add_f32 v5, v12, v167
	s_delay_alu instid0(VALU_DEP_2) | instskip(NEXT) | instid1(VALU_DEP_1)
	v_add_f32_e32 v12, v14, v168
	v_dual_add_f32 v7, v12, v21 :: v_dual_add_f32 v0, v6, v18
	s_delay_alu instid0(VALU_DEP_3) | instskip(SKIP_1) | instid1(VALU_DEP_2)
	v_add_f32_e32 v6, v5, v20
	v_add_f32_e32 v5, v9, v11
	v_dual_add_f32 v7, v7, v23 :: v_dual_add_f32 v6, v6, v22
	ds_store_2addr_b64 v164, v[2:3], v[4:5] offset1:16
	ds_store_2addr_b64 v164, v[0:1], v[6:7] offset0:32 offset1:48
	s_waitcnt lgkmcnt(0)
	s_barrier
	buffer_gl0_inv
	s_and_saveexec_b32 s1, s5
	s_cbranch_execz .LBB115_150
; %bb.149:                              ;   in Loop: Header=BB115_100 Depth=1
	ds_load_b64 v[11:12], v102
	ds_load_2addr_b64 v[0:3], v102 offset0:1 offset1:2
	ds_load_2addr_b64 v[4:7], v102 offset0:3 offset1:4
	v_ashrrev_i32_e32 v29, 31, v28
	s_waitcnt lgkmcnt(1)
	v_dual_add_f32 v0, v0, v11 :: v_dual_add_f32 v1, v1, v12
	ds_load_2addr_b64 v[8:11], v102 offset0:5 offset1:6
	v_add_f32_e32 v0, v0, v2
	v_add_f32_e32 v12, v1, v3
	s_waitcnt lgkmcnt(1)
	s_delay_alu instid0(VALU_DEP_2) | instskip(SKIP_3) | instid1(VALU_DEP_2)
	v_add_f32_e32 v4, v0, v4
	ds_load_2addr_b64 v[0:3], v102 offset0:7 offset1:8
	v_add_f32_e32 v5, v12, v5
	v_add_f32_e32 v4, v4, v6
	;; [unrolled: 1-line block ×3, first 2 shown]
	s_waitcnt lgkmcnt(1)
	s_delay_alu instid0(VALU_DEP_2) | instskip(SKIP_3) | instid1(VALU_DEP_2)
	v_add_f32_e32 v8, v4, v8
	ds_load_2addr_b64 v[4:7], v102 offset0:9 offset1:10
	v_add_f32_e32 v9, v12, v9
	v_add_f32_e32 v8, v8, v10
	;; [unrolled: 1-line block ×3, first 2 shown]
	s_waitcnt lgkmcnt(1)
	s_delay_alu instid0(VALU_DEP_2) | instskip(SKIP_4) | instid1(VALU_DEP_1)
	v_add_f32_e32 v0, v8, v0
	ds_load_2addr_b64 v[8:11], v102 offset0:11 offset1:12
	v_add_f32_e32 v1, v12, v1
	v_add_f32_e32 v12, v0, v2
	s_waitcnt lgkmcnt(1)
	v_add_f32_e32 v4, v12, v4
	s_delay_alu instid0(VALU_DEP_1) | instskip(SKIP_1) | instid1(VALU_DEP_1)
	v_add_f32_e32 v6, v4, v6
	s_waitcnt lgkmcnt(0)
	v_add_f32_e32 v6, v6, v8
	s_delay_alu instid0(VALU_DEP_1) | instskip(SKIP_2) | instid1(VALU_DEP_1)
	v_dual_add_f32 v6, v6, v10 :: v_dual_add_f32 v13, v1, v3
	ds_load_2addr_b64 v[0:3], v102 offset0:13 offset1:14
	v_add_f32_e32 v5, v13, v5
	v_add_f32_e32 v7, v5, v7
	ds_load_b64 v[4:5], v103
	v_add_f32_e32 v7, v7, v9
	s_waitcnt lgkmcnt(1)
	s_delay_alu instid0(VALU_DEP_1) | instskip(NEXT) | instid1(VALU_DEP_1)
	v_dual_add_f32 v7, v7, v11 :: v_dual_add_f32 v0, v6, v0
	v_dual_add_f32 v1, v7, v1 :: v_dual_add_f32 v2, v0, v2
	s_delay_alu instid0(VALU_DEP_1) | instskip(SKIP_2) | instid1(VALU_DEP_2)
	v_add_f32_e32 v3, v1, v3
	v_lshlrev_b64 v[0:1], 3, v[28:29]
	s_waitcnt lgkmcnt(0)
	v_dual_add_f32 v2, v2, v4 :: v_dual_add_f32 v3, v3, v5
	s_delay_alu instid0(VALU_DEP_2) | instskip(NEXT) | instid1(VALU_DEP_3)
	v_add_co_u32 v0, vcc_lo, s3, v0
	v_add_co_ci_u32_e32 v1, vcc_lo, s9, v1, vcc_lo
	global_store_b64 v[0:1], v[2:3], off
.LBB115_150:                            ;   in Loop: Header=BB115_100 Depth=1
	s_or_b32 exec_lo, exec_lo, s1
	v_dual_mul_f32 v0, v40, v34 :: v_dual_mul_f32 v3, v46, v31
	v_dual_mul_f32 v1, v40, v33 :: v_dual_mul_f32 v2, v46, v32
	v_dual_mul_f32 v4, v44, v36 :: v_dual_mul_f32 v7, v42, v37
	s_delay_alu instid0(VALU_DEP_3) | instskip(NEXT) | instid1(VALU_DEP_3)
	v_fma_f32 v0, v39, v33, -v0
	v_fmac_f32_e32 v1, v39, v34
	s_delay_alu instid0(VALU_DEP_4) | instskip(SKIP_1) | instid1(VALU_DEP_4)
	v_fma_f32 v2, v45, v31, -v2
	v_dual_mul_f32 v5, v44, v35 :: v_dual_mul_f32 v6, v42, v38
	v_dual_add_f32 v0, v26, v0 :: v_dual_mul_f32 v9, v56, v49
	v_dual_mul_f32 v8, v56, v50 :: v_dual_fmac_f32 v3, v45, v32
	v_fma_f32 v4, v43, v35, -v4
	s_delay_alu instid0(VALU_DEP_3) | instskip(SKIP_3) | instid1(VALU_DEP_4)
	v_add_f32_e32 v0, v0, v2
	v_dual_mul_f32 v2, v62, v48 :: v_dual_add_f32 v1, v27, v1
	v_fma_f32 v6, v41, v37, -v6
	v_fmac_f32_e32 v5, v43, v36
	v_add_f32_e32 v0, v0, v4
	v_mul_f32_e32 v4, v62, v47
	v_add_f32_e32 v1, v1, v3
	v_fma_f32 v3, v55, v49, -v8
	v_fmac_f32_e32 v7, v41, v38
	v_add_f32_e32 v0, v0, v6
	s_delay_alu instid0(VALU_DEP_4) | instskip(SKIP_1) | instid1(VALU_DEP_3)
	v_dual_mul_f32 v6, v60, v52 :: v_dual_add_f32 v1, v1, v5
	v_fma_f32 v2, v61, v47, -v2
	v_dual_fmac_f32 v9, v55, v50 :: v_dual_add_f32 v0, v0, v3
	v_mul_f32_e32 v3, v58, v54
	s_delay_alu instid0(VALU_DEP_4) | instskip(SKIP_3) | instid1(VALU_DEP_4)
	v_add_f32_e32 v1, v1, v7
	v_fma_f32 v5, v59, v51, -v6
	v_fmac_f32_e32 v4, v61, v48
	v_add_f32_e32 v0, v0, v2
	v_dual_mul_f32 v2, v60, v51 :: v_dual_add_f32 v1, v1, v9
	v_fma_f32 v3, v57, v53, -v3
	v_add_co_u32 v124, vcc_lo, v124, s6
	s_delay_alu instid0(VALU_DEP_3) | instskip(SKIP_4) | instid1(VALU_DEP_4)
	v_fmac_f32_e32 v2, v59, v52
	v_add_f32_e32 v0, v0, v5
	v_mul_f32_e32 v5, v72, v66
	v_dual_add_f32 v1, v1, v4 :: v_dual_mul_f32 v4, v58, v53
	v_add_co_ci_u32_e32 v125, vcc_lo, s7, v125, vcc_lo
	v_add_f32_e32 v0, v0, v3
	s_delay_alu instid0(VALU_DEP_4)
	v_fma_f32 v3, v71, v65, -v5
	v_mul_f32_e32 v5, v78, v64
	v_add_f32_e32 v1, v1, v2
	v_fmac_f32_e32 v4, v57, v54
	v_add_co_u32 v126, vcc_lo, v126, s6
	v_add_f32_e32 v0, v0, v3
	v_fma_f32 v3, v77, v63, -v5
	v_mul_f32_e32 v5, v76, v68
	v_dual_mul_f32 v2, v72, v65 :: v_dual_add_f32 v1, v1, v4
	v_mul_f32_e32 v4, v78, v63
	s_delay_alu instid0(VALU_DEP_4) | instskip(NEXT) | instid1(VALU_DEP_4)
	v_add_f32_e32 v0, v0, v3
	v_fma_f32 v3, v75, v67, -v5
	v_mul_f32_e32 v5, v74, v70
	v_add_co_ci_u32_e32 v127, vcc_lo, s7, v127, vcc_lo
	v_fmac_f32_e32 v4, v77, v64
	v_fmac_f32_e32 v2, v71, v66
	v_add_co_u32 v128, vcc_lo, v128, s6
	v_add_co_ci_u32_e32 v129, vcc_lo, s7, v129, vcc_lo
	s_delay_alu instid0(VALU_DEP_3) | instskip(SKIP_2) | instid1(VALU_DEP_3)
	v_dual_add_f32 v1, v1, v2 :: v_dual_mul_f32 v2, v76, v67
	v_add_co_u32 v130, vcc_lo, v130, s6
	v_add_co_ci_u32_e32 v131, vcc_lo, s7, v131, vcc_lo
	v_dual_add_f32 v1, v1, v4 :: v_dual_add_f32 v0, v0, v3
	v_fma_f32 v3, v73, v69, -v5
	v_add_co_u32 v132, vcc_lo, v132, s6
	v_mul_f32_e32 v5, v74, v69
	v_add_co_ci_u32_e32 v133, vcc_lo, s7, v133, vcc_lo
	s_delay_alu instid0(VALU_DEP_4) | instskip(NEXT) | instid1(VALU_DEP_3)
	v_dual_add_f32 v0, v0, v3 :: v_dual_mul_f32 v3, v94, v80
	v_dual_fmac_f32 v2, v75, v68 :: v_dual_fmac_f32 v5, v73, v70
	v_add_co_u32 v134, vcc_lo, v134, s6
	v_add_co_ci_u32_e32 v135, vcc_lo, s7, v135, vcc_lo
	v_add_co_u32 v136, vcc_lo, v136, s6
	s_delay_alu instid0(VALU_DEP_4) | instskip(SKIP_3) | instid1(VALU_DEP_4)
	v_add_f32_e32 v1, v1, v2
	v_mul_f32_e32 v4, v88, v82
	v_add_co_ci_u32_e32 v137, vcc_lo, s7, v137, vcc_lo
	v_add_co_u32 v138, vcc_lo, v138, s6
	v_add_f32_e32 v1, v1, v5
	v_add_co_ci_u32_e32 v139, vcc_lo, s7, v139, vcc_lo
	v_fma_f32 v2, v87, v81, -v4
	v_mul_f32_e32 v4, v88, v81
	v_add_co_u32 v140, vcc_lo, v140, s6
	v_add_co_ci_u32_e32 v141, vcc_lo, s7, v141, vcc_lo
	v_add_co_u32 v142, vcc_lo, v142, s6
	s_delay_alu instid0(VALU_DEP_4) | instskip(SKIP_3) | instid1(VALU_DEP_4)
	v_dual_fmac_f32 v4, v87, v82 :: v_dual_mul_f32 v5, v92, v84
	v_add_f32_e32 v0, v0, v2
	v_fma_f32 v2, v93, v79, -v3
	v_mul_f32_e32 v3, v94, v79
	v_add_f32_e32 v1, v1, v4
	v_add_co_ci_u32_e32 v143, vcc_lo, s7, v143, vcc_lo
	v_add_co_u32 v144, vcc_lo, v144, s6
	v_add_co_ci_u32_e32 v145, vcc_lo, s7, v145, vcc_lo
	v_add_co_u32 v146, vcc_lo, v146, s6
	v_fmac_f32_e32 v3, v93, v80
	v_add_co_ci_u32_e32 v147, vcc_lo, s7, v147, vcc_lo
	v_add_co_u32 v148, vcc_lo, v148, s6
	v_add_co_ci_u32_e32 v149, vcc_lo, s7, v149, vcc_lo
	s_delay_alu instid0(VALU_DEP_4) | instskip(SKIP_4) | instid1(VALU_DEP_4)
	v_dual_add_f32 v0, v0, v2 :: v_dual_add_f32 v1, v1, v3
	v_mul_f32_e32 v6, v90, v85
	v_add_co_u32 v150, vcc_lo, v150, s6
	v_add_co_ci_u32_e32 v151, vcc_lo, s7, v151, vcc_lo
	v_add_co_u32 v152, vcc_lo, v152, s6
	v_fmac_f32_e32 v6, v89, v86
	v_mul_f32_e32 v2, v92, v83
	v_add_co_ci_u32_e32 v153, vcc_lo, s7, v153, vcc_lo
	v_add_co_u32 v154, vcc_lo, v154, s6
	v_add_co_ci_u32_e32 v155, vcc_lo, s7, v155, vcc_lo
	v_add_co_u32 v156, vcc_lo, v156, s6
	v_fma_f32 v4, v91, v83, -v5
	v_dual_mul_f32 v5, v90, v86 :: v_dual_fmac_f32 v2, v91, v84
	v_add_co_ci_u32_e32 v157, vcc_lo, s7, v157, vcc_lo
	v_add_co_u32 v158, vcc_lo, v158, s6
	v_add_co_ci_u32_e32 v159, vcc_lo, s7, v159, vcc_lo
	v_add_f32_e32 v0, v0, v4
	v_fma_f32 v3, v89, v85, -v5
	v_add_f32_e32 v1, v1, v2
	v_add_co_u32 v160, vcc_lo, v160, s6
	v_add_co_ci_u32_e32 v161, vcc_lo, s7, v161, vcc_lo
	s_delay_alu instid0(VALU_DEP_3)
	v_add_f32_e32 v27, v1, v6
	v_add_co_u32 v162, vcc_lo, v162, s6
	v_add_f32_e32 v26, v0, v3
	v_add_nc_u32_e32 v28, 64, v28
	v_add_co_ci_u32_e32 v163, vcc_lo, s7, v163, vcc_lo
	s_add_i32 s5, s14, 2
	s_add_i32 s1, s14, 1
	;; [unrolled: 1-line block ×3, first 2 shown]
	s_cmp_ge_u32 s5, s28
	s_waitcnt_vscnt null, 0x0
	s_barrier
	buffer_gl0_inv
	s_cbranch_scc1 .LBB115_152
; %bb.151:                              ;   in Loop: Header=BB115_100 Depth=1
	s_mov_b32 s14, s1
	s_delay_alu instid0(SALU_CYCLE_1)
	s_cmp_eq_u32 s15, s14
	s_cselect_b32 s12, s29, 0
	s_and_saveexec_b32 s1, s2
	s_cbranch_execnz .LBB115_96
	s_branch .LBB115_100
.LBB115_152:
	v_cmp_gt_i32_e32 vcc_lo, s8, v25
	v_mad_u32_u24 v0, 0x218, v95, v96
	s_or_b32 s0, s30, vcc_lo
	ds_store_b64 v0, v[26:27]
	s_and_b32 s0, s2, s0
	s_waitcnt lgkmcnt(0)
	s_barrier
	buffer_gl0_inv
	s_and_saveexec_b32 s1, s0
	s_cbranch_execz .LBB115_154
; %bb.153:
	ds_load_2addr_b64 v[0:3], v96 offset1:67
	ds_load_2addr_b64 v[4:7], v96 offset0:134 offset1:201
	v_ashrrev_i32_e32 v25, 31, v24
	s_waitcnt lgkmcnt(1)
	v_dual_add_f32 v0, v2, v0 :: v_dual_add_f32 v1, v3, v1
	s_waitcnt lgkmcnt(0)
	s_delay_alu instid0(VALU_DEP_1) | instskip(SKIP_1) | instid1(VALU_DEP_2)
	v_dual_add_f32 v2, v0, v4 :: v_dual_add_f32 v3, v1, v5
	v_lshlrev_b64 v[0:1], 3, v[24:25]
	v_dual_add_f32 v2, v2, v6 :: v_dual_add_f32 v3, v3, v7
	s_delay_alu instid0(VALU_DEP_2) | instskip(NEXT) | instid1(VALU_DEP_3)
	v_add_co_u32 v0, vcc_lo, s3, v0
	v_add_co_ci_u32_e32 v1, vcc_lo, s9, v1, vcc_lo
	global_store_b64 v[0:1], v[2:3], off
.LBB115_154:
	s_nop 0
	s_sendmsg sendmsg(MSG_DEALLOC_VGPRS)
	s_endpgm
	.section	.rodata,"a",@progbits
	.p2align	6, 0x0
	.amdhsa_kernel _ZL26rocblas_hemvn_kernel_upperILb0ELi64ELi4ELi33ELi32ELi16EiPK19rocblas_complex_numIfES3_PS1_EviT6_lT7_lT5_lS6_lS7_lS5_lT8_i
		.amdhsa_group_segment_fixed_size 9600
		.amdhsa_private_segment_fixed_size 0
		.amdhsa_kernarg_size 376
		.amdhsa_user_sgpr_count 14
		.amdhsa_user_sgpr_dispatch_ptr 0
		.amdhsa_user_sgpr_queue_ptr 0
		.amdhsa_user_sgpr_kernarg_segment_ptr 1
		.amdhsa_user_sgpr_dispatch_id 0
		.amdhsa_user_sgpr_private_segment_size 0
		.amdhsa_wavefront_size32 1
		.amdhsa_uses_dynamic_stack 0
		.amdhsa_enable_private_segment 0
		.amdhsa_system_sgpr_workgroup_id_x 1
		.amdhsa_system_sgpr_workgroup_id_y 0
		.amdhsa_system_sgpr_workgroup_id_z 1
		.amdhsa_system_sgpr_workgroup_info 0
		.amdhsa_system_vgpr_workitem_id 1
		.amdhsa_next_free_vgpr 171
		.amdhsa_next_free_sgpr 38
		.amdhsa_reserve_vcc 1
		.amdhsa_float_round_mode_32 0
		.amdhsa_float_round_mode_16_64 0
		.amdhsa_float_denorm_mode_32 3
		.amdhsa_float_denorm_mode_16_64 3
		.amdhsa_dx10_clamp 1
		.amdhsa_ieee_mode 1
		.amdhsa_fp16_overflow 0
		.amdhsa_workgroup_processor_mode 1
		.amdhsa_memory_ordered 1
		.amdhsa_forward_progress 0
		.amdhsa_shared_vgpr_count 0
		.amdhsa_exception_fp_ieee_invalid_op 0
		.amdhsa_exception_fp_denorm_src 0
		.amdhsa_exception_fp_ieee_div_zero 0
		.amdhsa_exception_fp_ieee_overflow 0
		.amdhsa_exception_fp_ieee_underflow 0
		.amdhsa_exception_fp_ieee_inexact 0
		.amdhsa_exception_int_div_zero 0
	.end_amdhsa_kernel
	.section	.text._ZL26rocblas_hemvn_kernel_upperILb0ELi64ELi4ELi33ELi32ELi16EiPK19rocblas_complex_numIfES3_PS1_EviT6_lT7_lT5_lS6_lS7_lS5_lT8_i,"axG",@progbits,_ZL26rocblas_hemvn_kernel_upperILb0ELi64ELi4ELi33ELi32ELi16EiPK19rocblas_complex_numIfES3_PS1_EviT6_lT7_lT5_lS6_lS7_lS5_lT8_i,comdat
.Lfunc_end115:
	.size	_ZL26rocblas_hemvn_kernel_upperILb0ELi64ELi4ELi33ELi32ELi16EiPK19rocblas_complex_numIfES3_PS1_EviT6_lT7_lT5_lS6_lS7_lS5_lT8_i, .Lfunc_end115-_ZL26rocblas_hemvn_kernel_upperILb0ELi64ELi4ELi33ELi32ELi16EiPK19rocblas_complex_numIfES3_PS1_EviT6_lT7_lT5_lS6_lS7_lS5_lT8_i
                                        ; -- End function
	.section	.AMDGPU.csdata,"",@progbits
; Kernel info:
; codeLenInByte = 9976
; NumSgprs: 40
; NumVgprs: 171
; ScratchSize: 0
; MemoryBound: 1
; FloatMode: 240
; IeeeMode: 1
; LDSByteSize: 9600 bytes/workgroup (compile time only)
; SGPRBlocks: 4
; VGPRBlocks: 21
; NumSGPRsForWavesPerEU: 40
; NumVGPRsForWavesPerEU: 171
; Occupancy: 8
; WaveLimiterHint : 1
; COMPUTE_PGM_RSRC2:SCRATCH_EN: 0
; COMPUTE_PGM_RSRC2:USER_SGPR: 14
; COMPUTE_PGM_RSRC2:TRAP_HANDLER: 0
; COMPUTE_PGM_RSRC2:TGID_X_EN: 1
; COMPUTE_PGM_RSRC2:TGID_Y_EN: 0
; COMPUTE_PGM_RSRC2:TGID_Z_EN: 1
; COMPUTE_PGM_RSRC2:TIDIG_COMP_CNT: 1
	.section	.text._ZL26rocblas_hemvn_kernel_upperILb0ELi64ELi4ELi33ELi32ELi16El19rocblas_complex_numIfEPKS1_PS1_EviT6_lT7_lT5_lS6_lS7_lS5_lT8_i,"axG",@progbits,_ZL26rocblas_hemvn_kernel_upperILb0ELi64ELi4ELi33ELi32ELi16El19rocblas_complex_numIfEPKS1_PS1_EviT6_lT7_lT5_lS6_lS7_lS5_lT8_i,comdat
	.globl	_ZL26rocblas_hemvn_kernel_upperILb0ELi64ELi4ELi33ELi32ELi16El19rocblas_complex_numIfEPKS1_PS1_EviT6_lT7_lT5_lS6_lS7_lS5_lT8_i ; -- Begin function _ZL26rocblas_hemvn_kernel_upperILb0ELi64ELi4ELi33ELi32ELi16El19rocblas_complex_numIfEPKS1_PS1_EviT6_lT7_lT5_lS6_lS7_lS5_lT8_i
	.p2align	8
	.type	_ZL26rocblas_hemvn_kernel_upperILb0ELi64ELi4ELi33ELi32ELi16El19rocblas_complex_numIfEPKS1_PS1_EviT6_lT7_lT5_lS6_lS7_lS5_lT8_i,@function
_ZL26rocblas_hemvn_kernel_upperILb0ELi64ELi4ELi33ELi32ELi16El19rocblas_complex_numIfEPKS1_PS1_EviT6_lT7_lT5_lS6_lS7_lS5_lT8_i: ; @_ZL26rocblas_hemvn_kernel_upperILb0ELi64ELi4ELi33ELi32ELi16El19rocblas_complex_numIfEPKS1_PS1_EviT6_lT7_lT5_lS6_lS7_lS5_lT8_i
; %bb.0:
	s_load_b64 s[4:5], s[0:1], 0x84
	s_add_u32 s2, s0, 0x78
	s_addc_u32 s3, s1, 0
	s_waitcnt lgkmcnt(0)
	s_lshr_b32 s6, s4, 16
	s_and_b32 s4, s4, 0xffff
	s_and_b32 s5, s5, 0xffff
	s_mul_i32 s4, s6, s4
	s_delay_alu instid0(SALU_CYCLE_1) | instskip(NEXT) | instid1(SALU_CYCLE_1)
	s_mul_i32 s4, s4, s5
	s_cmpk_lg_i32 s4, 0x100
	s_cbranch_scc1 .LBB116_154
; %bb.1:
	s_load_b64 s[4:5], s[0:1], 0x4
	s_waitcnt lgkmcnt(0)
	s_or_b32 s4, s4, s5
	s_mov_b32 s5, -1
	s_bitset0_b32 s4, 31
	s_delay_alu instid0(SALU_CYCLE_1) | instskip(SKIP_1) | instid1(SALU_CYCLE_1)
	s_cmp_lg_u32 s4, 0
	s_cselect_b32 s4, -1, 0
	s_and_b32 vcc_lo, exec_lo, s4
	s_cbranch_vccnz .LBB116_3
; %bb.2:
	s_load_b64 s[6:7], s[0:1], 0x58
	s_waitcnt lgkmcnt(0)
	v_cmp_neq_f32_e64 s5, s6, 1.0
	v_cmp_neq_f32_e64 s6, s7, 0
	s_delay_alu instid0(VALU_DEP_1)
	s_or_b32 s5, s5, s6
.LBB116_3:
	s_delay_alu instid0(SALU_CYCLE_1)
	s_and_not1_b32 vcc_lo, exec_lo, s5
	s_cbranch_vccnz .LBB116_154
; %bb.4:
	s_and_not1_b32 vcc_lo, exec_lo, s4
	s_cbranch_vccnz .LBB116_154
; %bb.5:
	s_load_b512 s[16:31], s[0:1], 0x18
	v_and_b32_e32 v93, 0x3ff, v0
	s_load_b32 s9, s[2:3], 0x0
	v_bfe_u32 v94, v0, 10, 10
	s_waitcnt lgkmcnt(0)
	s_mul_i32 s5, s15, s31
	s_mul_hi_u32 s6, s15, s30
	s_mul_i32 s4, s15, s30
	s_add_i32 s5, s6, s5
	s_load_b32 s30, s[0:1], 0x0
	s_lshl_b64 s[4:5], s[4:5], 3
	s_delay_alu instid0(SALU_CYCLE_1) | instskip(SKIP_2) | instid1(SALU_CYCLE_1)
	s_add_u32 s6, s24, s4
	s_addc_u32 s7, s25, s5
	s_lshl_b64 s[4:5], s[26:27], 3
	s_add_u32 s4, s6, s4
	s_addc_u32 s5, s7, s5
	s_lshl_b32 s12, s14, 6
	s_add_i32 s3, s9, -1
	v_add_nc_u32_e32 v24, s12, v93
	s_delay_alu instid0(VALU_DEP_1)
	v_ashrrev_i32_e32 v25, 31, v24
	v_mul_lo_u32 v3, v24, s29
	v_mad_u64_u32 v[1:2], null, v24, s28, 0
	s_waitcnt lgkmcnt(0)
	s_ashr_i32 s25, s30, 31
	v_mul_lo_u32 v4, v25, s28
	s_lshr_b32 s2, s25, 26
	s_delay_alu instid0(SALU_CYCLE_1) | instskip(NEXT) | instid1(SALU_CYCLE_1)
	s_add_i32 s2, s30, s2
	s_and_not1_b32 s2, s2, 63
	s_delay_alu instid0(SALU_CYCLE_1) | instskip(NEXT) | instid1(VALU_DEP_1)
	s_sub_i32 s24, s30, s2
	v_add3_u32 v2, v2, v3, v4
	v_cmp_eq_u32_e64 s2, 0, v94
	s_cmp_eq_u32 s14, s3
	s_cselect_b32 s10, s24, 0
	s_delay_alu instid0(VALU_DEP_2) | instskip(NEXT) | instid1(VALU_DEP_1)
	v_lshlrev_b64 v[1:2], 3, v[1:2]
	v_add_co_u32 v14, vcc_lo, s4, v1
	s_delay_alu instid0(VALU_DEP_2)
	v_add_co_ci_u32_e32 v15, vcc_lo, s5, v2, vcc_lo
	s_mov_b32 s4, -1
	s_and_saveexec_b32 s3, s2
	s_cbranch_execz .LBB116_10
; %bb.6:
	v_cmp_le_i32_e32 vcc_lo, s10, v93
	s_cmp_lg_u32 s10, 0
	v_lshl_add_u32 v0, v93, 3, 0x2380
	s_cselect_b32 s5, -1, 0
	s_delay_alu instid0(SALU_CYCLE_1) | instskip(NEXT) | instid1(SALU_CYCLE_1)
	s_and_b32 s5, s5, vcc_lo
	s_and_saveexec_b32 s6, s5
	s_delay_alu instid0(SALU_CYCLE_1)
	s_xor_b32 s5, exec_lo, s6
	s_cbranch_execz .LBB116_8
; %bb.7:
	v_mov_b32_e32 v1, 0
	s_delay_alu instid0(VALU_DEP_1)
	v_mov_b32_e32 v2, v1
	ds_store_b64 v0, v[1:2]
                                        ; implicit-def: $vgpr0
.LBB116_8:
	s_and_not1_saveexec_b32 s5, s5
	s_cbranch_execz .LBB116_10
; %bb.9:
	global_load_b64 v[1:2], v[14:15], off
	s_waitcnt vmcnt(0)
	ds_store_b64 v0, v[1:2]
.LBB116_10:
	s_or_b32 exec_lo, exec_lo, s3
	v_lshl_add_u32 v22, v94, 6, v93
	v_dual_mov_b32 v1, 0 :: v_dual_and_b32 v0, 31, v93
	s_mul_i32 s3, s15, s23
	s_mul_hi_u32 s5, s15, s22
	s_delay_alu instid0(VALU_DEP_2)
	v_lshrrev_b32_e32 v7, 5, v22
	s_add_i32 s7, s5, s3
	s_mul_i32 s6, s15, s22
	v_lshlrev_b32_e32 v9, 3, v0
	s_lshl_b64 s[6:7], s[6:7], 3
	v_mad_u64_u32 v[2:3], null, v7, s20, v[0:1]
	s_add_u32 s3, s16, s6
	s_addc_u32 s5, s17, s7
	s_lshl_b64 s[6:7], s[18:19], 3
	v_mul_u32_u24_e32 v8, 33, v7
	s_add_u32 s3, s3, s6
	s_addc_u32 s5, s5, s7
	s_delay_alu instid0(VALU_DEP_2) | instskip(SKIP_1) | instid1(SALU_CYCLE_1)
	v_mov_b32_e32 v1, v3
	s_ashr_i32 s13, s12, 31
	s_lshl_b64 s[6:7], s[12:13], 3
	s_delay_alu instid0(SALU_CYCLE_1) | instskip(NEXT) | instid1(VALU_DEP_1)
	s_add_u32 s3, s3, s6
	v_mad_u64_u32 v[3:4], null, v7, s21, v[1:2]
	s_addc_u32 s5, s5, s7
	s_mul_i32 s6, s12, s21
	s_mul_hi_u32 s7, s12, s20
	s_delay_alu instid0(SALU_CYCLE_1) | instskip(SKIP_1) | instid1(VALU_DEP_1)
	s_add_i32 s6, s7, s6
	s_mul_i32 s7, s13, s20
	v_lshlrev_b64 v[12:13], 3, v[2:3]
	s_add_i32 s7, s6, s7
	s_mul_i32 s6, s12, s20
	s_delay_alu instid0(SALU_CYCLE_1) | instskip(NEXT) | instid1(SALU_CYCLE_1)
	s_lshl_b64 s[6:7], s[6:7], 3
	s_add_u32 s3, s6, s3
	s_addc_u32 s5, s7, s5
	s_cmp_eq_u32 s10, 0
	v_add_co_u32 v3, s3, s3, v12
	s_cselect_b32 s18, -1, 0
	s_cmp_lg_u32 s10, 0
	v_add_co_ci_u32_e64 v4, s3, s5, v13, s3
	v_cmp_gt_i32_e64 s3, s10, v0
	s_cselect_b32 s19, -1, 0
	s_delay_alu instid0(SALU_CYCLE_1)
	s_and_b32 vcc_lo, exec_lo, s19
	s_cbranch_vccz .LBB116_28
; %bb.11:
	v_sub_co_u32 v1, vcc_lo, v3, v9
	s_ashr_i32 s11, s10, 31
	v_subrev_co_ci_u32_e32 v2, vcc_lo, 0, v4, vcc_lo
	s_lshl_b64 s[4:5], s[10:11], 3
	v_add_lshl_u32 v5, v8, v0, 3
	v_add_co_u32 v1, vcc_lo, v1, s4
	s_delay_alu instid0(VALU_DEP_3) | instskip(SKIP_1) | instid1(VALU_DEP_2)
	v_add_co_ci_u32_e32 v2, vcc_lo, s5, v2, vcc_lo
	s_mov_b32 s6, exec_lo
	v_add_co_u32 v1, vcc_lo, v1, -8
	s_delay_alu instid0(VALU_DEP_2) | instskip(NEXT) | instid1(VALU_DEP_2)
	v_add_co_ci_u32_e32 v2, vcc_lo, -1, v2, vcc_lo
	v_cndmask_b32_e64 v1, v1, v3, s3
	s_delay_alu instid0(VALU_DEP_2)
	v_cndmask_b32_e64 v2, v2, v4, s3
	v_cmpx_le_i32_e64 s10, v7
	s_xor_b32 s6, exec_lo, s6
	s_cbranch_execz .LBB116_13
; %bb.12:
	v_mov_b32_e32 v10, 0
	s_delay_alu instid0(VALU_DEP_1)
	v_mov_b32_e32 v11, v10
	ds_store_b64 v5, v[10:11]
.LBB116_13:
	s_and_not1_saveexec_b32 s6, s6
	s_cbranch_execz .LBB116_15
; %bb.14:
	global_load_b64 v[10:11], v[1:2], off
	s_waitcnt vmcnt(0)
	ds_store_b64 v5, v[10:11]
.LBB116_15:
	s_or_b32 exec_lo, exec_lo, s6
	v_add_nc_u32_e32 v6, 8, v7
	s_mov_b32 s6, exec_lo
	s_delay_alu instid0(VALU_DEP_1)
	v_cmpx_le_i32_e64 s10, v6
	s_xor_b32 s6, exec_lo, s6
	s_cbranch_execz .LBB116_17
; %bb.16:
	v_mul_u32_u24_e32 v6, 33, v6
	v_mov_b32_e32 v10, 0
	s_delay_alu instid0(VALU_DEP_2) | instskip(NEXT) | instid1(VALU_DEP_2)
	v_add_lshl_u32 v6, v6, v0, 3
	v_mov_b32_e32 v11, v10
	ds_store_b64 v6, v[10:11]
.LBB116_17:
	s_and_not1_saveexec_b32 s6, s6
	s_cbranch_execz .LBB116_19
; %bb.18:
	s_lshl_b64 s[16:17], s[20:21], 6
	s_delay_alu instid0(SALU_CYCLE_1)
	v_add_co_u32 v10, vcc_lo, v1, s16
	v_add_co_ci_u32_e32 v11, vcc_lo, s17, v2, vcc_lo
	global_load_b64 v[10:11], v[10:11], off
	s_waitcnt vmcnt(0)
	ds_store_b64 v5, v[10:11] offset:2112
.LBB116_19:
	s_or_b32 exec_lo, exec_lo, s6
	v_add_nc_u32_e32 v6, 16, v7
	s_mov_b32 s6, exec_lo
	s_delay_alu instid0(VALU_DEP_1)
	v_cmpx_le_i32_e64 s10, v6
	s_xor_b32 s6, exec_lo, s6
	s_cbranch_execz .LBB116_21
; %bb.20:
	v_mov_b32_e32 v10, 0
	s_delay_alu instid0(VALU_DEP_1)
	v_mov_b32_e32 v11, v10
	ds_store_b64 v5, v[10:11] offset:4224
.LBB116_21:
	s_and_not1_saveexec_b32 s6, s6
	s_cbranch_execz .LBB116_23
; %bb.22:
	s_lshl_b64 s[16:17], s[20:21], 7
	s_delay_alu instid0(SALU_CYCLE_1)
	v_add_co_u32 v10, vcc_lo, v1, s16
	v_add_co_ci_u32_e32 v11, vcc_lo, s17, v2, vcc_lo
	global_load_b64 v[10:11], v[10:11], off
	s_waitcnt vmcnt(0)
	ds_store_b64 v5, v[10:11] offset:4224
.LBB116_23:
	s_or_b32 exec_lo, exec_lo, s6
	v_add_nc_u32_e32 v6, 24, v7
	s_mov_b32 s6, exec_lo
	s_delay_alu instid0(VALU_DEP_1)
	v_cmpx_le_i32_e64 s10, v6
	s_xor_b32 s6, exec_lo, s6
	s_cbranch_execz .LBB116_25
; %bb.24:
	v_mov_b32_e32 v10, 0
	s_delay_alu instid0(VALU_DEP_1)
	v_mov_b32_e32 v11, v10
	ds_store_b64 v5, v[10:11] offset:6336
                                        ; implicit-def: $vgpr5
.LBB116_25:
	s_and_not1_saveexec_b32 s6, s6
	s_cbranch_execz .LBB116_27
; %bb.26:
	v_mad_u64_u32 v[10:11], null, 0xc0, s20, v[1:2]
	s_delay_alu instid0(VALU_DEP_1) | instskip(NEXT) | instid1(VALU_DEP_1)
	v_mov_b32_e32 v6, v11
	v_mad_u64_u32 v[16:17], null, 0xc0, s21, v[6:7]
	s_delay_alu instid0(VALU_DEP_1)
	v_mov_b32_e32 v11, v16
	global_load_b64 v[10:11], v[10:11], off
	s_waitcnt vmcnt(0)
	ds_store_b64 v5, v[10:11] offset:6336
.LBB116_27:
	s_or_b32 exec_lo, exec_lo, s6
	v_add_co_u32 v1, vcc_lo, v1, v9
	v_add_co_ci_u32_e32 v2, vcc_lo, 0, v2, vcc_lo
	s_delay_alu instid0(VALU_DEP_2) | instskip(NEXT) | instid1(VALU_DEP_2)
	v_sub_co_u32 v1, vcc_lo, v1, s4
	v_subrev_co_ci_u32_e32 v2, vcc_lo, s5, v2, vcc_lo
	s_delay_alu instid0(VALU_DEP_2) | instskip(NEXT) | instid1(VALU_DEP_2)
	v_add_co_u32 v1, vcc_lo, v1, 8
	v_add_co_ci_u32_e32 v2, vcc_lo, 0, v2, vcc_lo
	s_delay_alu instid0(VALU_DEP_2) | instskip(NEXT) | instid1(VALU_DEP_2)
	v_cndmask_b32_e64 v1, v1, v3, s3
	v_cndmask_b32_e64 v2, v2, v4, s3
	s_branch .LBB116_30
.LBB116_28:
                                        ; implicit-def: $vgpr1_vgpr2
	s_and_b32 vcc_lo, exec_lo, s4
	s_cbranch_vccz .LBB116_30
; %bb.29:
	v_mad_u64_u32 v[1:2], null, 0xc0, s20, v[3:4]
	s_lshl_b64 s[4:5], s[20:21], 6
	v_add_lshl_u32 v20, v8, v0, 3
	v_add_co_u32 v10, vcc_lo, v3, s4
	v_add_co_ci_u32_e32 v11, vcc_lo, s5, v4, vcc_lo
	s_delay_alu instid0(VALU_DEP_4) | instskip(NEXT) | instid1(VALU_DEP_3)
	v_mad_u64_u32 v[5:6], null, 0xc0, s21, v[2:3]
	v_add_co_u32 v16, vcc_lo, v10, s4
	s_delay_alu instid0(VALU_DEP_3) | instskip(NEXT) | instid1(VALU_DEP_3)
	v_add_co_ci_u32_e32 v17, vcc_lo, s5, v11, vcc_lo
	v_mov_b32_e32 v2, v5
	s_clause 0x1
	global_load_b64 v[5:6], v[3:4], off
	global_load_b64 v[10:11], v[10:11], off
	;; [unrolled: 1-line block ×4, first 2 shown]
	v_dual_mov_b32 v1, v3 :: v_dual_mov_b32 v2, v4
	s_waitcnt vmcnt(3)
	ds_store_b64 v20, v[5:6]
	s_waitcnt vmcnt(2)
	ds_store_b64 v20, v[10:11] offset:2112
	s_waitcnt vmcnt(1)
	ds_store_b64 v20, v[16:17] offset:4224
	;; [unrolled: 2-line block ×3, first 2 shown]
.LBB116_30:
	v_lshlrev_b32_e32 v3, 2, v7
	v_mul_u32_u24_e32 v10, 33, v0
	v_mul_u32_u24_e32 v4, 0x84, v7
	s_waitcnt lgkmcnt(0)
	s_barrier
	v_cmp_gt_u32_e64 s4, v3, v0
	v_add_lshl_u32 v16, v3, v10, 3
	buffer_gl0_inv
	s_and_saveexec_b32 s3, s4
	s_cbranch_execz .LBB116_32
; %bb.31:
	v_add_lshl_u32 v5, v4, v0, 3
	ds_load_b64 v[5:6], v5
	s_waitcnt lgkmcnt(0)
	ds_store_b64 v16, v[5:6]
.LBB116_32:
	s_or_b32 exec_lo, exec_lo, s3
	v_cmp_ge_u32_e64 s5, v3, v0
	s_delay_alu instid0(VALU_DEP_1)
	s_and_saveexec_b32 s3, s5
	s_cbranch_execz .LBB116_34
; %bb.33:
	v_or_b32_e32 v5, 1, v3
	s_delay_alu instid0(VALU_DEP_1) | instskip(NEXT) | instid1(VALU_DEP_1)
	v_mul_u32_u24_e32 v5, 33, v5
	v_add_lshl_u32 v5, v5, v0, 3
	ds_load_b64 v[5:6], v5
	s_waitcnt lgkmcnt(0)
	ds_store_b64 v16, v[5:6] offset:8
.LBB116_34:
	s_or_b32 exec_lo, exec_lo, s3
	v_or_b32_e32 v5, 2, v3
	s_delay_alu instid0(VALU_DEP_1) | instskip(NEXT) | instid1(VALU_DEP_1)
	v_cmp_gt_u32_e64 s6, v5, v0
	s_and_saveexec_b32 s3, s6
	s_cbranch_execz .LBB116_36
; %bb.35:
	v_mul_u32_u24_e32 v5, 33, v5
	s_delay_alu instid0(VALU_DEP_1)
	v_add_lshl_u32 v5, v5, v0, 3
	ds_load_b64 v[5:6], v5
	s_waitcnt lgkmcnt(0)
	ds_store_b64 v16, v[5:6] offset:16
.LBB116_36:
	s_or_b32 exec_lo, exec_lo, s3
	v_or_b32_e32 v5, 3, v3
	s_delay_alu instid0(VALU_DEP_1) | instskip(SKIP_1) | instid1(VALU_DEP_2)
	v_mad_u32_u24 v6, v5, 33, v0
	v_cmp_gt_u32_e64 s7, v5, v0
	v_lshlrev_b32_e32 v18, 3, v6
	s_delay_alu instid0(VALU_DEP_2)
	s_and_saveexec_b32 s3, s7
	s_cbranch_execz .LBB116_38
; %bb.37:
	ds_load_b64 v[5:6], v18
	s_waitcnt lgkmcnt(0)
	ds_store_b64 v16, v[5:6] offset:24
.LBB116_38:
	s_or_b32 exec_lo, exec_lo, s3
	v_add_lshl_u32 v11, v4, v0, 3
	v_lshlrev_b32_e32 v17, 3, v3
	v_add_nc_u32_e32 v19, 0xfffffdf0, v18
	s_waitcnt lgkmcnt(0)
	s_barrier
	buffer_gl0_inv
	ds_load_b64 v[20:21], v11
	ds_load_b128 v[3:6], v17 offset:9088
	ds_load_2addr_b64 v[26:29], v19 offset1:33
	ds_load_b128 v[30:33], v17 offset:9104
	ds_load_b64 v[34:35], v18
	v_cmp_gt_u32_e64 s3, 32, v22
	s_waitcnt lgkmcnt(0)
	s_barrier
	buffer_gl0_inv
	v_mul_f32_e32 v23, v4, v21
	v_dual_mul_f32 v21, v3, v21 :: v_dual_mul_f32 v36, v6, v27
	v_mul_f32_e32 v27, v5, v27
	s_delay_alu instid0(VALU_DEP_2) | instskip(NEXT) | instid1(VALU_DEP_4)
	v_dual_fmac_f32 v21, v4, v20 :: v_dual_mul_f32 v4, v33, v35
	v_fma_f32 v3, v3, v20, -v23
	v_dual_mul_f32 v20, v32, v35 :: v_dual_mul_f32 v37, v31, v29
	v_fma_f32 v5, v5, v26, -v36
	v_fmac_f32_e32 v27, v6, v26
	s_delay_alu instid0(VALU_DEP_3) | instskip(SKIP_3) | instid1(VALU_DEP_4)
	v_dual_add_f32 v3, 0, v3 :: v_dual_fmac_f32 v20, v33, v34
	v_mul_f32_e32 v29, v30, v29
	v_add_f32_e32 v6, 0, v21
	v_fma_f32 v21, v30, v28, -v37
	v_add_f32_e32 v3, v3, v5
	v_fma_f32 v4, v32, v34, -v4
	v_fmac_f32_e32 v29, v31, v28
	v_add_f32_e32 v5, v6, v27
	v_add_lshl_u32 v28, v7, v10, 3
	v_dual_add_f32 v3, v3, v21 :: v_dual_mov_b32 v26, 0
	v_lshlrev_b32_e32 v23, 3, v10
	s_delay_alu instid0(VALU_DEP_4) | instskip(SKIP_1) | instid1(VALU_DEP_4)
	v_add_f32_e32 v5, v5, v29
	v_mov_b32_e32 v27, 0
	v_add_f32_e32 v3, v3, v4
	s_delay_alu instid0(VALU_DEP_3)
	v_add_f32_e32 v4, v5, v20
	ds_store_b64 v28, v[3:4]
	s_waitcnt lgkmcnt(0)
	s_barrier
	buffer_gl0_inv
	s_and_saveexec_b32 s8, s3
	s_cbranch_execz .LBB116_40
; %bb.39:
	ds_load_2addr_b64 v[3:6], v23 offset1:7
	ds_load_2addr_b64 v[29:32], v23 offset0:1 offset1:2
	ds_load_2addr_b64 v[33:36], v23 offset0:3 offset1:4
	;; [unrolled: 1-line block ×3, first 2 shown]
	s_waitcnt lgkmcnt(2)
	v_dual_add_f32 v3, v29, v3 :: v_dual_add_f32 v4, v30, v4
	s_delay_alu instid0(VALU_DEP_1) | instskip(SKIP_1) | instid1(VALU_DEP_1)
	v_dual_add_f32 v3, v3, v31 :: v_dual_add_f32 v4, v4, v32
	s_waitcnt lgkmcnt(1)
	v_dual_add_f32 v3, v3, v33 :: v_dual_add_f32 v4, v4, v34
	s_delay_alu instid0(VALU_DEP_1) | instskip(SKIP_1) | instid1(VALU_DEP_1)
	v_dual_add_f32 v3, v3, v35 :: v_dual_add_f32 v4, v4, v36
	s_waitcnt lgkmcnt(0)
	v_dual_add_f32 v3, v3, v37 :: v_dual_add_f32 v4, v4, v38
	s_delay_alu instid0(VALU_DEP_1) | instskip(NEXT) | instid1(VALU_DEP_1)
	v_dual_add_f32 v3, v3, v39 :: v_dual_add_f32 v4, v4, v40
	v_dual_add_f32 v26, v3, v5 :: v_dual_add_f32 v27, v4, v6
.LBB116_40:
	s_or_b32 exec_lo, exec_lo, s8
	s_lshl_b64 s[16:17], s[20:21], 8
	s_delay_alu instid0(SALU_CYCLE_1) | instskip(SKIP_2) | instid1(VALU_DEP_2)
	v_add_co_u32 v5, vcc_lo, v1, s16
	v_add_co_ci_u32_e32 v6, vcc_lo, s17, v2, vcc_lo
	s_barrier
	v_add_co_u32 v3, vcc_lo, 0x100, v5
	s_delay_alu instid0(VALU_DEP_2)
	v_add_co_ci_u32_e32 v4, vcc_lo, 0, v6, vcc_lo
	s_and_b32 vcc_lo, exec_lo, s19
	buffer_gl0_inv
	s_cbranch_vccz .LBB116_58
; %bb.41:
	v_sub_co_u32 v1, vcc_lo, v3, v9
	s_ashr_i32 s11, s10, 31
	v_subrev_co_ci_u32_e32 v2, vcc_lo, 0, v4, vcc_lo
	s_lshl_b64 s[16:17], s[10:11], 3
	v_or_b32_e32 v20, 32, v0
	v_add_co_u32 v1, vcc_lo, v1, s16
	s_delay_alu instid0(VALU_DEP_3) | instskip(SKIP_1) | instid1(VALU_DEP_2)
	v_add_co_ci_u32_e32 v2, vcc_lo, s17, v2, vcc_lo
	s_sub_i32 s11, s10, 32
	v_add_co_u32 v1, vcc_lo, 0xfffffef8, v1
	s_delay_alu instid0(VALU_DEP_2) | instskip(SKIP_3) | instid1(VALU_DEP_4)
	v_add_co_ci_u32_e32 v2, vcc_lo, -1, v2, vcc_lo
	v_cmp_gt_i32_e32 vcc_lo, s10, v20
	v_cmp_le_i32_e64 s8, s11, v7
	v_add_lshl_u32 v20, v8, v0, 3
	v_dual_cndmask_b32 v2, v2, v4 :: v_dual_cndmask_b32 v1, v1, v3
	s_delay_alu instid0(VALU_DEP_3) | instskip(NEXT) | instid1(SALU_CYCLE_1)
	s_and_saveexec_b32 s22, s8
	s_xor_b32 s8, exec_lo, s22
	s_cbranch_execz .LBB116_43
; %bb.42:
	v_mov_b32_e32 v29, 0
	s_delay_alu instid0(VALU_DEP_1)
	v_mov_b32_e32 v30, v29
	ds_store_b64 v20, v[29:30]
.LBB116_43:
	s_and_not1_saveexec_b32 s8, s8
	s_cbranch_execz .LBB116_45
; %bb.44:
	global_load_b64 v[29:30], v[1:2], off
	s_waitcnt vmcnt(0)
	ds_store_b64 v20, v[29:30]
.LBB116_45:
	s_or_b32 exec_lo, exec_lo, s8
	v_add_nc_u32_e32 v21, 8, v7
	s_delay_alu instid0(VALU_DEP_1) | instskip(NEXT) | instid1(VALU_DEP_1)
	v_cmp_le_i32_e64 s8, s11, v21
	s_and_saveexec_b32 s22, s8
	s_delay_alu instid0(SALU_CYCLE_1)
	s_xor_b32 s8, exec_lo, s22
	s_cbranch_execz .LBB116_47
; %bb.46:
	v_mul_u32_u24_e32 v21, 33, v21
	v_mov_b32_e32 v29, 0
	s_delay_alu instid0(VALU_DEP_2) | instskip(NEXT) | instid1(VALU_DEP_2)
	v_add_lshl_u32 v21, v21, v0, 3
	v_mov_b32_e32 v30, v29
	ds_store_b64 v21, v[29:30]
.LBB116_47:
	s_and_not1_saveexec_b32 s22, s8
	s_cbranch_execz .LBB116_49
; %bb.48:
	s_lshl_b64 s[26:27], s[20:21], 6
	s_delay_alu instid0(SALU_CYCLE_1) | instskip(NEXT) | instid1(VALU_DEP_1)
	v_add_co_u32 v29, s8, v1, s26
	v_add_co_ci_u32_e64 v30, s8, s27, v2, s8
	global_load_b64 v[29:30], v[29:30], off
	s_waitcnt vmcnt(0)
	ds_store_b64 v20, v[29:30] offset:2112
.LBB116_49:
	s_or_b32 exec_lo, exec_lo, s22
	v_add_nc_u32_e32 v21, 16, v7
	s_delay_alu instid0(VALU_DEP_1) | instskip(NEXT) | instid1(VALU_DEP_1)
	v_cmp_le_i32_e64 s8, s11, v21
	s_and_saveexec_b32 s22, s8
	s_delay_alu instid0(SALU_CYCLE_1)
	s_xor_b32 s8, exec_lo, s22
	s_cbranch_execz .LBB116_51
; %bb.50:
	v_mov_b32_e32 v29, 0
	s_delay_alu instid0(VALU_DEP_1)
	v_mov_b32_e32 v30, v29
	ds_store_b64 v20, v[29:30] offset:4224
.LBB116_51:
	s_and_not1_saveexec_b32 s22, s8
	s_cbranch_execz .LBB116_53
; %bb.52:
	s_lshl_b64 s[26:27], s[20:21], 7
	s_delay_alu instid0(SALU_CYCLE_1) | instskip(NEXT) | instid1(VALU_DEP_1)
	v_add_co_u32 v29, s8, v1, s26
	v_add_co_ci_u32_e64 v30, s8, s27, v2, s8
	global_load_b64 v[29:30], v[29:30], off
	s_waitcnt vmcnt(0)
	ds_store_b64 v20, v[29:30] offset:4224
.LBB116_53:
	s_or_b32 exec_lo, exec_lo, s22
	v_add_nc_u32_e32 v21, 24, v7
	s_delay_alu instid0(VALU_DEP_1) | instskip(NEXT) | instid1(VALU_DEP_1)
	v_cmp_le_i32_e64 s8, s11, v21
	s_and_saveexec_b32 s11, s8
	s_delay_alu instid0(SALU_CYCLE_1)
	s_xor_b32 s8, exec_lo, s11
	s_cbranch_execz .LBB116_55
; %bb.54:
	v_mov_b32_e32 v29, 0
	s_delay_alu instid0(VALU_DEP_1)
	v_mov_b32_e32 v30, v29
	ds_store_b64 v20, v[29:30] offset:6336
                                        ; implicit-def: $vgpr20
.LBB116_55:
	s_and_not1_saveexec_b32 s8, s8
	s_cbranch_execz .LBB116_57
; %bb.56:
	v_mad_u64_u32 v[29:30], null, 0xc0, s20, v[1:2]
	s_delay_alu instid0(VALU_DEP_1) | instskip(NEXT) | instid1(VALU_DEP_1)
	v_mov_b32_e32 v21, v30
	v_mad_u64_u32 v[30:31], null, 0xc0, s21, v[21:22]
	global_load_b64 v[29:30], v[29:30], off
	s_waitcnt vmcnt(0)
	ds_store_b64 v20, v[29:30] offset:6336
.LBB116_57:
	s_or_b32 exec_lo, exec_lo, s8
	v_add_co_u32 v1, s8, v1, v9
	s_delay_alu instid0(VALU_DEP_1) | instskip(NEXT) | instid1(VALU_DEP_2)
	v_add_co_ci_u32_e64 v2, s8, 0, v2, s8
	v_sub_co_u32 v1, s8, v1, s16
	s_delay_alu instid0(VALU_DEP_1) | instskip(NEXT) | instid1(VALU_DEP_2)
	v_subrev_co_ci_u32_e64 v2, s8, s17, v2, s8
	v_add_co_u32 v1, s8, 0x108, v1
	s_delay_alu instid0(VALU_DEP_1) | instskip(NEXT) | instid1(VALU_DEP_1)
	v_add_co_ci_u32_e64 v2, s8, 0, v2, s8
	v_dual_cndmask_b32 v1, v1, v3 :: v_dual_cndmask_b32 v2, v2, v4
	s_branch .LBB116_60
.LBB116_58:
                                        ; implicit-def: $vgpr1_vgpr2
	s_cbranch_execz .LBB116_60
; %bb.59:
	v_mad_u64_u32 v[1:2], null, 0xc0, s20, v[5:6]
	s_lshl_b64 s[16:17], s[20:21], 6
	v_add_lshl_u32 v33, v8, v0, 3
	v_add_co_u32 v29, vcc_lo, v5, s16
	v_add_co_ci_u32_e32 v30, vcc_lo, s17, v6, vcc_lo
	s_delay_alu instid0(VALU_DEP_4) | instskip(NEXT) | instid1(VALU_DEP_3)
	v_mad_u64_u32 v[20:21], null, 0xc0, s21, v[2:3]
	v_add_co_u32 v31, vcc_lo, v29, s16
	s_delay_alu instid0(VALU_DEP_3) | instskip(NEXT) | instid1(VALU_DEP_3)
	v_add_co_ci_u32_e32 v32, vcc_lo, s17, v30, vcc_lo
	v_mov_b32_e32 v2, v20
	s_clause 0x3
	global_load_b64 v[5:6], v[5:6], off offset:256
	global_load_b64 v[20:21], v[29:30], off offset:256
	;; [unrolled: 1-line block ×4, first 2 shown]
	v_dual_mov_b32 v1, v3 :: v_dual_mov_b32 v2, v4
	s_waitcnt vmcnt(3)
	ds_store_b64 v33, v[5:6]
	s_waitcnt vmcnt(2)
	ds_store_b64 v33, v[20:21] offset:2112
	s_waitcnt vmcnt(1)
	ds_store_b64 v33, v[29:30] offset:4224
	;; [unrolled: 2-line block ×3, first 2 shown]
.LBB116_60:
	s_waitcnt lgkmcnt(0)
	s_barrier
	buffer_gl0_inv
	s_and_saveexec_b32 s8, s4
	s_cbranch_execnz .LBB116_85
; %bb.61:
	s_or_b32 exec_lo, exec_lo, s8
	s_and_saveexec_b32 s4, s5
	s_cbranch_execnz .LBB116_86
.LBB116_62:
	s_or_b32 exec_lo, exec_lo, s4
	s_and_saveexec_b32 s4, s6
	s_cbranch_execnz .LBB116_87
.LBB116_63:
	s_or_b32 exec_lo, exec_lo, s4
	v_add_nc_u32_e32 v29, 0x2380, v17
	s_and_saveexec_b32 s4, s7
	s_cbranch_execz .LBB116_65
.LBB116_64:
	ds_load_b64 v[3:4], v18
	s_waitcnt lgkmcnt(0)
	ds_store_b64 v16, v[3:4] offset:24
.LBB116_65:
	s_or_b32 exec_lo, exec_lo, s4
	s_waitcnt lgkmcnt(0)
	s_barrier
	buffer_gl0_inv
	ds_load_b64 v[16:17], v11
	ds_load_b128 v[3:6], v29 offset:256
	ds_load_2addr_b64 v[30:33], v19 offset1:33
	ds_load_b128 v[34:37], v29 offset:272
	ds_load_b64 v[20:21], v18
	v_cmp_eq_u32_e64 s4, 1, v7
	s_waitcnt lgkmcnt(0)
	s_barrier
	buffer_gl0_inv
	v_dual_mul_f32 v38, v4, v17 :: v_dual_mul_f32 v39, v6, v31
	v_mul_f32_e32 v17, v3, v17
	v_dual_mul_f32 v31, v5, v31 :: v_dual_mul_f32 v40, v35, v33
	s_delay_alu instid0(VALU_DEP_3) | instskip(NEXT) | instid1(VALU_DEP_4)
	v_fma_f32 v3, v3, v16, -v38
	v_fma_f32 v5, v5, v30, -v39
	s_delay_alu instid0(VALU_DEP_4) | instskip(NEXT) | instid1(VALU_DEP_3)
	v_dual_fmac_f32 v17, v4, v16 :: v_dual_mul_f32 v4, v37, v21
	v_dual_mul_f32 v16, v36, v21 :: v_dual_add_f32 v3, 0, v3
	s_delay_alu instid0(VALU_DEP_2) | instskip(SKIP_1) | instid1(VALU_DEP_3)
	v_dual_fmac_f32 v31, v6, v30 :: v_dual_add_f32 v6, 0, v17
	v_fma_f32 v17, v34, v32, -v40
	v_dual_fmac_f32 v16, v37, v20 :: v_dual_mul_f32 v33, v34, v33
	s_delay_alu instid0(VALU_DEP_4) | instskip(NEXT) | instid1(VALU_DEP_4)
	v_add_f32_e32 v3, v3, v5
	v_add_f32_e32 v5, v6, v31
	v_fma_f32 v4, v36, v20, -v4
	s_delay_alu instid0(VALU_DEP_4) | instskip(NEXT) | instid1(VALU_DEP_4)
	v_fmac_f32_e32 v33, v35, v32
	v_add_f32_e32 v3, v3, v17
	s_delay_alu instid0(VALU_DEP_2) | instskip(NEXT) | instid1(VALU_DEP_2)
	v_add_f32_e32 v5, v5, v33
	v_add_f32_e32 v3, v3, v4
	s_delay_alu instid0(VALU_DEP_2)
	v_add_f32_e32 v4, v5, v16
	ds_store_b64 v28, v[3:4]
	s_waitcnt lgkmcnt(0)
	s_barrier
	buffer_gl0_inv
	s_and_saveexec_b32 s5, s4
	s_cbranch_execz .LBB116_67
; %bb.66:
	ds_load_2addr_b64 v[3:6], v23 offset1:7
	ds_load_2addr_b64 v[30:33], v23 offset0:1 offset1:2
	ds_load_2addr_b64 v[34:37], v23 offset0:3 offset1:4
	;; [unrolled: 1-line block ×3, first 2 shown]
	s_waitcnt lgkmcnt(2)
	v_dual_add_f32 v3, v30, v3 :: v_dual_add_f32 v4, v31, v4
	s_delay_alu instid0(VALU_DEP_1) | instskip(SKIP_1) | instid1(VALU_DEP_1)
	v_dual_add_f32 v3, v3, v32 :: v_dual_add_f32 v4, v4, v33
	s_waitcnt lgkmcnt(1)
	v_dual_add_f32 v3, v3, v34 :: v_dual_add_f32 v4, v4, v35
	s_delay_alu instid0(VALU_DEP_1) | instskip(SKIP_1) | instid1(VALU_DEP_1)
	v_dual_add_f32 v3, v3, v36 :: v_dual_add_f32 v4, v4, v37
	s_waitcnt lgkmcnt(0)
	v_dual_add_f32 v3, v3, v38 :: v_dual_add_f32 v4, v4, v39
	s_delay_alu instid0(VALU_DEP_1) | instskip(NEXT) | instid1(VALU_DEP_1)
	v_dual_add_f32 v3, v3, v40 :: v_dual_add_f32 v4, v4, v41
	v_dual_add_f32 v26, v3, v5 :: v_dual_add_f32 v27, v4, v6
.LBB116_67:
	s_or_b32 exec_lo, exec_lo, s5
	v_add_co_u32 v3, vcc_lo, 0xffffff00, v1
	v_add_co_ci_u32_e32 v4, vcc_lo, -1, v2, vcc_lo
	s_and_b32 vcc_lo, exec_lo, s19
	s_barrier
	buffer_gl0_inv
	s_cbranch_vccz .LBB116_88
; %bb.68:
	v_sub_co_u32 v5, vcc_lo, v1, v9
	s_ashr_i32 s11, s10, 31
	v_subrev_co_ci_u32_e32 v6, vcc_lo, 0, v2, vcc_lo
	s_lshl_b64 s[6:7], s[10:11], 3
	s_sub_i32 s8, s10, 32
	v_add_co_u32 v5, vcc_lo, v5, s6
	s_delay_alu instid0(VALU_DEP_2) | instskip(SKIP_1) | instid1(VALU_DEP_3)
	v_add_co_ci_u32_e32 v6, vcc_lo, s7, v6, vcc_lo
	v_cmp_le_i32_e64 s5, s8, v7
	v_add_co_u32 v5, vcc_lo, 0xfffffef8, v5
	s_delay_alu instid0(VALU_DEP_3) | instskip(SKIP_2) | instid1(VALU_DEP_3)
	v_add_co_ci_u32_e32 v6, vcc_lo, -1, v6, vcc_lo
	v_cmp_gt_i32_e32 vcc_lo, s10, v0
	v_add_lshl_u32 v16, v8, v0, 3
	v_dual_cndmask_b32 v6, v6, v4 :: v_dual_cndmask_b32 v5, v5, v3
	s_and_saveexec_b32 s11, s5
	s_delay_alu instid0(SALU_CYCLE_1)
	s_xor_b32 s5, exec_lo, s11
	s_cbranch_execz .LBB116_70
; %bb.69:
	v_mov_b32_e32 v20, 0
	s_delay_alu instid0(VALU_DEP_1)
	v_mov_b32_e32 v21, v20
	ds_store_b64 v16, v[20:21]
.LBB116_70:
	s_and_not1_saveexec_b32 s5, s5
	s_cbranch_execz .LBB116_72
; %bb.71:
	global_load_b64 v[20:21], v[5:6], off
	s_waitcnt vmcnt(0)
	ds_store_b64 v16, v[20:21]
.LBB116_72:
	s_or_b32 exec_lo, exec_lo, s5
	v_add_nc_u32_e32 v20, 8, v7
	s_delay_alu instid0(VALU_DEP_1) | instskip(NEXT) | instid1(VALU_DEP_1)
	v_cmp_le_i32_e64 s5, s8, v20
	s_and_saveexec_b32 s11, s5
	s_delay_alu instid0(SALU_CYCLE_1)
	s_xor_b32 s5, exec_lo, s11
	s_cbranch_execz .LBB116_74
; %bb.73:
	v_mul_u32_u24_e32 v17, 33, v20
	v_mov_b32_e32 v30, 0
	s_delay_alu instid0(VALU_DEP_2) | instskip(NEXT) | instid1(VALU_DEP_2)
	v_add_lshl_u32 v17, v17, v0, 3
	v_mov_b32_e32 v31, v30
	ds_store_b64 v17, v[30:31]
.LBB116_74:
	s_and_not1_saveexec_b32 s11, s5
	s_cbranch_execz .LBB116_76
; %bb.75:
	s_lshl_b64 s[16:17], s[20:21], 6
	s_delay_alu instid0(SALU_CYCLE_1) | instskip(NEXT) | instid1(VALU_DEP_1)
	v_add_co_u32 v30, s5, v5, s16
	v_add_co_ci_u32_e64 v31, s5, s17, v6, s5
	global_load_b64 v[30:31], v[30:31], off
	s_waitcnt vmcnt(0)
	ds_store_b64 v16, v[30:31] offset:2112
.LBB116_76:
	s_or_b32 exec_lo, exec_lo, s11
	v_add_nc_u32_e32 v21, 16, v7
	s_delay_alu instid0(VALU_DEP_1) | instskip(NEXT) | instid1(VALU_DEP_1)
	v_cmp_le_i32_e64 s5, s8, v21
	s_and_saveexec_b32 s11, s5
	s_delay_alu instid0(SALU_CYCLE_1)
	s_xor_b32 s5, exec_lo, s11
	s_cbranch_execz .LBB116_78
; %bb.77:
	v_mov_b32_e32 v30, 0
	s_delay_alu instid0(VALU_DEP_1)
	v_mov_b32_e32 v31, v30
	ds_store_b64 v16, v[30:31] offset:4224
.LBB116_78:
	s_and_not1_saveexec_b32 s11, s5
	s_cbranch_execz .LBB116_80
; %bb.79:
	s_lshl_b64 s[16:17], s[20:21], 7
	s_delay_alu instid0(SALU_CYCLE_1) | instskip(NEXT) | instid1(VALU_DEP_1)
	v_add_co_u32 v30, s5, v5, s16
	v_add_co_ci_u32_e64 v31, s5, s17, v6, s5
	global_load_b64 v[30:31], v[30:31], off
	s_waitcnt vmcnt(0)
	ds_store_b64 v16, v[30:31] offset:4224
.LBB116_80:
	s_or_b32 exec_lo, exec_lo, s11
	v_add_nc_u32_e32 v30, 24, v7
	s_delay_alu instid0(VALU_DEP_1) | instskip(NEXT) | instid1(VALU_DEP_1)
	v_cmp_le_i32_e64 s5, s8, v30
	s_and_saveexec_b32 s8, s5
	s_delay_alu instid0(SALU_CYCLE_1)
	s_xor_b32 s5, exec_lo, s8
	s_cbranch_execz .LBB116_82
; %bb.81:
	v_mov_b32_e32 v31, 0
	s_delay_alu instid0(VALU_DEP_1)
	v_mov_b32_e32 v32, v31
	ds_store_b64 v16, v[31:32] offset:6336
                                        ; implicit-def: $vgpr16
.LBB116_82:
	s_and_not1_saveexec_b32 s5, s5
	s_cbranch_execz .LBB116_84
; %bb.83:
	v_mad_u64_u32 v[31:32], null, 0xc0, s20, v[5:6]
	s_delay_alu instid0(VALU_DEP_1) | instskip(NEXT) | instid1(VALU_DEP_1)
	v_mov_b32_e32 v17, v32
	v_mad_u64_u32 v[32:33], null, 0xc0, s21, v[17:18]
	global_load_b64 v[31:32], v[31:32], off
	s_waitcnt vmcnt(0)
	ds_store_b64 v16, v[31:32] offset:6336
.LBB116_84:
	s_or_b32 exec_lo, exec_lo, s5
	v_add_co_u32 v5, s5, v5, v9
	s_delay_alu instid0(VALU_DEP_1) | instskip(NEXT) | instid1(VALU_DEP_2)
	v_add_co_ci_u32_e64 v6, s5, 0, v6, s5
	v_sub_co_u32 v5, s5, v5, s6
	s_delay_alu instid0(VALU_DEP_1) | instskip(NEXT) | instid1(VALU_DEP_2)
	v_subrev_co_ci_u32_e64 v6, s5, s7, v6, s5
	v_add_co_u32 v5, s5, v5, 8
	s_delay_alu instid0(VALU_DEP_1) | instskip(NEXT) | instid1(VALU_DEP_1)
	v_add_co_ci_u32_e64 v6, s5, 0, v6, s5
	v_dual_cndmask_b32 v16, v5, v3 :: v_dual_cndmask_b32 v17, v6, v4
	s_branch .LBB116_90
.LBB116_85:
	ds_load_b64 v[3:4], v11
	s_waitcnt lgkmcnt(0)
	ds_store_b64 v16, v[3:4]
	s_or_b32 exec_lo, exec_lo, s8
	s_and_saveexec_b32 s4, s5
	s_cbranch_execz .LBB116_62
.LBB116_86:
	ds_load_b64 v[3:4], v19
	s_waitcnt lgkmcnt(0)
	ds_store_b64 v16, v[3:4] offset:8
	s_or_b32 exec_lo, exec_lo, s4
	s_and_saveexec_b32 s4, s6
	s_cbranch_execz .LBB116_63
.LBB116_87:
	ds_load_b64 v[3:4], v19 offset:264
	s_waitcnt lgkmcnt(0)
	ds_store_b64 v16, v[3:4] offset:16
	s_or_b32 exec_lo, exec_lo, s4
	v_add_nc_u32_e32 v29, 0x2380, v17
	s_and_saveexec_b32 s4, s7
	s_cbranch_execnz .LBB116_64
	s_branch .LBB116_65
.LBB116_88:
                                        ; implicit-def: $vgpr16_vgpr17
                                        ; implicit-def: $vgpr20
                                        ; implicit-def: $vgpr21
                                        ; implicit-def: $vgpr30
	s_cbranch_execz .LBB116_90
; %bb.89:
	v_mad_u64_u32 v[5:6], null, 0xc0, s20, v[1:2]
	s_lshl_b64 s[6:7], s[20:21], 6
	v_add_lshl_u32 v0, v8, v0, 3
	v_add_co_u32 v20, vcc_lo, v1, s6
	v_add_co_ci_u32_e32 v21, vcc_lo, s7, v2, vcc_lo
	s_delay_alu instid0(VALU_DEP_4) | instskip(NEXT) | instid1(VALU_DEP_3)
	v_mad_u64_u32 v[16:17], null, 0xc0, s21, v[6:7]
	v_add_co_u32 v30, vcc_lo, v20, s6
	s_delay_alu instid0(VALU_DEP_3) | instskip(NEXT) | instid1(VALU_DEP_3)
	v_add_co_ci_u32_e32 v31, vcc_lo, s7, v21, vcc_lo
	v_mov_b32_e32 v6, v16
	s_clause 0x3
	global_load_b64 v[1:2], v[1:2], off offset:-256
	global_load_b64 v[32:33], v[20:21], off offset:-256
	;; [unrolled: 1-line block ×4, first 2 shown]
	v_add_nc_u32_e32 v21, 16, v7
	v_dual_mov_b32 v17, v4 :: v_dual_add_nc_u32 v20, 8, v7
	v_add_nc_u32_e32 v30, 24, v7
	v_mov_b32_e32 v16, v3
	s_waitcnt vmcnt(3)
	ds_store_b64 v0, v[1:2]
	s_waitcnt vmcnt(2)
	ds_store_b64 v0, v[32:33] offset:2112
	s_waitcnt vmcnt(1)
	ds_store_b64 v0, v[34:35] offset:4224
	;; [unrolled: 2-line block ×3, first 2 shown]
.LBB116_90:
	s_waitcnt lgkmcnt(0)
	s_barrier
	buffer_gl0_inv
	ds_load_b64 v[31:32], v28
	v_lshlrev_b32_e32 v0, 3, v7
	v_add_lshl_u32 v1, v20, v10, 3
	v_lshlrev_b32_e32 v2, 3, v20
	v_add_lshl_u32 v3, v21, v10, 3
	;; [unrolled: 2-line block ×3, first 2 shown]
	v_lshlrev_b32_e32 v6, 3, v30
	ds_load_b64 v[33:34], v0 offset:9088
	ds_load_b64 v[35:36], v1
	ds_load_b64 v[37:38], v2 offset:9088
	ds_load_b64 v[39:40], v3
	;; [unrolled: 2-line block ×4, first 2 shown]
	ds_load_b128 v[8:11], v29 offset:256
	ds_load_b128 v[0:3], v29 offset:272
	ds_load_2addr_b64 v[4:7], v19 offset1:33
	ds_load_b64 v[18:19], v18
	s_waitcnt lgkmcnt(0)
	s_barrier
	buffer_gl0_inv
	v_mul_f32_e32 v29, v34, v32
	v_mul_f32_e32 v32, v33, v32
	;; [unrolled: 1-line block ×3, first 2 shown]
	s_delay_alu instid0(VALU_DEP_3) | instskip(NEXT) | instid1(VALU_DEP_3)
	v_fma_f32 v29, v33, v31, -v29
	v_dual_fmac_f32 v32, v34, v31 :: v_dual_mul_f32 v33, v45, v44
	s_delay_alu instid0(VALU_DEP_3) | instskip(NEXT) | instid1(VALU_DEP_3)
	v_fma_f32 v34, v41, v39, -v47
	v_dual_mul_f32 v30, v38, v36 :: v_dual_add_f32 v29, 0, v29
	s_delay_alu instid0(VALU_DEP_3) | instskip(SKIP_1) | instid1(VALU_DEP_3)
	v_dual_mul_f32 v36, v37, v36 :: v_dual_fmac_f32 v33, v46, v43
	v_mul_f32_e32 v31, v41, v40
	v_fma_f32 v30, v37, v35, -v30
	v_mul_f32_e32 v48, v46, v44
	s_delay_alu instid0(VALU_DEP_3) | instskip(NEXT) | instid1(VALU_DEP_3)
	v_dual_add_f32 v32, 0, v32 :: v_dual_fmac_f32 v31, v42, v39
	v_add_f32_e32 v29, v29, v30
	s_delay_alu instid0(VALU_DEP_1) | instskip(NEXT) | instid1(VALU_DEP_1)
	v_dual_add_f32 v29, v29, v34 :: v_dual_fmac_f32 v36, v38, v35
	v_add_f32_e32 v30, v32, v36
	v_fma_f32 v32, v45, v43, -v48
	s_delay_alu instid0(VALU_DEP_1) | instskip(NEXT) | instid1(VALU_DEP_1)
	v_dual_add_f32 v30, v30, v31 :: v_dual_add_f32 v29, v29, v32
	v_add_f32_e32 v30, v30, v33
	ds_store_b64 v28, v[29:30]
	s_waitcnt lgkmcnt(0)
	s_barrier
	buffer_gl0_inv
	s_and_saveexec_b32 s5, s4
	s_cbranch_execz .LBB116_92
; %bb.91:
	ds_load_2addr_b64 v[29:32], v23 offset1:1
	ds_load_2addr_b64 v[33:36], v23 offset0:2 offset1:3
	ds_load_2addr_b64 v[37:40], v23 offset0:4 offset1:5
	s_waitcnt lgkmcnt(2)
	v_dual_add_f32 v26, v26, v29 :: v_dual_add_f32 v27, v27, v30
	s_delay_alu instid0(VALU_DEP_1) | instskip(SKIP_3) | instid1(VALU_DEP_1)
	v_dual_add_f32 v26, v26, v31 :: v_dual_add_f32 v27, v27, v32
	ds_load_2addr_b64 v[29:32], v23 offset0:6 offset1:7
	s_waitcnt lgkmcnt(2)
	v_dual_add_f32 v26, v26, v33 :: v_dual_add_f32 v27, v27, v34
	v_dual_add_f32 v26, v26, v35 :: v_dual_add_f32 v27, v27, v36
	s_waitcnt lgkmcnt(1)
	s_delay_alu instid0(VALU_DEP_1) | instskip(NEXT) | instid1(VALU_DEP_1)
	v_dual_add_f32 v26, v26, v37 :: v_dual_add_f32 v27, v27, v38
	v_dual_add_f32 v26, v26, v39 :: v_dual_add_f32 v27, v27, v40
	s_waitcnt lgkmcnt(0)
	s_delay_alu instid0(VALU_DEP_1) | instskip(NEXT) | instid1(VALU_DEP_1)
	v_dual_add_f32 v26, v26, v29 :: v_dual_add_f32 v27, v27, v30
	v_dual_add_f32 v26, v26, v31 :: v_dual_add_f32 v27, v27, v32
.LBB116_92:
	s_or_b32 exec_lo, exec_lo, s5
	v_mul_f32_e32 v29, v9, v21
	v_mul_f32_e32 v21, v8, v21
	v_dual_mul_f32 v30, v11, v5 :: v_dual_mul_f32 v31, v1, v7
	s_delay_alu instid0(VALU_DEP_3) | instskip(NEXT) | instid1(VALU_DEP_3)
	v_fma_f32 v8, v8, v20, -v29
	v_fmac_f32_e32 v21, v9, v20
	v_mul_f32_e32 v7, v0, v7
	s_delay_alu instid0(VALU_DEP_4)
	v_fma_f32 v0, v0, v6, -v31
	s_barrier
	v_dual_add_f32 v8, 0, v8 :: v_dual_mul_f32 v5, v10, v5
	v_fma_f32 v10, v10, v4, -v30
	buffer_gl0_inv
	v_dual_add_f32 v8, v8, v10 :: v_dual_mul_f32 v9, v3, v19
	v_fmac_f32_e32 v5, v11, v4
	s_delay_alu instid0(VALU_DEP_2) | instskip(NEXT) | instid1(VALU_DEP_3)
	v_dual_mul_f32 v11, v2, v19 :: v_dual_add_f32 v0, v8, v0
	v_fma_f32 v2, v2, v18, -v9
	s_delay_alu instid0(VALU_DEP_2) | instskip(NEXT) | instid1(VALU_DEP_2)
	v_fmac_f32_e32 v11, v3, v18
	v_add_f32_e32 v0, v0, v2
	v_dual_add_f32 v4, 0, v21 :: v_dual_fmac_f32 v7, v1, v6
	s_delay_alu instid0(VALU_DEP_1) | instskip(NEXT) | instid1(VALU_DEP_1)
	v_add_f32_e32 v1, v4, v5
	v_add_f32_e32 v1, v1, v7
	s_delay_alu instid0(VALU_DEP_1)
	v_add_f32_e32 v1, v1, v11
	ds_store_b64 v28, v[0:1]
	s_waitcnt lgkmcnt(0)
	s_barrier
	buffer_gl0_inv
	s_and_saveexec_b32 s4, s3
	s_cbranch_execz .LBB116_94
; %bb.93:
	ds_load_2addr_b64 v[0:3], v23 offset1:1
	ds_load_2addr_b64 v[4:7], v23 offset0:2 offset1:3
	ds_load_2addr_b64 v[8:11], v23 offset0:4 offset1:5
	s_waitcnt lgkmcnt(2)
	v_dual_add_f32 v0, v26, v0 :: v_dual_add_f32 v1, v27, v1
	s_delay_alu instid0(VALU_DEP_1) | instskip(SKIP_3) | instid1(VALU_DEP_1)
	v_dual_add_f32 v18, v0, v2 :: v_dual_add_f32 v19, v1, v3
	ds_load_2addr_b64 v[0:3], v23 offset0:6 offset1:7
	s_waitcnt lgkmcnt(2)
	v_dual_add_f32 v4, v18, v4 :: v_dual_add_f32 v5, v19, v5
	v_dual_add_f32 v4, v4, v6 :: v_dual_add_f32 v5, v5, v7
	s_waitcnt lgkmcnt(1)
	s_delay_alu instid0(VALU_DEP_1) | instskip(NEXT) | instid1(VALU_DEP_1)
	v_dual_add_f32 v4, v4, v8 :: v_dual_add_f32 v5, v5, v9
	v_dual_add_f32 v4, v4, v10 :: v_dual_add_f32 v5, v5, v11
	s_waitcnt lgkmcnt(0)
	s_delay_alu instid0(VALU_DEP_1) | instskip(NEXT) | instid1(VALU_DEP_1)
	v_dual_add_f32 v0, v4, v0 :: v_dual_add_f32 v1, v5, v1
	v_dual_add_f32 v26, v0, v2 :: v_dual_add_f32 v27, v1, v3
.LBB116_94:
	s_or_b32 exec_lo, exec_lo, s4
	s_load_b64 s[0:1], s[0:1], 0x68
	s_mul_hi_u32 s3, s30, s15
	s_mul_i32 s25, s25, s15
	s_mul_i32 s4, s30, s15
	s_add_i32 s3, s3, s25
	s_mul_hi_u32 s5, s4, s9
	s_mul_i32 s3, s3, s9
	s_mul_i32 s4, s4, s9
	s_add_i32 s5, s5, s3
	s_mul_hi_i32 s7, s30, s14
	s_lshl_b64 s[4:5], s[4:5], 3
	s_mul_i32 s6, s30, s14
	v_lshlrev_b32_e32 v95, 3, v93
	s_waitcnt lgkmcnt(0)
	s_barrier
	buffer_gl0_inv
	s_add_u32 s3, s0, s4
	s_addc_u32 s4, s1, s5
	s_lshl_b64 s[0:1], s[6:7], 3
	s_delay_alu instid0(SALU_CYCLE_1) | instskip(SKIP_2) | instid1(SALU_CYCLE_1)
	s_add_u32 s3, s3, s0
	s_addc_u32 s8, s4, s1
	s_add_i32 s0, s14, 1
	s_cmp_ge_u32 s0, s9
	s_cbranch_scc1 .LBB116_152
; %bb.95:
	v_and_b32_e32 v6, 48, v93
	v_lshrrev_b32_e32 v8, 4, v22
	v_lshlrev_b32_e32 v9, 5, v94
	v_dual_mov_b32 v28, 0 :: v_dual_and_b32 v7, 15, v93
	s_delay_alu instid0(VALU_DEP_4)
	v_lshlrev_b32_e32 v0, 3, v6
	v_or_b32_e32 v1, 0x78, v95
	v_lshlrev_b32_e32 v2, 5, v8
	v_add_nc_u32_e32 v10, 0x100, v9
	v_add_nc_u32_e32 v11, 0x110, v9
	v_mad_u32_u24 v101, 0x218, v7, v0
	v_mad_u32_u24 v102, 0x218, v7, v1
	;; [unrolled: 1-line block ×3, first 2 shown]
	v_mad_u64_u32 v[0:1], null, s20, v10, 0
	v_mad_u64_u32 v[2:3], null, s20, v11, 0
	s_mul_i32 s0, s12, s29
	s_mul_hi_u32 s1, s12, s28
	s_mul_i32 s4, s13, s28
	s_add_i32 s0, s1, s0
	v_lshlrev_b32_e32 v96, 2, v94
	s_add_i32 s1, s0, s4
	s_delay_alu instid0(VALU_DEP_2)
	v_mad_u64_u32 v[4:5], null, s21, v10, v[1:2]
	v_mov_b32_e32 v1, v3
	v_mul_i32_i24_e32 v10, 0xffffffe8, v8
	v_add_nc_u32_e32 v8, 0x108, v9
	s_mul_i32 s0, s12, s28
	v_or_b32_e32 v121, v6, v7
	s_lshl_b64 s[0:1], s[0:1], 3
	v_mov_b32_e32 v7, v4
	v_mad_u64_u32 v[5:6], null, s20, v8, 0
	v_sub_co_u32 v97, vcc_lo, v14, s0
	v_mad_u64_u32 v[3:4], null, s21, v11, v[1:2]
	v_subrev_co_ci_u32_e32 v98, vcc_lo, s1, v15, vcc_lo
	v_sub_co_u32 v1, vcc_lo, v0, v12
	v_dual_mov_b32 v0, v6 :: v_dual_add_nc_u32 v99, 0x2180, v95
	v_sub_co_ci_u32_e32 v4, vcc_lo, v7, v13, vcc_lo
	s_delay_alu instid0(VALU_DEP_3) | instskip(SKIP_1) | instid1(VALU_DEP_3)
	v_add_co_u32 v122, vcc_lo, v16, v1
	v_mov_b32_e32 v7, v3
	v_add_co_ci_u32_e32 v123, vcc_lo, v17, v4, vcc_lo
	v_mad_u64_u32 v[3:4], null, s21, v8, v[0:1]
	v_sub_co_u32 v2, vcc_lo, v2, v12
	s_delay_alu instid0(VALU_DEP_4) | instskip(SKIP_1) | instid1(VALU_DEP_3)
	v_sub_co_ci_u32_e32 v4, vcc_lo, v7, v13, vcc_lo
	v_cmp_gt_u32_e64 s0, 64, v22
	v_add_co_u32 v124, vcc_lo, v16, v2
	s_delay_alu instid0(VALU_DEP_3)
	v_add_co_ci_u32_e32 v125, vcc_lo, v17, v4, vcc_lo
	v_mov_b32_e32 v4, v3
	v_add_nc_u32_e32 v6, 0x118, v9
	v_add_nc_u32_e32 v11, 0x180, v9
	;; [unrolled: 1-line block ×3, first 2 shown]
	v_sub_co_u32 v7, vcc_lo, v5, v12
	s_delay_alu instid0(VALU_DEP_4) | instskip(NEXT) | instid1(VALU_DEP_4)
	v_mad_u64_u32 v[0:1], null, s20, v6, 0
	v_mad_u64_u32 v[2:3], null, s20, v11, 0
	v_sub_co_ci_u32_e32 v8, vcc_lo, v4, v13, vcc_lo
	v_add_nc_u32_e32 v100, 0x2380, v95
	v_add_co_u32 v126, vcc_lo, v16, v7
	s_delay_alu instid0(VALU_DEP_3)
	v_add_co_ci_u32_e32 v127, vcc_lo, v17, v8, vcc_lo
	v_mad_u64_u32 v[4:5], null, s21, v6, v[1:2]
	v_mov_b32_e32 v1, v3
	v_mad_u64_u32 v[5:6], null, s20, v14, 0
	v_add_nc_u32_e32 v110, 17, v96
	v_add_nc_u32_e32 v15, 0x280, v9
	s_delay_alu instid0(VALU_DEP_4) | instskip(SKIP_4) | instid1(VALU_DEP_4)
	v_mad_u64_u32 v[7:8], null, s21, v11, v[1:2]
	v_mov_b32_e32 v3, v4
	v_add_nc_u32_e32 v11, 0x190, v9
	v_mov_b32_e32 v1, v6
	v_sub_co_u32 v6, vcc_lo, v0, v12
	v_sub_co_ci_u32_e32 v8, vcc_lo, v3, v13, vcc_lo
	s_delay_alu instid0(VALU_DEP_3) | instskip(SKIP_1) | instid1(VALU_DEP_4)
	v_mad_u64_u32 v[3:4], null, s21, v14, v[1:2]
	v_mad_u64_u32 v[0:1], null, s20, v11, 0
	v_add_co_u32 v128, vcc_lo, v16, v6
	s_delay_alu instid0(VALU_DEP_4)
	v_add_co_ci_u32_e32 v129, vcc_lo, v17, v8, vcc_lo
	v_add_nc_u32_e32 v107, 0x2180, v9
	v_sub_co_u32 v6, vcc_lo, v2, v12
	v_mov_b32_e32 v2, v3
	v_add_nc_u32_e32 v8, 0x198, v9
	v_sub_co_ci_u32_e32 v7, vcc_lo, v7, v13, vcc_lo
	v_sub_co_u32 v5, vcc_lo, v5, v12
	s_delay_alu instid0(VALU_DEP_4)
	v_sub_co_ci_u32_e32 v14, vcc_lo, v2, v13, vcc_lo
	v_mad_u64_u32 v[2:3], null, s21, v11, v[1:2]
	v_mad_u64_u32 v[3:4], null, s20, v8, 0
	v_add_co_u32 v130, vcc_lo, v16, v6
	v_add_co_ci_u32_e32 v131, vcc_lo, v17, v7, vcc_lo
	v_add_co_u32 v132, vcc_lo, v16, v5
	v_add_co_ci_u32_e32 v133, vcc_lo, v17, v14, vcc_lo
	v_sub_co_u32 v0, vcc_lo, v0, v12
	v_mov_b32_e32 v1, v4
	v_sub_co_ci_u32_e32 v2, vcc_lo, v2, v13, vcc_lo
	v_add_nc_u32_e32 v11, 0x200, v9
	s_delay_alu instid0(VALU_DEP_4) | instskip(NEXT) | instid1(VALU_DEP_3)
	v_add_co_u32 v134, vcc_lo, v16, v0
	v_mad_u64_u32 v[6:7], null, s21, v8, v[1:2]
	s_delay_alu instid0(VALU_DEP_3) | instskip(SKIP_4) | instid1(VALU_DEP_4)
	v_mad_u64_u32 v[4:5], null, s20, v11, 0
	v_add_nc_u32_e32 v7, 0x208, v9
	v_add_co_ci_u32_e32 v135, vcc_lo, v17, v2, vcc_lo
	v_add_nc_u32_e32 v109, 16, v96
	v_dual_mov_b32 v8, v6 :: v_dual_add_nc_u32 v111, 18, v96
	v_mad_u64_u32 v[1:2], null, s20, v7, 0
	v_mov_b32_e32 v0, v5
	v_sub_co_u32 v3, vcc_lo, v3, v12
	v_add_nc_u32_e32 v113, 32, v96
	v_or_b32_e32 v104, 1, v96
	v_or_b32_e32 v105, 2, v96
	v_mad_u64_u32 v[5:6], null, s21, v11, v[0:1]
	v_mov_b32_e32 v0, v2
	v_sub_co_ci_u32_e32 v6, vcc_lo, v8, v13, vcc_lo
	v_add_nc_u32_e32 v112, 19, v96
	v_add_co_u32 v136, vcc_lo, v16, v3
	v_dual_mov_b32 v11, v5 :: v_dual_add_nc_u32 v8, 0x210, v9
	s_delay_alu instid0(VALU_DEP_4) | instskip(SKIP_2) | instid1(VALU_DEP_4)
	v_add_co_ci_u32_e32 v137, vcc_lo, v17, v6, vcc_lo
	v_mad_u64_u32 v[2:3], null, s21, v7, v[0:1]
	v_sub_co_u32 v0, vcc_lo, v4, v12
	v_mad_u64_u32 v[5:6], null, s20, v8, 0
	v_sub_co_ci_u32_e32 v3, vcc_lo, v11, v13, vcc_lo
	v_add_nc_u32_e32 v11, 0x218, v9
	s_delay_alu instid0(VALU_DEP_4) | instskip(SKIP_1) | instid1(VALU_DEP_4)
	v_add_co_u32 v138, vcc_lo, v16, v0
	v_dual_mov_b32 v4, v2 :: v_dual_add_nc_u32 v115, 34, v96
	v_add_co_ci_u32_e32 v139, vcc_lo, v17, v3, vcc_lo
	s_delay_alu instid0(VALU_DEP_4) | instskip(SKIP_4) | instid1(VALU_DEP_3)
	v_mad_u64_u32 v[2:3], null, s20, v11, 0
	v_dual_mov_b32 v0, v6 :: v_dual_add_nc_u32 v117, 48, v96
	v_sub_co_u32 v1, vcc_lo, v1, v12
	v_sub_co_ci_u32_e32 v14, vcc_lo, v4, v13, vcc_lo
	v_or_b32_e32 v106, 3, v96
	v_mad_u64_u32 v[6:7], null, s21, v8, v[0:1]
	v_mov_b32_e32 v0, v3
	v_mad_u64_u32 v[3:4], null, s20, v15, 0
	v_add_nc_u32_e32 v114, 33, v96
	v_add_nc_u32_e32 v119, 50, v96
	v_add_co_u32 v140, vcc_lo, v16, v1
	v_mad_u64_u32 v[7:8], null, s21, v11, v[0:1]
	v_dual_mov_b32 v0, v4 :: v_dual_mov_b32 v1, v6
	v_add_nc_u32_e32 v11, 0x288, v9
	v_add_co_ci_u32_e32 v141, vcc_lo, v17, v14, vcc_lo
	v_sub_co_u32 v6, vcc_lo, v5, v12
	s_delay_alu instid0(VALU_DEP_4) | instskip(SKIP_2) | instid1(VALU_DEP_4)
	v_sub_co_ci_u32_e32 v8, vcc_lo, v1, v13, vcc_lo
	v_mad_u64_u32 v[4:5], null, s21, v15, v[0:1]
	v_mad_u64_u32 v[0:1], null, s20, v11, 0
	v_add_co_u32 v142, vcc_lo, v16, v6
	v_add_nc_u32_e32 v15, 0x290, v9
	v_add_nc_u32_e32 v9, 0x298, v9
	v_add_co_ci_u32_e32 v143, vcc_lo, v17, v8, vcc_lo
	v_sub_co_u32 v8, vcc_lo, v2, v12
	v_mov_b32_e32 v14, v4
	v_mad_u64_u32 v[4:5], null, s21, v11, v[1:2]
	v_sub_co_ci_u32_e32 v7, vcc_lo, v7, v13, vcc_lo
	v_mad_u64_u32 v[5:6], null, s20, v9, 0
	v_add_co_u32 v144, vcc_lo, v16, v8
	v_mad_u64_u32 v[1:2], null, s20, v15, 0
	s_delay_alu instid0(VALU_DEP_4)
	v_add_co_ci_u32_e32 v145, vcc_lo, v17, v7, vcc_lo
	v_sub_co_u32 v11, vcc_lo, v3, v12
	v_dual_mov_b32 v3, v6 :: v_dual_add_nc_u32 v116, 35, v96
	v_sub_co_ci_u32_e32 v14, vcc_lo, v14, v13, vcc_lo
	v_sub_co_u32 v0, vcc_lo, v0, v12
	v_sub_co_ci_u32_e32 v4, vcc_lo, v4, v13, vcc_lo
	s_delay_alu instid0(VALU_DEP_4) | instskip(SKIP_1) | instid1(VALU_DEP_3)
	v_mad_u64_u32 v[6:7], null, s21, v15, v[2:3]
	v_add_co_u32 v146, vcc_lo, v16, v11
	v_mad_u64_u32 v[7:8], null, s21, v9, v[3:4]
	v_add_co_ci_u32_e32 v147, vcc_lo, v17, v14, vcc_lo
	v_add_co_u32 v148, vcc_lo, v16, v0
	v_mov_b32_e32 v0, v6
	v_add_co_ci_u32_e32 v149, vcc_lo, v17, v4, vcc_lo
	v_mov_b32_e32 v2, v7
	v_sub_co_u32 v1, vcc_lo, v1, v12
	s_delay_alu instid0(VALU_DEP_4) | instskip(SKIP_1) | instid1(VALU_DEP_4)
	v_sub_co_ci_u32_e32 v0, vcc_lo, v0, v13, vcc_lo
	v_sub_co_u32 v3, vcc_lo, v5, v12
	v_sub_co_ci_u32_e32 v2, vcc_lo, v2, v13, vcc_lo
	s_delay_alu instid0(VALU_DEP_4) | instskip(NEXT) | instid1(VALU_DEP_4)
	v_add_co_u32 v150, vcc_lo, v16, v1
	v_add_co_ci_u32_e32 v151, vcc_lo, v17, v0, vcc_lo
	s_delay_alu instid0(VALU_DEP_4)
	v_add_co_u32 v152, vcc_lo, v16, v3
	v_mad_u32_u24 v108, 0x860, v94, v95
	v_add_nc_u32_e32 v118, 49, v96
	v_add_nc_u32_e32 v120, 51, v96
	v_add_co_ci_u32_e32 v153, vcc_lo, v17, v2, vcc_lo
	v_add_nc_u32_e32 v154, v103, v10
	s_add_i32 s11, s9, -2
	s_add_i32 s12, s12, 64
	s_lshl_b64 s[4:5], s[20:21], 9
	s_cmp_eq_u32 s11, s14
	s_cselect_b32 s13, s24, 0
	s_and_saveexec_b32 s1, s2
	s_cbranch_execz .LBB116_100
.LBB116_96:
	v_cmp_le_i32_e32 vcc_lo, s13, v93
	s_cmp_lg_u32 s13, 0
	s_cselect_b32 s6, -1, 0
	s_delay_alu instid0(SALU_CYCLE_1) | instskip(NEXT) | instid1(SALU_CYCLE_1)
	s_and_b32 s6, s6, vcc_lo
	s_and_saveexec_b32 s7, s6
	s_delay_alu instid0(SALU_CYCLE_1)
	s_xor_b32 s6, exec_lo, s7
	s_cbranch_execz .LBB116_98
; %bb.97:
	v_mov_b32_e32 v29, v28
	ds_store_b64 v99, v[28:29]
.LBB116_98:
	s_and_not1_saveexec_b32 s6, s6
	s_cbranch_execz .LBB116_100
; %bb.99:
	s_mul_i32 s6, s12, s29
	s_mul_hi_u32 s7, s12, s28
	s_ashr_i32 s15, s12, 31
	s_add_i32 s6, s7, s6
	s_mul_i32 s15, s15, s28
	s_delay_alu instid0(SALU_CYCLE_1) | instskip(SKIP_1) | instid1(SALU_CYCLE_1)
	s_add_i32 s7, s6, s15
	s_mul_i32 s6, s12, s28
	s_lshl_b64 s[6:7], s[6:7], 3
	s_delay_alu instid0(SALU_CYCLE_1)
	v_add_co_u32 v0, vcc_lo, v97, s6
	v_add_co_ci_u32_e32 v1, vcc_lo, s7, v98, vcc_lo
	global_load_b64 v[0:1], v[0:1], off
	s_waitcnt vmcnt(0)
	ds_store_b64 v99, v[0:1]
.LBB116_100:                            ; =>This Inner Loop Header: Depth=1
	s_or_b32 exec_lo, exec_lo, s1
	s_cmp_eq_u32 s13, 0
	v_add_co_u32 v0, vcc_lo, v122, v95
	s_cselect_b32 s15, -1, 0
	s_cmp_lg_u32 s13, 0
	v_add_co_ci_u32_e32 v1, vcc_lo, 0, v123, vcc_lo
	s_cselect_b32 s1, -1, 0
	s_waitcnt lgkmcnt(0)
	s_and_b32 vcc_lo, exec_lo, s1
	s_barrier
	buffer_gl0_inv
	s_cbranch_vccz .LBB116_108
; %bb.101:                              ;   in Loop: Header=BB116_100 Depth=1
	v_mov_b32_e32 v29, 0
	v_mov_b32_e32 v30, 0
	s_mov_b32 s6, exec_lo
	s_delay_alu instid0(VALU_DEP_1)
	v_dual_mov_b32 v32, v30 :: v_dual_mov_b32 v31, v29
	v_cmpx_gt_i32_e64 s13, v96
	s_cbranch_execz .LBB116_103
; %bb.102:                              ;   in Loop: Header=BB116_100 Depth=1
	global_load_b64 v[31:32], v[0:1], off
.LBB116_103:                            ;   in Loop: Header=BB116_100 Depth=1
	s_or_b32 exec_lo, exec_lo, s6
	s_delay_alu instid0(SALU_CYCLE_1)
	s_mov_b32 s6, exec_lo
	v_cmpx_gt_i32_e64 s13, v104
	s_cbranch_execz .LBB116_105
; %bb.104:                              ;   in Loop: Header=BB116_100 Depth=1
	v_add_co_u32 v2, vcc_lo, v126, v95
	v_add_co_ci_u32_e32 v3, vcc_lo, 0, v127, vcc_lo
	global_load_b64 v[29:30], v[2:3], off
.LBB116_105:                            ;   in Loop: Header=BB116_100 Depth=1
	s_or_b32 exec_lo, exec_lo, s6
	v_mov_b32_e32 v33, 0
	v_mov_b32_e32 v34, 0
	s_mov_b32 s6, exec_lo
	v_cmpx_gt_i32_e64 s13, v105
	s_cbranch_execz .LBB116_107
; %bb.106:                              ;   in Loop: Header=BB116_100 Depth=1
	v_add_co_u32 v2, vcc_lo, v124, v95
	v_add_co_ci_u32_e32 v3, vcc_lo, 0, v125, vcc_lo
	global_load_b64 v[33:34], v[2:3], off
.LBB116_107:                            ;   in Loop: Header=BB116_100 Depth=1
	s_or_b32 exec_lo, exec_lo, s6
	v_cmp_gt_i32_e64 s16, s13, v106
	s_mov_b64 s[6:7], 0
	s_branch .LBB116_110
.LBB116_108:                            ;   in Loop: Header=BB116_100 Depth=1
	s_mov_b32 s16, 0
                                        ; implicit-def: $sgpr6_sgpr7
                                        ; implicit-def: $vgpr33_vgpr34
                                        ; implicit-def: $vgpr29_vgpr30
                                        ; implicit-def: $vgpr31_vgpr32
	s_cbranch_execz .LBB116_110
; %bb.109:                              ;   in Loop: Header=BB116_100 Depth=1
	v_add_co_u32 v2, vcc_lo, v126, v95
	v_add_co_ci_u32_e32 v3, vcc_lo, 0, v127, vcc_lo
	v_add_co_u32 v4, vcc_lo, v124, v95
	v_add_co_ci_u32_e32 v5, vcc_lo, 0, v125, vcc_lo
	global_load_b64 v[31:32], v[0:1], off
	global_load_b64 v[29:30], v[2:3], off
	;; [unrolled: 1-line block ×3, first 2 shown]
	s_or_b32 s16, s16, exec_lo
                                        ; implicit-def: $sgpr6_sgpr7
.LBB116_110:                            ;   in Loop: Header=BB116_100 Depth=1
	v_dual_mov_b32 v36, s7 :: v_dual_mov_b32 v35, s6
	s_delay_alu instid0(VALU_DEP_2)
	s_and_saveexec_b32 s6, s16
	s_cbranch_execz .LBB116_112
; %bb.111:                              ;   in Loop: Header=BB116_100 Depth=1
	v_add_co_u32 v0, vcc_lo, v128, v95
	v_add_co_ci_u32_e32 v1, vcc_lo, 0, v129, vcc_lo
	global_load_b64 v[35:36], v[0:1], off
.LBB116_112:                            ;   in Loop: Header=BB116_100 Depth=1
	s_or_b32 exec_lo, exec_lo, s6
	ds_load_b64 v[0:1], v100
	ds_load_b64 v[37:38], v107
	v_cndmask_b32_e64 v77, 0, 1, s1
	s_waitcnt vmcnt(0) lgkmcnt(1)
	v_mul_f32_e32 v3, v1, v31
	v_mul_f32_e32 v5, v1, v29
	;; [unrolled: 1-line block ×3, first 2 shown]
	v_dual_mul_f32 v4, v1, v30 :: v_dual_mul_f32 v9, v0, v36
	s_delay_alu instid0(VALU_DEP_4) | instskip(SKIP_4) | instid1(VALU_DEP_4)
	v_dual_mul_f32 v6, v1, v34 :: v_dual_fmac_f32 v3, v0, v32
	v_mul_f32_e32 v7, v1, v33
	v_dual_mul_f32 v8, v1, v36 :: v_dual_fmac_f32 v5, v0, v30
	v_fma_f32 v2, v0, v31, -v2
	v_fma_f32 v4, v0, v29, -v4
	v_fmac_f32_e32 v7, v0, v34
	v_fma_f32 v6, v0, v33, -v6
	v_fma_f32 v8, v0, v35, -v8
	v_fmac_f32_e32 v9, v1, v35
	ds_store_b64 v108, v[2:3]
	ds_load_b64 v[43:44], v107 offset:8
	ds_store_b64 v108, v[4:5] offset:536
	ds_load_b64 v[41:42], v107 offset:16
	ds_store_b64 v108, v[6:7] offset:1072
	;; [unrolled: 2-line block ×3, first 2 shown]
	s_waitcnt lgkmcnt(0)
	s_barrier
	buffer_gl0_inv
	ds_load_2addr_b64 v[4:7], v103 offset1:1
	ds_load_2addr_b64 v[0:3], v103 offset0:2 offset1:3
	v_add_co_u32 v8, vcc_lo, v130, v95
	v_add_co_ci_u32_e32 v9, vcc_lo, 0, v131, vcc_lo
	s_and_not1_b32 vcc_lo, exec_lo, s1
	s_waitcnt lgkmcnt(0)
	s_barrier
	buffer_gl0_inv
	s_cbranch_vccnz .LBB116_120
; %bb.113:                              ;   in Loop: Header=BB116_100 Depth=1
	v_mov_b32_e32 v45, 0
	v_mov_b32_e32 v46, 0
	s_mov_b32 s1, exec_lo
	s_delay_alu instid0(VALU_DEP_1)
	v_dual_mov_b32 v48, v46 :: v_dual_mov_b32 v47, v45
	v_cmpx_gt_i32_e64 s13, v109
	s_cbranch_execz .LBB116_115
; %bb.114:                              ;   in Loop: Header=BB116_100 Depth=1
	global_load_b64 v[47:48], v[8:9], off
.LBB116_115:                            ;   in Loop: Header=BB116_100 Depth=1
	s_or_b32 exec_lo, exec_lo, s1
	s_delay_alu instid0(SALU_CYCLE_1)
	s_mov_b32 s1, exec_lo
	v_cmpx_gt_i32_e64 s13, v110
	s_cbranch_execz .LBB116_117
; %bb.116:                              ;   in Loop: Header=BB116_100 Depth=1
	v_add_co_u32 v10, vcc_lo, v132, v95
	v_add_co_ci_u32_e32 v11, vcc_lo, 0, v133, vcc_lo
	global_load_b64 v[45:46], v[10:11], off
.LBB116_117:                            ;   in Loop: Header=BB116_100 Depth=1
	s_or_b32 exec_lo, exec_lo, s1
	v_mov_b32_e32 v49, 0
	v_mov_b32_e32 v50, 0
	s_mov_b32 s1, exec_lo
	v_cmpx_gt_i32_e64 s13, v111
	s_cbranch_execz .LBB116_119
; %bb.118:                              ;   in Loop: Header=BB116_100 Depth=1
	v_add_co_u32 v10, vcc_lo, v134, v95
	v_add_co_ci_u32_e32 v11, vcc_lo, 0, v135, vcc_lo
	global_load_b64 v[49:50], v[10:11], off
.LBB116_119:                            ;   in Loop: Header=BB116_100 Depth=1
	s_or_b32 exec_lo, exec_lo, s1
	v_cmp_gt_i32_e64 s1, s13, v112
	s_mov_b64 s[6:7], 0
	s_branch .LBB116_122
.LBB116_120:                            ;   in Loop: Header=BB116_100 Depth=1
	s_mov_b32 s1, 0
                                        ; implicit-def: $sgpr6_sgpr7
                                        ; implicit-def: $vgpr49_vgpr50
                                        ; implicit-def: $vgpr45_vgpr46
                                        ; implicit-def: $vgpr47_vgpr48
	s_cbranch_execz .LBB116_122
; %bb.121:                              ;   in Loop: Header=BB116_100 Depth=1
	v_add_co_u32 v10, vcc_lo, v132, v95
	v_add_co_ci_u32_e32 v11, vcc_lo, 0, v133, vcc_lo
	v_add_co_u32 v12, vcc_lo, v134, v95
	v_add_co_ci_u32_e32 v13, vcc_lo, 0, v135, vcc_lo
	global_load_b64 v[47:48], v[8:9], off
	global_load_b64 v[45:46], v[10:11], off
	;; [unrolled: 1-line block ×3, first 2 shown]
	s_or_b32 s1, s1, exec_lo
                                        ; implicit-def: $sgpr6_sgpr7
.LBB116_122:                            ;   in Loop: Header=BB116_100 Depth=1
	v_dual_mov_b32 v52, s7 :: v_dual_mov_b32 v51, s6
	s_delay_alu instid0(VALU_DEP_2)
	s_and_saveexec_b32 s6, s1
	s_cbranch_execz .LBB116_124
; %bb.123:                              ;   in Loop: Header=BB116_100 Depth=1
	v_add_co_u32 v8, vcc_lo, v136, v95
	v_add_co_ci_u32_e32 v9, vcc_lo, 0, v137, vcc_lo
	global_load_b64 v[51:52], v[8:9], off
.LBB116_124:                            ;   in Loop: Header=BB116_100 Depth=1
	s_or_b32 exec_lo, exec_lo, s6
	ds_load_b64 v[8:9], v100
	ds_load_b64 v[53:54], v107 offset:128
	v_cmp_ne_u32_e32 vcc_lo, 1, v77
	s_and_b32 vcc_lo, exec_lo, vcc_lo
	s_waitcnt vmcnt(0) lgkmcnt(1)
	v_mul_f32_e32 v11, v9, v47
	v_mul_f32_e32 v13, v9, v45
	;; [unrolled: 1-line block ×3, first 2 shown]
	v_dual_mul_f32 v12, v9, v46 :: v_dual_mul_f32 v17, v8, v52
	s_delay_alu instid0(VALU_DEP_4) | instskip(SKIP_4) | instid1(VALU_DEP_4)
	v_dual_mul_f32 v14, v9, v50 :: v_dual_fmac_f32 v11, v8, v48
	v_mul_f32_e32 v15, v9, v49
	v_dual_mul_f32 v16, v9, v52 :: v_dual_fmac_f32 v13, v8, v46
	v_fma_f32 v10, v8, v47, -v10
	v_fma_f32 v12, v8, v45, -v12
	v_fmac_f32_e32 v15, v8, v50
	v_fma_f32 v14, v8, v49, -v14
	v_fma_f32 v16, v8, v51, -v16
	v_fmac_f32_e32 v17, v9, v51
	ds_store_b64 v108, v[10:11]
	ds_load_b64 v[59:60], v107 offset:136
	ds_store_b64 v108, v[12:13] offset:536
	ds_load_b64 v[57:58], v107 offset:144
	ds_store_b64 v108, v[14:15] offset:1072
	;; [unrolled: 2-line block ×3, first 2 shown]
	s_waitcnt lgkmcnt(0)
	s_barrier
	buffer_gl0_inv
	ds_load_2addr_b64 v[12:15], v103 offset1:1
	ds_load_2addr_b64 v[8:11], v103 offset0:2 offset1:3
	v_add_co_u32 v16, s1, v138, v95
	s_delay_alu instid0(VALU_DEP_1)
	v_add_co_ci_u32_e64 v17, s1, 0, v139, s1
	s_waitcnt lgkmcnt(0)
	s_barrier
	buffer_gl0_inv
	s_cbranch_vccnz .LBB116_132
; %bb.125:                              ;   in Loop: Header=BB116_100 Depth=1
	v_mov_b32_e32 v61, 0
	v_mov_b32_e32 v62, 0
	s_mov_b32 s1, exec_lo
	s_delay_alu instid0(VALU_DEP_1)
	v_dual_mov_b32 v64, v62 :: v_dual_mov_b32 v63, v61
	v_cmpx_gt_i32_e64 s13, v113
	s_cbranch_execz .LBB116_127
; %bb.126:                              ;   in Loop: Header=BB116_100 Depth=1
	global_load_b64 v[63:64], v[16:17], off
.LBB116_127:                            ;   in Loop: Header=BB116_100 Depth=1
	s_or_b32 exec_lo, exec_lo, s1
	s_delay_alu instid0(SALU_CYCLE_1)
	s_mov_b32 s1, exec_lo
	v_cmpx_gt_i32_e64 s13, v114
	s_cbranch_execz .LBB116_129
; %bb.128:                              ;   in Loop: Header=BB116_100 Depth=1
	v_add_co_u32 v18, vcc_lo, v140, v95
	v_add_co_ci_u32_e32 v19, vcc_lo, 0, v141, vcc_lo
	global_load_b64 v[61:62], v[18:19], off
.LBB116_129:                            ;   in Loop: Header=BB116_100 Depth=1
	s_or_b32 exec_lo, exec_lo, s1
	v_mov_b32_e32 v65, 0
	v_mov_b32_e32 v66, 0
	s_mov_b32 s1, exec_lo
	v_cmpx_gt_i32_e64 s13, v115
	s_cbranch_execz .LBB116_131
; %bb.130:                              ;   in Loop: Header=BB116_100 Depth=1
	v_add_co_u32 v18, vcc_lo, v142, v95
	v_add_co_ci_u32_e32 v19, vcc_lo, 0, v143, vcc_lo
	global_load_b64 v[65:66], v[18:19], off
.LBB116_131:                            ;   in Loop: Header=BB116_100 Depth=1
	s_or_b32 exec_lo, exec_lo, s1
	v_cmp_gt_i32_e64 s1, s13, v116
	s_mov_b64 s[6:7], 0
	s_branch .LBB116_134
.LBB116_132:                            ;   in Loop: Header=BB116_100 Depth=1
	s_mov_b32 s1, 0
                                        ; implicit-def: $sgpr6_sgpr7
                                        ; implicit-def: $vgpr65_vgpr66
                                        ; implicit-def: $vgpr61_vgpr62
                                        ; implicit-def: $vgpr63_vgpr64
	s_cbranch_execz .LBB116_134
; %bb.133:                              ;   in Loop: Header=BB116_100 Depth=1
	v_add_co_u32 v18, vcc_lo, v140, v95
	v_add_co_ci_u32_e32 v19, vcc_lo, 0, v141, vcc_lo
	v_add_co_u32 v20, vcc_lo, v142, v95
	v_add_co_ci_u32_e32 v21, vcc_lo, 0, v143, vcc_lo
	global_load_b64 v[63:64], v[16:17], off
	global_load_b64 v[61:62], v[18:19], off
	;; [unrolled: 1-line block ×3, first 2 shown]
	s_or_b32 s1, s1, exec_lo
                                        ; implicit-def: $sgpr6_sgpr7
.LBB116_134:                            ;   in Loop: Header=BB116_100 Depth=1
	v_dual_mov_b32 v68, s7 :: v_dual_mov_b32 v67, s6
	s_delay_alu instid0(VALU_DEP_2)
	s_and_saveexec_b32 s6, s1
	s_cbranch_execz .LBB116_136
; %bb.135:                              ;   in Loop: Header=BB116_100 Depth=1
	v_add_co_u32 v16, vcc_lo, v144, v95
	v_add_co_ci_u32_e32 v17, vcc_lo, 0, v145, vcc_lo
	global_load_b64 v[67:68], v[16:17], off
.LBB116_136:                            ;   in Loop: Header=BB116_100 Depth=1
	s_or_b32 exec_lo, exec_lo, s6
	ds_load_b64 v[16:17], v100
	ds_load_b64 v[69:70], v107 offset:256
	v_cmp_ne_u32_e32 vcc_lo, 1, v77
	v_add_co_u32 v83, s1, v146, v95
	s_delay_alu instid0(VALU_DEP_1)
	v_add_co_ci_u32_e64 v84, s1, 0, v147, s1
	s_and_b32 vcc_lo, exec_lo, vcc_lo
	s_waitcnt vmcnt(0) lgkmcnt(1)
	v_mul_f32_e32 v19, v17, v63
	v_mul_f32_e32 v21, v17, v61
	;; [unrolled: 1-line block ×3, first 2 shown]
	v_dual_mul_f32 v20, v17, v62 :: v_dual_mul_f32 v79, v16, v68
	s_delay_alu instid0(VALU_DEP_4)
	v_dual_mul_f32 v22, v17, v66 :: v_dual_fmac_f32 v19, v16, v64
	v_mul_f32_e32 v23, v17, v65
	v_mul_f32_e32 v71, v17, v68
	v_fmac_f32_e32 v21, v16, v62
	v_fma_f32 v18, v16, v63, -v18
	v_fma_f32 v20, v16, v61, -v20
	;; [unrolled: 1-line block ×3, first 2 shown]
	v_fmac_f32_e32 v23, v16, v66
	v_fma_f32 v78, v16, v67, -v71
	v_fmac_f32_e32 v79, v17, v67
	ds_store_b64 v108, v[18:19]
	ds_load_b64 v[75:76], v107 offset:264
	ds_store_b64 v108, v[20:21] offset:536
	ds_load_b64 v[73:74], v107 offset:272
	ds_store_b64 v108, v[22:23] offset:1072
	;; [unrolled: 2-line block ×3, first 2 shown]
	s_waitcnt lgkmcnt(0)
	s_barrier
	buffer_gl0_inv
	ds_load_2addr_b64 v[20:23], v103 offset1:1
	ds_load_2addr_b64 v[16:19], v103 offset0:2 offset1:3
	s_waitcnt lgkmcnt(0)
	s_barrier
	buffer_gl0_inv
	s_cbranch_vccnz .LBB116_144
; %bb.137:                              ;   in Loop: Header=BB116_100 Depth=1
	v_mov_b32_e32 v77, 0
	v_mov_b32_e32 v78, 0
	s_mov_b32 s1, exec_lo
	s_delay_alu instid0(VALU_DEP_1)
	v_dual_mov_b32 v80, v78 :: v_dual_mov_b32 v79, v77
	v_cmpx_gt_i32_e64 s13, v117
	s_cbranch_execz .LBB116_139
; %bb.138:                              ;   in Loop: Header=BB116_100 Depth=1
	global_load_b64 v[79:80], v[83:84], off
.LBB116_139:                            ;   in Loop: Header=BB116_100 Depth=1
	s_or_b32 exec_lo, exec_lo, s1
	s_delay_alu instid0(SALU_CYCLE_1)
	s_mov_b32 s1, exec_lo
	v_cmpx_gt_i32_e64 s13, v118
	s_cbranch_execz .LBB116_141
; %bb.140:                              ;   in Loop: Header=BB116_100 Depth=1
	v_add_co_u32 v77, vcc_lo, v148, v95
	v_add_co_ci_u32_e32 v78, vcc_lo, 0, v149, vcc_lo
	global_load_b64 v[77:78], v[77:78], off
.LBB116_141:                            ;   in Loop: Header=BB116_100 Depth=1
	s_or_b32 exec_lo, exec_lo, s1
	v_mov_b32_e32 v81, 0
	v_mov_b32_e32 v82, 0
	s_mov_b32 s1, exec_lo
	v_cmpx_gt_i32_e64 s13, v119
	s_cbranch_execz .LBB116_143
; %bb.142:                              ;   in Loop: Header=BB116_100 Depth=1
	v_add_co_u32 v81, vcc_lo, v150, v95
	v_add_co_ci_u32_e32 v82, vcc_lo, 0, v151, vcc_lo
	global_load_b64 v[81:82], v[81:82], off
.LBB116_143:                            ;   in Loop: Header=BB116_100 Depth=1
	s_or_b32 exec_lo, exec_lo, s1
	v_cmp_gt_i32_e64 s1, s13, v120
	s_mov_b64 s[6:7], 0
	s_branch .LBB116_146
.LBB116_144:                            ;   in Loop: Header=BB116_100 Depth=1
	s_mov_b32 s1, 0
                                        ; implicit-def: $sgpr6_sgpr7
                                        ; implicit-def: $vgpr81_vgpr82
                                        ; implicit-def: $vgpr77_vgpr78
                                        ; implicit-def: $vgpr79_vgpr80
	s_cbranch_execz .LBB116_146
; %bb.145:                              ;   in Loop: Header=BB116_100 Depth=1
	s_waitcnt vmcnt(0)
	v_add_co_u32 v77, vcc_lo, v148, v95
	v_add_co_ci_u32_e32 v78, vcc_lo, 0, v149, vcc_lo
	v_add_co_u32 v81, vcc_lo, v150, v95
	v_add_co_ci_u32_e32 v82, vcc_lo, 0, v151, vcc_lo
	global_load_b64 v[79:80], v[83:84], off
	global_load_b64 v[77:78], v[77:78], off
	;; [unrolled: 1-line block ×3, first 2 shown]
	s_or_b32 s1, s1, exec_lo
                                        ; implicit-def: $sgpr6_sgpr7
.LBB116_146:                            ;   in Loop: Header=BB116_100 Depth=1
	v_dual_mov_b32 v84, s7 :: v_dual_mov_b32 v83, s6
	s_delay_alu instid0(VALU_DEP_2)
	s_and_saveexec_b32 s6, s1
	s_cbranch_execz .LBB116_148
; %bb.147:                              ;   in Loop: Header=BB116_100 Depth=1
	v_add_co_u32 v83, vcc_lo, v152, v95
	v_add_co_ci_u32_e32 v84, vcc_lo, 0, v153, vcc_lo
	global_load_b64 v[83:84], v[83:84], off
.LBB116_148:                            ;   in Loop: Header=BB116_100 Depth=1
	s_or_b32 exec_lo, exec_lo, s6
	ds_load_b64 v[87:88], v100
	ds_load_b64 v[85:86], v107 offset:384
	v_cmp_gt_i32_e32 vcc_lo, s13, v93
	v_add_f32_e32 v13, 0, v13
	v_add_f32_e32 v21, 0, v21
	;; [unrolled: 1-line block ×3, first 2 shown]
	s_or_b32 s1, s15, vcc_lo
	s_delay_alu instid0(VALU_DEP_3) | instskip(SKIP_1) | instid1(VALU_DEP_2)
	v_add_f32_e32 v13, v13, v15
	s_and_b32 s6, s0, s1
	v_dual_add_f32 v5, v5, v7 :: v_dual_add_f32 v4, 0, v4
	s_delay_alu instid0(VALU_DEP_2) | instskip(NEXT) | instid1(VALU_DEP_2)
	v_add_f32_e32 v9, v13, v9
	v_dual_add_f32 v15, v5, v1 :: v_dual_add_f32 v4, v4, v6
	s_waitcnt vmcnt(0) lgkmcnt(1)
	v_mul_f32_e32 v90, v88, v79
	v_mul_f32_e32 v92, v88, v82
	v_mul_f32_e32 v156, v88, v77
	v_mul_f32_e32 v89, v88, v80
	v_dual_mul_f32 v91, v88, v78 :: v_dual_mul_f32 v160, v87, v84
	v_fmac_f32_e32 v90, v87, v80
	v_mul_f32_e32 v158, v88, v81
	v_dual_mul_f32 v159, v88, v84 :: v_dual_fmac_f32 v156, v87, v78
	v_fma_f32 v89, v87, v79, -v89
	v_fma_f32 v155, v87, v77, -v91
	s_delay_alu instid0(VALU_DEP_4)
	v_fmac_f32_e32 v158, v87, v82
	v_fma_f32 v157, v87, v81, -v92
	v_fma_f32 v159, v87, v83, -v159
	v_fmac_f32_e32 v160, v88, v83
	ds_store_b64 v108, v[89:90]
	ds_load_b64 v[91:92], v107 offset:392
	ds_store_b64 v108, v[155:156] offset:536
	ds_load_b64 v[89:90], v107 offset:400
	ds_store_b64 v108, v[157:158] offset:1072
	;; [unrolled: 2-line block ×3, first 2 shown]
	s_waitcnt lgkmcnt(0)
	s_barrier
	buffer_gl0_inv
	ds_load_2addr_b64 v[155:158], v103 offset1:1
	v_dual_add_f32 v160, v21, v23 :: v_dual_add_f32 v13, v4, v0
	v_dual_add_f32 v20, 0, v20 :: v_dual_add_f32 v3, v15, v3
	s_delay_alu instid0(VALU_DEP_2) | instskip(NEXT) | instid1(VALU_DEP_2)
	v_dual_add_f32 v7, v160, v17 :: v_dual_add_f32 v12, 0, v12
	v_add_f32_e32 v159, v20, v22
	ds_load_2addr_b64 v[20:23], v103 offset0:2 offset1:3
	v_dual_add_f32 v2, v13, v2 :: v_dual_add_f32 v1, v7, v19
	v_add_f32_e32 v12, v12, v14
	s_waitcnt lgkmcnt(0)
	s_barrier
	buffer_gl0_inv
	v_add_f32_e32 v8, v12, v8
	v_add_f32_e32 v12, 0, v155
	;; [unrolled: 1-line block ×4, first 2 shown]
	s_delay_alu instid0(VALU_DEP_4) | instskip(NEXT) | instid1(VALU_DEP_3)
	v_add_f32_e32 v4, v8, v10
	v_dual_add_f32 v5, v12, v157 :: v_dual_add_f32 v12, v14, v158
	s_delay_alu instid0(VALU_DEP_3) | instskip(NEXT) | instid1(VALU_DEP_2)
	v_add_f32_e32 v0, v6, v18
	v_dual_add_f32 v6, v5, v20 :: v_dual_add_f32 v7, v12, v21
	s_delay_alu instid0(VALU_DEP_1) | instskip(NEXT) | instid1(VALU_DEP_2)
	v_dual_add_f32 v5, v9, v11 :: v_dual_add_f32 v6, v6, v22
	v_add_f32_e32 v7, v7, v23
	ds_store_2addr_b64 v154, v[2:3], v[4:5] offset1:16
	ds_store_2addr_b64 v154, v[0:1], v[6:7] offset0:32 offset1:48
	s_waitcnt lgkmcnt(0)
	s_barrier
	buffer_gl0_inv
	s_and_saveexec_b32 s1, s6
	s_cbranch_execz .LBB116_150
; %bb.149:                              ;   in Loop: Header=BB116_100 Depth=1
	ds_load_b64 v[11:12], v101
	ds_load_2addr_b64 v[0:3], v101 offset0:1 offset1:2
	ds_load_2addr_b64 v[4:7], v101 offset0:3 offset1:4
	s_waitcnt lgkmcnt(1)
	v_dual_add_f32 v0, v0, v11 :: v_dual_add_f32 v1, v1, v12
	ds_load_2addr_b64 v[8:11], v101 offset0:5 offset1:6
	v_add_f32_e32 v0, v0, v2
	v_add_f32_e32 v12, v1, v3
	s_waitcnt lgkmcnt(1)
	s_delay_alu instid0(VALU_DEP_2) | instskip(SKIP_3) | instid1(VALU_DEP_2)
	v_add_f32_e32 v4, v0, v4
	ds_load_2addr_b64 v[0:3], v101 offset0:7 offset1:8
	v_add_f32_e32 v5, v12, v5
	v_add_f32_e32 v4, v4, v6
	;; [unrolled: 1-line block ×3, first 2 shown]
	s_waitcnt lgkmcnt(1)
	s_delay_alu instid0(VALU_DEP_2) | instskip(SKIP_3) | instid1(VALU_DEP_2)
	v_add_f32_e32 v8, v4, v8
	ds_load_2addr_b64 v[4:7], v101 offset0:9 offset1:10
	v_add_f32_e32 v9, v12, v9
	v_add_f32_e32 v8, v8, v10
	;; [unrolled: 1-line block ×3, first 2 shown]
	s_waitcnt lgkmcnt(1)
	s_delay_alu instid0(VALU_DEP_2) | instskip(SKIP_4) | instid1(VALU_DEP_1)
	v_add_f32_e32 v0, v8, v0
	ds_load_2addr_b64 v[8:11], v101 offset0:11 offset1:12
	v_add_f32_e32 v1, v12, v1
	v_add_f32_e32 v12, v0, v2
	s_waitcnt lgkmcnt(1)
	v_add_f32_e32 v4, v12, v4
	s_delay_alu instid0(VALU_DEP_1) | instskip(SKIP_1) | instid1(VALU_DEP_1)
	v_add_f32_e32 v6, v4, v6
	s_waitcnt lgkmcnt(0)
	v_add_f32_e32 v6, v6, v8
	s_delay_alu instid0(VALU_DEP_1) | instskip(SKIP_3) | instid1(VALU_DEP_1)
	v_dual_add_f32 v8, v6, v10 :: v_dual_add_f32 v13, v1, v3
	ds_load_2addr_b64 v[0:3], v101 offset0:13 offset1:14
	v_add_nc_u32_e32 v6, s12, v121
	v_add_f32_e32 v5, v13, v5
	v_add_f32_e32 v7, v5, v7
	ds_load_b64 v[4:5], v102
	v_add_f32_e32 v7, v7, v9
	s_waitcnt lgkmcnt(1)
	s_delay_alu instid0(VALU_DEP_1) | instskip(NEXT) | instid1(VALU_DEP_1)
	v_dual_add_f32 v7, v7, v11 :: v_dual_add_f32 v0, v8, v0
	v_add_f32_e32 v1, v7, v1
	v_ashrrev_i32_e32 v7, 31, v6
	s_delay_alu instid0(VALU_DEP_2) | instskip(NEXT) | instid1(VALU_DEP_2)
	v_dual_add_f32 v2, v0, v2 :: v_dual_add_f32 v3, v1, v3
	v_lshlrev_b64 v[0:1], 3, v[6:7]
	s_waitcnt lgkmcnt(0)
	s_delay_alu instid0(VALU_DEP_2) | instskip(NEXT) | instid1(VALU_DEP_2)
	v_dual_add_f32 v2, v2, v4 :: v_dual_add_f32 v3, v3, v5
	v_add_co_u32 v0, vcc_lo, s3, v0
	s_delay_alu instid0(VALU_DEP_3)
	v_add_co_ci_u32_e32 v1, vcc_lo, s8, v1, vcc_lo
	global_store_b64 v[0:1], v[2:3], off
.LBB116_150:                            ;   in Loop: Header=BB116_100 Depth=1
	s_or_b32 exec_lo, exec_lo, s1
	v_dual_mul_f32 v0, v38, v32 :: v_dual_mul_f32 v3, v44, v29
	v_dual_mul_f32 v1, v38, v31 :: v_dual_mul_f32 v2, v44, v30
	;; [unrolled: 1-line block ×3, first 2 shown]
	s_delay_alu instid0(VALU_DEP_3) | instskip(SKIP_1) | instid1(VALU_DEP_4)
	v_fma_f32 v0, v37, v31, -v0
	v_dual_mul_f32 v5, v42, v33 :: v_dual_mul_f32 v6, v40, v36
	v_fma_f32 v2, v43, v29, -v2
	v_fmac_f32_e32 v1, v37, v32
	s_delay_alu instid0(VALU_DEP_4) | instskip(SKIP_3) | instid1(VALU_DEP_4)
	v_dual_add_f32 v0, v26, v0 :: v_dual_fmac_f32 v3, v43, v30
	v_mul_f32_e32 v9, v54, v47
	v_fma_f32 v4, v41, v33, -v4
	v_fma_f32 v6, v39, v35, -v6
	v_add_f32_e32 v0, v0, v2
	v_mul_f32_e32 v2, v60, v46
	v_dual_mul_f32 v8, v54, v48 :: v_dual_add_f32 v1, v27, v1
	s_delay_alu instid0(VALU_DEP_3) | instskip(SKIP_1) | instid1(VALU_DEP_4)
	v_dual_fmac_f32 v5, v41, v34 :: v_dual_add_f32 v0, v0, v4
	v_mul_f32_e32 v4, v60, v45
	v_fma_f32 v2, v59, v45, -v2
	s_delay_alu instid0(VALU_DEP_4) | instskip(SKIP_2) | instid1(VALU_DEP_3)
	v_add_f32_e32 v1, v1, v3
	v_fma_f32 v3, v53, v47, -v8
	v_dual_add_f32 v0, v0, v6 :: v_dual_fmac_f32 v7, v39, v36
	v_dual_mul_f32 v6, v58, v50 :: v_dual_add_f32 v1, v1, v5
	s_delay_alu instid0(VALU_DEP_2) | instskip(SKIP_1) | instid1(VALU_DEP_3)
	v_dual_fmac_f32 v9, v53, v48 :: v_dual_add_f32 v0, v0, v3
	v_mul_f32_e32 v3, v56, v52
	v_fma_f32 v5, v57, v49, -v6
	s_delay_alu instid0(VALU_DEP_4) | instskip(SKIP_3) | instid1(VALU_DEP_4)
	v_add_f32_e32 v1, v1, v7
	v_add_co_u32 v122, vcc_lo, v122, s4
	v_add_f32_e32 v0, v0, v2
	v_mul_f32_e32 v2, v58, v49
	v_dual_fmac_f32 v4, v59, v46 :: v_dual_add_f32 v1, v1, v9
	v_fma_f32 v3, v55, v51, -v3
	s_delay_alu instid0(VALU_DEP_4) | instskip(NEXT) | instid1(VALU_DEP_4)
	v_dual_add_f32 v0, v0, v5 :: v_dual_mul_f32 v5, v70, v64
	v_fmac_f32_e32 v2, v57, v50
	s_delay_alu instid0(VALU_DEP_4) | instskip(NEXT) | instid1(VALU_DEP_3)
	v_dual_add_f32 v1, v1, v4 :: v_dual_mul_f32 v4, v56, v51
	v_add_f32_e32 v0, v0, v3
	s_delay_alu instid0(VALU_DEP_4) | instskip(SKIP_3) | instid1(VALU_DEP_4)
	v_fma_f32 v3, v69, v63, -v5
	v_mul_f32_e32 v5, v76, v62
	v_add_co_ci_u32_e32 v123, vcc_lo, s5, v123, vcc_lo
	v_fmac_f32_e32 v4, v55, v52
	v_add_f32_e32 v0, v0, v3
	s_delay_alu instid0(VALU_DEP_4) | instskip(SKIP_3) | instid1(VALU_DEP_4)
	v_fma_f32 v3, v75, v61, -v5
	v_mul_f32_e32 v5, v74, v66
	v_add_co_u32 v124, vcc_lo, v124, s4
	v_add_co_ci_u32_e32 v125, vcc_lo, s5, v125, vcc_lo
	v_add_f32_e32 v0, v0, v3
	s_delay_alu instid0(VALU_DEP_4) | instskip(SKIP_3) | instid1(VALU_DEP_2)
	v_fma_f32 v3, v73, v65, -v5
	v_mul_f32_e32 v5, v72, v68
	v_dual_add_f32 v1, v1, v2 :: v_dual_mul_f32 v2, v70, v63
	v_add_co_u32 v126, vcc_lo, v126, s4
	v_dual_add_f32 v0, v0, v3 :: v_dual_add_f32 v1, v1, v4
	s_delay_alu instid0(VALU_DEP_3)
	v_fmac_f32_e32 v2, v69, v64
	v_fma_f32 v3, v71, v67, -v5
	v_mul_f32_e32 v5, v72, v67
	v_mul_f32_e32 v4, v76, v61
	v_add_co_ci_u32_e32 v127, vcc_lo, s5, v127, vcc_lo
	v_dual_add_f32 v1, v1, v2 :: v_dual_mul_f32 v2, v74, v65
	v_add_f32_e32 v0, v0, v3
	v_mul_f32_e32 v3, v92, v78
	v_fmac_f32_e32 v5, v71, v68
	v_fmac_f32_e32 v4, v75, v62
	;; [unrolled: 1-line block ×3, first 2 shown]
	v_add_co_u32 v128, vcc_lo, v128, s4
	v_add_co_ci_u32_e32 v129, vcc_lo, s5, v129, vcc_lo
	s_delay_alu instid0(VALU_DEP_4)
	v_add_f32_e32 v1, v1, v4
	v_mul_f32_e32 v4, v86, v80
	v_add_co_u32 v130, vcc_lo, v130, s4
	v_add_co_ci_u32_e32 v131, vcc_lo, s5, v131, vcc_lo
	v_add_co_u32 v132, vcc_lo, v132, s4
	v_add_f32_e32 v1, v1, v2
	v_fma_f32 v2, v85, v79, -v4
	v_add_co_ci_u32_e32 v133, vcc_lo, s5, v133, vcc_lo
	v_add_co_u32 v134, vcc_lo, v134, s4
	v_add_co_ci_u32_e32 v135, vcc_lo, s5, v135, vcc_lo
	v_add_co_u32 v136, vcc_lo, v136, s4
	v_add_f32_e32 v1, v1, v5
	v_mul_f32_e32 v5, v90, v82
	v_add_f32_e32 v0, v0, v2
	v_fma_f32 v2, v91, v77, -v3
	v_dual_mul_f32 v3, v92, v77 :: v_dual_mul_f32 v4, v86, v79
	v_add_co_ci_u32_e32 v137, vcc_lo, s5, v137, vcc_lo
	v_add_co_u32 v138, vcc_lo, v138, s4
	s_delay_alu instid0(VALU_DEP_3)
	v_fmac_f32_e32 v3, v91, v78
	v_add_co_ci_u32_e32 v139, vcc_lo, s5, v139, vcc_lo
	v_fmac_f32_e32 v4, v85, v80
	v_add_co_u32 v140, vcc_lo, v140, s4
	v_add_co_ci_u32_e32 v141, vcc_lo, s5, v141, vcc_lo
	v_add_co_u32 v142, vcc_lo, v142, s4
	s_delay_alu instid0(VALU_DEP_4)
	v_dual_add_f32 v1, v1, v4 :: v_dual_add_f32 v0, v0, v2
	v_mul_f32_e32 v2, v90, v81
	v_add_co_ci_u32_e32 v143, vcc_lo, s5, v143, vcc_lo
	v_add_co_u32 v144, vcc_lo, v144, s4
	v_add_co_ci_u32_e32 v145, vcc_lo, s5, v145, vcc_lo
	v_add_co_u32 v146, vcc_lo, v146, s4
	v_fma_f32 v4, v89, v81, -v5
	v_dual_mul_f32 v5, v88, v84 :: v_dual_fmac_f32 v2, v89, v82
	v_add_f32_e32 v1, v1, v3
	v_mul_f32_e32 v6, v88, v83
	v_add_co_ci_u32_e32 v147, vcc_lo, s5, v147, vcc_lo
	v_add_co_u32 v148, vcc_lo, v148, s4
	s_delay_alu instid0(VALU_DEP_4)
	v_add_f32_e32 v1, v1, v2
	v_add_co_ci_u32_e32 v149, vcc_lo, s5, v149, vcc_lo
	v_fma_f32 v3, v87, v83, -v5
	v_fmac_f32_e32 v6, v87, v84
	v_add_f32_e32 v0, v0, v4
	v_add_co_u32 v150, vcc_lo, v150, s4
	v_add_co_ci_u32_e32 v151, vcc_lo, s5, v151, vcc_lo
	s_delay_alu instid0(VALU_DEP_4)
	v_add_f32_e32 v27, v1, v6
	v_add_co_u32 v152, vcc_lo, v152, s4
	v_add_f32_e32 v26, v0, v3
	v_add_co_ci_u32_e32 v153, vcc_lo, s5, v153, vcc_lo
	s_add_i32 s6, s14, 2
	s_add_i32 s1, s14, 1
	;; [unrolled: 1-line block ×3, first 2 shown]
	s_cmp_ge_u32 s6, s9
	s_waitcnt_vscnt null, 0x0
	s_barrier
	buffer_gl0_inv
	s_cbranch_scc1 .LBB116_152
; %bb.151:                              ;   in Loop: Header=BB116_100 Depth=1
	s_mov_b32 s14, s1
	s_delay_alu instid0(SALU_CYCLE_1)
	s_cmp_eq_u32 s11, s14
	s_cselect_b32 s13, s24, 0
	s_and_saveexec_b32 s1, s2
	s_cbranch_execnz .LBB116_96
	s_branch .LBB116_100
.LBB116_152:
	v_cmp_gt_i32_e32 vcc_lo, s10, v93
	v_mad_u32_u24 v0, 0x218, v94, v95
	s_or_b32 s0, s18, vcc_lo
	ds_store_b64 v0, v[26:27]
	s_and_b32 s0, s2, s0
	s_waitcnt lgkmcnt(0)
	s_barrier
	buffer_gl0_inv
	s_and_saveexec_b32 s1, s0
	s_cbranch_execz .LBB116_154
; %bb.153:
	ds_load_2addr_b64 v[0:3], v95 offset1:67
	ds_load_2addr_b64 v[4:7], v95 offset0:134 offset1:201
	s_waitcnt lgkmcnt(1)
	v_dual_add_f32 v0, v2, v0 :: v_dual_add_f32 v1, v3, v1
	s_waitcnt lgkmcnt(0)
	s_delay_alu instid0(VALU_DEP_1) | instskip(SKIP_1) | instid1(VALU_DEP_2)
	v_dual_add_f32 v2, v0, v4 :: v_dual_add_f32 v3, v1, v5
	v_lshlrev_b64 v[0:1], 3, v[24:25]
	v_dual_add_f32 v2, v2, v6 :: v_dual_add_f32 v3, v3, v7
	s_delay_alu instid0(VALU_DEP_2) | instskip(NEXT) | instid1(VALU_DEP_3)
	v_add_co_u32 v0, vcc_lo, s3, v0
	v_add_co_ci_u32_e32 v1, vcc_lo, s8, v1, vcc_lo
	global_store_b64 v[0:1], v[2:3], off
.LBB116_154:
	s_nop 0
	s_sendmsg sendmsg(MSG_DEALLOC_VGPRS)
	s_endpgm
	.section	.rodata,"a",@progbits
	.p2align	6, 0x0
	.amdhsa_kernel _ZL26rocblas_hemvn_kernel_upperILb0ELi64ELi4ELi33ELi32ELi16El19rocblas_complex_numIfEPKS1_PS1_EviT6_lT7_lT5_lS6_lS7_lS5_lT8_i
		.amdhsa_group_segment_fixed_size 9600
		.amdhsa_private_segment_fixed_size 0
		.amdhsa_kernarg_size 376
		.amdhsa_user_sgpr_count 14
		.amdhsa_user_sgpr_dispatch_ptr 0
		.amdhsa_user_sgpr_queue_ptr 0
		.amdhsa_user_sgpr_kernarg_segment_ptr 1
		.amdhsa_user_sgpr_dispatch_id 0
		.amdhsa_user_sgpr_private_segment_size 0
		.amdhsa_wavefront_size32 1
		.amdhsa_uses_dynamic_stack 0
		.amdhsa_enable_private_segment 0
		.amdhsa_system_sgpr_workgroup_id_x 1
		.amdhsa_system_sgpr_workgroup_id_y 0
		.amdhsa_system_sgpr_workgroup_id_z 1
		.amdhsa_system_sgpr_workgroup_info 0
		.amdhsa_system_vgpr_workitem_id 1
		.amdhsa_next_free_vgpr 161
		.amdhsa_next_free_sgpr 32
		.amdhsa_reserve_vcc 1
		.amdhsa_float_round_mode_32 0
		.amdhsa_float_round_mode_16_64 0
		.amdhsa_float_denorm_mode_32 3
		.amdhsa_float_denorm_mode_16_64 3
		.amdhsa_dx10_clamp 1
		.amdhsa_ieee_mode 1
		.amdhsa_fp16_overflow 0
		.amdhsa_workgroup_processor_mode 1
		.amdhsa_memory_ordered 1
		.amdhsa_forward_progress 0
		.amdhsa_shared_vgpr_count 0
		.amdhsa_exception_fp_ieee_invalid_op 0
		.amdhsa_exception_fp_denorm_src 0
		.amdhsa_exception_fp_ieee_div_zero 0
		.amdhsa_exception_fp_ieee_overflow 0
		.amdhsa_exception_fp_ieee_underflow 0
		.amdhsa_exception_fp_ieee_inexact 0
		.amdhsa_exception_int_div_zero 0
	.end_amdhsa_kernel
	.section	.text._ZL26rocblas_hemvn_kernel_upperILb0ELi64ELi4ELi33ELi32ELi16El19rocblas_complex_numIfEPKS1_PS1_EviT6_lT7_lT5_lS6_lS7_lS5_lT8_i,"axG",@progbits,_ZL26rocblas_hemvn_kernel_upperILb0ELi64ELi4ELi33ELi32ELi16El19rocblas_complex_numIfEPKS1_PS1_EviT6_lT7_lT5_lS6_lS7_lS5_lT8_i,comdat
.Lfunc_end116:
	.size	_ZL26rocblas_hemvn_kernel_upperILb0ELi64ELi4ELi33ELi32ELi16El19rocblas_complex_numIfEPKS1_PS1_EviT6_lT7_lT5_lS6_lS7_lS5_lT8_i, .Lfunc_end116-_ZL26rocblas_hemvn_kernel_upperILb0ELi64ELi4ELi33ELi32ELi16El19rocblas_complex_numIfEPKS1_PS1_EviT6_lT7_lT5_lS6_lS7_lS5_lT8_i
                                        ; -- End function
	.section	.AMDGPU.csdata,"",@progbits
; Kernel info:
; codeLenInByte = 9956
; NumSgprs: 34
; NumVgprs: 161
; ScratchSize: 0
; MemoryBound: 1
; FloatMode: 240
; IeeeMode: 1
; LDSByteSize: 9600 bytes/workgroup (compile time only)
; SGPRBlocks: 4
; VGPRBlocks: 20
; NumSGPRsForWavesPerEU: 34
; NumVGPRsForWavesPerEU: 161
; Occupancy: 9
; WaveLimiterHint : 0
; COMPUTE_PGM_RSRC2:SCRATCH_EN: 0
; COMPUTE_PGM_RSRC2:USER_SGPR: 14
; COMPUTE_PGM_RSRC2:TRAP_HANDLER: 0
; COMPUTE_PGM_RSRC2:TGID_X_EN: 1
; COMPUTE_PGM_RSRC2:TGID_Y_EN: 0
; COMPUTE_PGM_RSRC2:TGID_Z_EN: 1
; COMPUTE_PGM_RSRC2:TIDIG_COMP_CNT: 1
	.section	.text._ZL26rocblas_hemvn_kernel_upperILb0ELi64ELi4ELi33ELi32ELi16Ei19rocblas_complex_numIfEPKS1_PS1_EviT6_lT7_lT5_lS6_lS7_lS5_lT8_i,"axG",@progbits,_ZL26rocblas_hemvn_kernel_upperILb0ELi64ELi4ELi33ELi32ELi16Ei19rocblas_complex_numIfEPKS1_PS1_EviT6_lT7_lT5_lS6_lS7_lS5_lT8_i,comdat
	.globl	_ZL26rocblas_hemvn_kernel_upperILb0ELi64ELi4ELi33ELi32ELi16Ei19rocblas_complex_numIfEPKS1_PS1_EviT6_lT7_lT5_lS6_lS7_lS5_lT8_i ; -- Begin function _ZL26rocblas_hemvn_kernel_upperILb0ELi64ELi4ELi33ELi32ELi16Ei19rocblas_complex_numIfEPKS1_PS1_EviT6_lT7_lT5_lS6_lS7_lS5_lT8_i
	.p2align	8
	.type	_ZL26rocblas_hemvn_kernel_upperILb0ELi64ELi4ELi33ELi32ELi16Ei19rocblas_complex_numIfEPKS1_PS1_EviT6_lT7_lT5_lS6_lS7_lS5_lT8_i,@function
_ZL26rocblas_hemvn_kernel_upperILb0ELi64ELi4ELi33ELi32ELi16Ei19rocblas_complex_numIfEPKS1_PS1_EviT6_lT7_lT5_lS6_lS7_lS5_lT8_i: ; @_ZL26rocblas_hemvn_kernel_upperILb0ELi64ELi4ELi33ELi32ELi16Ei19rocblas_complex_numIfEPKS1_PS1_EviT6_lT7_lT5_lS6_lS7_lS5_lT8_i
; %bb.0:
	s_load_b64 s[4:5], s[0:1], 0x84
	s_add_u32 s2, s0, 0x78
	s_addc_u32 s3, s1, 0
	s_waitcnt lgkmcnt(0)
	s_lshr_b32 s6, s4, 16
	s_and_b32 s4, s4, 0xffff
	s_and_b32 s5, s5, 0xffff
	s_mul_i32 s4, s6, s4
	s_delay_alu instid0(SALU_CYCLE_1) | instskip(NEXT) | instid1(SALU_CYCLE_1)
	s_mul_i32 s4, s4, s5
	s_cmpk_lg_i32 s4, 0x100
	s_cbranch_scc1 .LBB117_154
; %bb.1:
	s_load_b64 s[4:5], s[0:1], 0x4
	s_waitcnt lgkmcnt(0)
	s_or_b32 s4, s4, s5
	s_mov_b32 s5, -1
	s_bitset0_b32 s4, 31
	s_delay_alu instid0(SALU_CYCLE_1) | instskip(SKIP_1) | instid1(SALU_CYCLE_1)
	s_cmp_lg_u32 s4, 0
	s_cselect_b32 s4, -1, 0
	s_and_b32 vcc_lo, exec_lo, s4
	s_cbranch_vccnz .LBB117_3
; %bb.2:
	s_load_b64 s[6:7], s[0:1], 0x58
	s_waitcnt lgkmcnt(0)
	v_cmp_neq_f32_e64 s5, s6, 1.0
	v_cmp_neq_f32_e64 s6, s7, 0
	s_delay_alu instid0(VALU_DEP_1)
	s_or_b32 s5, s5, s6
.LBB117_3:
	s_delay_alu instid0(SALU_CYCLE_1)
	s_and_not1_b32 vcc_lo, exec_lo, s5
	s_cbranch_vccnz .LBB117_154
; %bb.4:
	s_and_not1_b32 vcc_lo, exec_lo, s4
	s_cbranch_vccnz .LBB117_154
; %bb.5:
	s_clause 0x3
	s_load_b64 s[8:9], s[0:1], 0x50
	s_load_b128 s[4:7], s[0:1], 0x30
	s_load_b64 s[10:11], s[0:1], 0x40
	s_load_b32 s24, s[0:1], 0x48
	v_and_b32_e32 v25, 0x3ff, v0
	s_load_b32 s28, s[2:3], 0x0
	v_bfe_u32 v95, v0, 10, 10
	s_waitcnt lgkmcnt(0)
	s_mul_i32 s9, s15, s9
	s_mul_hi_u32 s12, s15, s8
	s_mul_i32 s8, s15, s8
	s_add_i32 s9, s12, s9
	s_delay_alu instid0(SALU_CYCLE_1) | instskip(SKIP_4) | instid1(SALU_CYCLE_1)
	s_lshl_b64 s[12:13], s[8:9], 3
	s_load_b32 s9, s[0:1], 0x0
	s_add_u32 s8, s6, s12
	s_addc_u32 s12, s7, s13
	s_lshl_b64 s[6:7], s[10:11], 3
	s_add_u32 s6, s8, s6
	s_addc_u32 s7, s12, s7
	s_lshl_b32 s16, s14, 6
	s_add_i32 s3, s28, -1
	v_add_nc_u32_e32 v24, s16, v25
	s_delay_alu instid0(VALU_DEP_1) | instskip(SKIP_2) | instid1(VALU_DEP_1)
	v_mul_lo_u32 v1, v24, s24
	s_waitcnt lgkmcnt(0)
	s_ashr_i32 s25, s9, 31
	v_ashrrev_i32_e32 v2, 31, v1
	s_lshr_b32 s2, s25, 26
	s_delay_alu instid0(SALU_CYCLE_1) | instskip(NEXT) | instid1(VALU_DEP_1)
	s_add_i32 s2, s9, s2
	v_lshlrev_b64 v[1:2], 3, v[1:2]
	s_and_not1_b32 s2, s2, 63
	s_delay_alu instid0(SALU_CYCLE_1) | instskip(SKIP_2) | instid1(VALU_DEP_2)
	s_sub_i32 s29, s9, s2
	v_cmp_eq_u32_e64 s2, 0, v95
	s_cmp_eq_u32 s14, s3
	v_add_co_u32 v12, vcc_lo, s6, v1
	v_add_co_ci_u32_e32 v13, vcc_lo, s7, v2, vcc_lo
	s_mov_b32 s6, -1
	s_cselect_b32 s10, s29, 0
	s_and_saveexec_b32 s3, s2
	s_cbranch_execz .LBB117_10
; %bb.6:
	v_cmp_le_i32_e32 vcc_lo, s10, v25
	s_cmp_lg_u32 s10, 0
	v_lshl_add_u32 v0, v25, 3, 0x2380
	s_cselect_b32 s7, -1, 0
	s_delay_alu instid0(SALU_CYCLE_1) | instskip(NEXT) | instid1(SALU_CYCLE_1)
	s_and_b32 s7, s7, vcc_lo
	s_and_saveexec_b32 s8, s7
	s_delay_alu instid0(SALU_CYCLE_1)
	s_xor_b32 s7, exec_lo, s8
	s_cbranch_execz .LBB117_8
; %bb.7:
	v_mov_b32_e32 v1, 0
	s_delay_alu instid0(VALU_DEP_1)
	v_mov_b32_e32 v2, v1
	ds_store_b64 v0, v[1:2]
                                        ; implicit-def: $vgpr0
.LBB117_8:
	s_and_not1_saveexec_b32 s7, s7
	s_cbranch_execz .LBB117_10
; %bb.9:
	global_load_b64 v[1:2], v[12:13], off
	s_waitcnt vmcnt(0)
	ds_store_b64 v0, v[1:2]
.LBB117_10:
	s_or_b32 exec_lo, exec_lo, s3
	s_clause 0x1
	s_load_b128 s[20:23], s[0:1], 0x18
	s_load_b32 s12, s[0:1], 0x28
	v_lshl_add_u32 v22, v95, 6, v25
	v_and_b32_e32 v0, 31, v25
	s_mul_i32 s3, s15, s5
	s_mul_hi_u32 s5, s15, s4
	s_mul_i32 s4, s15, s4
	v_lshrrev_b32_e32 v7, 5, v22
	s_add_i32 s5, s5, s3
	v_lshlrev_b32_e32 v9, 3, v0
	s_lshl_b64 s[4:5], s[4:5], 3
	s_delay_alu instid0(VALU_DEP_2)
	v_mul_u32_u24_e32 v8, 33, v7
	s_waitcnt lgkmcnt(0)
	s_add_u32 s3, s20, s4
	v_mad_u64_u32 v[1:2], null, v7, s12, v[0:1]
	s_addc_u32 s7, s21, s5
	s_lshl_b64 s[4:5], s[22:23], 3
	s_mul_i32 s18, s16, s12
	s_add_u32 s3, s3, s4
	s_addc_u32 s7, s7, s5
	s_ashr_i32 s17, s16, 31
	s_delay_alu instid0(VALU_DEP_1) | instskip(SKIP_1) | instid1(SALU_CYCLE_1)
	v_ashrrev_i32_e32 v2, 31, v1
	s_lshl_b64 s[4:5], s[16:17], 3
	s_add_u32 s8, s3, s4
	s_addc_u32 s7, s7, s5
	s_ashr_i32 s19, s18, 31
	v_lshlrev_b64 v[14:15], 3, v[1:2]
	s_lshl_b64 s[4:5], s[18:19], 3
	v_cmp_gt_i32_e64 s3, s10, v0
	s_add_u32 s4, s4, s8
	s_addc_u32 s5, s5, s7
	s_cmp_eq_u32 s10, 0
	v_add_co_u32 v3, vcc_lo, s4, v14
	s_cselect_b32 s30, -1, 0
	s_cmp_lg_u32 s10, 0
	v_add_co_ci_u32_e32 v4, vcc_lo, s5, v15, vcc_lo
	s_cselect_b32 s17, -1, 0
	s_delay_alu instid0(SALU_CYCLE_1)
	s_and_b32 vcc_lo, exec_lo, s17
	s_cbranch_vccz .LBB117_28
; %bb.11:
	v_sub_co_u32 v1, vcc_lo, v3, v9
	s_ashr_i32 s11, s10, 31
	v_subrev_co_ci_u32_e32 v2, vcc_lo, 0, v4, vcc_lo
	s_lshl_b64 s[4:5], s[10:11], 3
	v_add_lshl_u32 v5, v8, v0, 3
	v_add_co_u32 v1, vcc_lo, v1, s4
	s_delay_alu instid0(VALU_DEP_3) | instskip(SKIP_1) | instid1(VALU_DEP_2)
	v_add_co_ci_u32_e32 v2, vcc_lo, s5, v2, vcc_lo
	s_mov_b32 s6, exec_lo
	v_add_co_u32 v1, vcc_lo, v1, -8
	s_delay_alu instid0(VALU_DEP_2) | instskip(NEXT) | instid1(VALU_DEP_2)
	v_add_co_ci_u32_e32 v2, vcc_lo, -1, v2, vcc_lo
	v_cndmask_b32_e64 v1, v1, v3, s3
	s_delay_alu instid0(VALU_DEP_2)
	v_cndmask_b32_e64 v2, v2, v4, s3
	v_cmpx_le_i32_e64 s10, v7
	s_xor_b32 s6, exec_lo, s6
	s_cbranch_execz .LBB117_13
; %bb.12:
	v_mov_b32_e32 v10, 0
	s_delay_alu instid0(VALU_DEP_1)
	v_mov_b32_e32 v11, v10
	ds_store_b64 v5, v[10:11]
.LBB117_13:
	s_and_not1_saveexec_b32 s6, s6
	s_cbranch_execz .LBB117_15
; %bb.14:
	global_load_b64 v[10:11], v[1:2], off
	s_waitcnt vmcnt(0)
	ds_store_b64 v5, v[10:11]
.LBB117_15:
	s_or_b32 exec_lo, exec_lo, s6
	v_add_nc_u32_e32 v6, 8, v7
	s_mov_b32 s6, exec_lo
	s_delay_alu instid0(VALU_DEP_1)
	v_cmpx_le_i32_e64 s10, v6
	s_xor_b32 s6, exec_lo, s6
	s_cbranch_execz .LBB117_17
; %bb.16:
	v_mul_u32_u24_e32 v6, 33, v6
	v_mov_b32_e32 v10, 0
	s_delay_alu instid0(VALU_DEP_2) | instskip(NEXT) | instid1(VALU_DEP_2)
	v_add_lshl_u32 v6, v6, v0, 3
	v_mov_b32_e32 v11, v10
	ds_store_b64 v6, v[10:11]
.LBB117_17:
	s_and_not1_saveexec_b32 s6, s6
	s_cbranch_execz .LBB117_19
; %bb.18:
	s_lshl_b32 s18, s12, 3
	s_delay_alu instid0(SALU_CYCLE_1) | instskip(NEXT) | instid1(SALU_CYCLE_1)
	s_ashr_i32 s19, s18, 31
	s_lshl_b64 s[18:19], s[18:19], 3
	s_delay_alu instid0(SALU_CYCLE_1)
	v_add_co_u32 v10, vcc_lo, v1, s18
	v_add_co_ci_u32_e32 v11, vcc_lo, s19, v2, vcc_lo
	global_load_b64 v[10:11], v[10:11], off
	s_waitcnt vmcnt(0)
	ds_store_b64 v5, v[10:11] offset:2112
.LBB117_19:
	s_or_b32 exec_lo, exec_lo, s6
	v_add_nc_u32_e32 v6, 16, v7
	s_mov_b32 s6, exec_lo
	s_delay_alu instid0(VALU_DEP_1)
	v_cmpx_le_i32_e64 s10, v6
	s_xor_b32 s6, exec_lo, s6
	s_cbranch_execz .LBB117_21
; %bb.20:
	v_mul_u32_u24_e32 v6, 33, v6
	v_mov_b32_e32 v10, 0
	s_delay_alu instid0(VALU_DEP_2) | instskip(NEXT) | instid1(VALU_DEP_2)
	v_add_lshl_u32 v6, v6, v0, 3
	v_mov_b32_e32 v11, v10
	ds_store_b64 v6, v[10:11]
.LBB117_21:
	s_and_not1_saveexec_b32 s6, s6
	s_cbranch_execz .LBB117_23
; %bb.22:
	s_lshl_b32 s18, s12, 4
	s_delay_alu instid0(SALU_CYCLE_1) | instskip(NEXT) | instid1(SALU_CYCLE_1)
	s_ashr_i32 s19, s18, 31
	s_lshl_b64 s[18:19], s[18:19], 3
	s_delay_alu instid0(SALU_CYCLE_1)
	v_add_co_u32 v10, vcc_lo, v1, s18
	v_add_co_ci_u32_e32 v11, vcc_lo, s19, v2, vcc_lo
	global_load_b64 v[10:11], v[10:11], off
	s_waitcnt vmcnt(0)
	ds_store_b64 v5, v[10:11] offset:4224
.LBB117_23:
	s_or_b32 exec_lo, exec_lo, s6
	v_add_nc_u32_e32 v6, 24, v7
	s_mov_b32 s6, exec_lo
	s_delay_alu instid0(VALU_DEP_1)
	v_cmpx_le_i32_e64 s10, v6
	s_xor_b32 s6, exec_lo, s6
	s_cbranch_execz .LBB117_25
; %bb.24:
	v_mov_b32_e32 v10, 0
	s_delay_alu instid0(VALU_DEP_1)
	v_mov_b32_e32 v11, v10
	ds_store_b64 v5, v[10:11] offset:6336
                                        ; implicit-def: $vgpr5
.LBB117_25:
	s_and_not1_saveexec_b32 s6, s6
	s_cbranch_execz .LBB117_27
; %bb.26:
	s_mul_i32 s18, s12, 24
	s_delay_alu instid0(SALU_CYCLE_1) | instskip(NEXT) | instid1(SALU_CYCLE_1)
	s_ashr_i32 s19, s18, 31
	s_lshl_b64 s[18:19], s[18:19], 3
	s_delay_alu instid0(SALU_CYCLE_1)
	v_add_co_u32 v10, vcc_lo, v1, s18
	v_add_co_ci_u32_e32 v11, vcc_lo, s19, v2, vcc_lo
	global_load_b64 v[10:11], v[10:11], off
	s_waitcnt vmcnt(0)
	ds_store_b64 v5, v[10:11] offset:6336
.LBB117_27:
	s_or_b32 exec_lo, exec_lo, s6
	v_add_co_u32 v1, vcc_lo, v1, v9
	v_add_co_ci_u32_e32 v2, vcc_lo, 0, v2, vcc_lo
	s_delay_alu instid0(VALU_DEP_2) | instskip(NEXT) | instid1(VALU_DEP_2)
	v_sub_co_u32 v1, vcc_lo, v1, s4
	v_subrev_co_ci_u32_e32 v2, vcc_lo, s5, v2, vcc_lo
	s_delay_alu instid0(VALU_DEP_2) | instskip(NEXT) | instid1(VALU_DEP_2)
	v_add_co_u32 v1, vcc_lo, v1, 8
	v_add_co_ci_u32_e32 v2, vcc_lo, 0, v2, vcc_lo
	s_delay_alu instid0(VALU_DEP_2) | instskip(NEXT) | instid1(VALU_DEP_2)
	v_cndmask_b32_e64 v1, v1, v3, s3
	v_cndmask_b32_e64 v2, v2, v4, s3
	s_branch .LBB117_30
.LBB117_28:
                                        ; implicit-def: $vgpr1_vgpr2
	s_and_b32 vcc_lo, exec_lo, s6
	s_cbranch_vccz .LBB117_30
; %bb.29:
	s_lshl_b32 s4, s12, 3
	s_ashr_i32 s13, s12, 31
	s_ashr_i32 s5, s4, 31
	v_add_lshl_u32 v20, v8, v0, 3
	s_lshl_b64 s[4:5], s[4:5], 3
	s_delay_alu instid0(SALU_CYCLE_1)
	v_add_co_u32 v1, vcc_lo, v3, s4
	v_add_co_ci_u32_e32 v2, vcc_lo, s5, v4, vcc_lo
	s_lshl_b64 s[4:5], s[12:13], 6
	s_delay_alu instid0(VALU_DEP_2) | instid1(SALU_CYCLE_1)
	v_add_co_u32 v5, vcc_lo, v1, s4
	s_delay_alu instid0(VALU_DEP_2) | instskip(NEXT) | instid1(VALU_DEP_2)
	v_add_co_ci_u32_e32 v6, vcc_lo, s5, v2, vcc_lo
	v_add_co_u32 v10, vcc_lo, v5, s4
	s_delay_alu instid0(VALU_DEP_2)
	v_add_co_ci_u32_e32 v11, vcc_lo, s5, v6, vcc_lo
	s_clause 0x1
	global_load_b64 v[16:17], v[3:4], off
	global_load_b64 v[18:19], v[1:2], off
	;; [unrolled: 1-line block ×4, first 2 shown]
	v_dual_mov_b32 v1, v3 :: v_dual_mov_b32 v2, v4
	s_waitcnt vmcnt(3)
	ds_store_b64 v20, v[16:17]
	s_waitcnt vmcnt(2)
	ds_store_b64 v20, v[18:19] offset:2112
	s_waitcnt vmcnt(1)
	ds_store_b64 v20, v[5:6] offset:4224
	s_waitcnt vmcnt(0)
	ds_store_b64 v20, v[10:11] offset:6336
.LBB117_30:
	v_lshlrev_b32_e32 v3, 2, v7
	v_mul_u32_u24_e32 v10, 33, v0
	v_mul_u32_u24_e32 v4, 0x84, v7
	s_waitcnt lgkmcnt(0)
	s_barrier
	v_cmp_gt_u32_e64 s4, v3, v0
	v_add_lshl_u32 v16, v3, v10, 3
	buffer_gl0_inv
	s_and_saveexec_b32 s3, s4
	s_cbranch_execz .LBB117_32
; %bb.31:
	v_add_lshl_u32 v5, v4, v0, 3
	ds_load_b64 v[5:6], v5
	s_waitcnt lgkmcnt(0)
	ds_store_b64 v16, v[5:6]
.LBB117_32:
	s_or_b32 exec_lo, exec_lo, s3
	v_cmp_ge_u32_e64 s5, v3, v0
	s_delay_alu instid0(VALU_DEP_1)
	s_and_saveexec_b32 s3, s5
	s_cbranch_execz .LBB117_34
; %bb.33:
	v_or_b32_e32 v5, 1, v3
	s_delay_alu instid0(VALU_DEP_1) | instskip(NEXT) | instid1(VALU_DEP_1)
	v_mul_u32_u24_e32 v5, 33, v5
	v_add_lshl_u32 v5, v5, v0, 3
	ds_load_b64 v[5:6], v5
	s_waitcnt lgkmcnt(0)
	ds_store_b64 v16, v[5:6] offset:8
.LBB117_34:
	s_or_b32 exec_lo, exec_lo, s3
	v_or_b32_e32 v5, 2, v3
	s_delay_alu instid0(VALU_DEP_1) | instskip(NEXT) | instid1(VALU_DEP_1)
	v_cmp_gt_u32_e64 s6, v5, v0
	s_and_saveexec_b32 s3, s6
	s_cbranch_execz .LBB117_36
; %bb.35:
	v_mul_u32_u24_e32 v5, 33, v5
	s_delay_alu instid0(VALU_DEP_1)
	v_add_lshl_u32 v5, v5, v0, 3
	ds_load_b64 v[5:6], v5
	s_waitcnt lgkmcnt(0)
	ds_store_b64 v16, v[5:6] offset:16
.LBB117_36:
	s_or_b32 exec_lo, exec_lo, s3
	v_or_b32_e32 v5, 3, v3
	s_delay_alu instid0(VALU_DEP_1) | instskip(SKIP_1) | instid1(VALU_DEP_2)
	v_mad_u32_u24 v6, v5, 33, v0
	v_cmp_gt_u32_e64 s7, v5, v0
	v_lshlrev_b32_e32 v18, 3, v6
	s_delay_alu instid0(VALU_DEP_2)
	s_and_saveexec_b32 s3, s7
	s_cbranch_execz .LBB117_38
; %bb.37:
	ds_load_b64 v[5:6], v18
	s_waitcnt lgkmcnt(0)
	ds_store_b64 v16, v[5:6] offset:24
.LBB117_38:
	s_or_b32 exec_lo, exec_lo, s3
	v_add_lshl_u32 v11, v4, v0, 3
	v_lshlrev_b32_e32 v17, 3, v3
	v_add_nc_u32_e32 v19, 0xfffffdf0, v18
	s_waitcnt lgkmcnt(0)
	s_barrier
	buffer_gl0_inv
	ds_load_b64 v[20:21], v11
	ds_load_b128 v[3:6], v17 offset:9088
	ds_load_2addr_b64 v[26:29], v19 offset1:33
	ds_load_b128 v[30:33], v17 offset:9104
	ds_load_b64 v[34:35], v18
	v_cmp_gt_u32_e64 s3, 32, v22
	s_waitcnt lgkmcnt(0)
	s_barrier
	buffer_gl0_inv
	v_mul_f32_e32 v23, v4, v21
	v_dual_mul_f32 v21, v3, v21 :: v_dual_mul_f32 v36, v6, v27
	v_mul_f32_e32 v27, v5, v27
	s_delay_alu instid0(VALU_DEP_2) | instskip(NEXT) | instid1(VALU_DEP_4)
	v_dual_fmac_f32 v21, v4, v20 :: v_dual_mul_f32 v4, v33, v35
	v_fma_f32 v3, v3, v20, -v23
	v_dual_mul_f32 v20, v32, v35 :: v_dual_mul_f32 v37, v31, v29
	v_fma_f32 v5, v5, v26, -v36
	v_fmac_f32_e32 v27, v6, v26
	s_delay_alu instid0(VALU_DEP_3) | instskip(SKIP_3) | instid1(VALU_DEP_4)
	v_dual_add_f32 v3, 0, v3 :: v_dual_fmac_f32 v20, v33, v34
	v_mul_f32_e32 v29, v30, v29
	v_add_f32_e32 v6, 0, v21
	v_fma_f32 v21, v30, v28, -v37
	v_add_f32_e32 v3, v3, v5
	v_fma_f32 v4, v32, v34, -v4
	v_fmac_f32_e32 v29, v31, v28
	v_add_f32_e32 v5, v6, v27
	v_add_lshl_u32 v28, v7, v10, 3
	v_dual_add_f32 v3, v3, v21 :: v_dual_mov_b32 v26, 0
	v_lshlrev_b32_e32 v23, 3, v10
	s_delay_alu instid0(VALU_DEP_4) | instskip(SKIP_1) | instid1(VALU_DEP_4)
	v_add_f32_e32 v5, v5, v29
	v_mov_b32_e32 v27, 0
	v_add_f32_e32 v3, v3, v4
	s_delay_alu instid0(VALU_DEP_3)
	v_add_f32_e32 v4, v5, v20
	ds_store_b64 v28, v[3:4]
	s_waitcnt lgkmcnt(0)
	s_barrier
	buffer_gl0_inv
	s_and_saveexec_b32 s8, s3
	s_cbranch_execz .LBB117_40
; %bb.39:
	ds_load_2addr_b64 v[3:6], v23 offset1:7
	ds_load_2addr_b64 v[29:32], v23 offset0:1 offset1:2
	ds_load_2addr_b64 v[33:36], v23 offset0:3 offset1:4
	;; [unrolled: 1-line block ×3, first 2 shown]
	s_waitcnt lgkmcnt(2)
	v_dual_add_f32 v3, v29, v3 :: v_dual_add_f32 v4, v30, v4
	s_delay_alu instid0(VALU_DEP_1) | instskip(SKIP_1) | instid1(VALU_DEP_1)
	v_dual_add_f32 v3, v3, v31 :: v_dual_add_f32 v4, v4, v32
	s_waitcnt lgkmcnt(1)
	v_dual_add_f32 v3, v3, v33 :: v_dual_add_f32 v4, v4, v34
	s_delay_alu instid0(VALU_DEP_1) | instskip(SKIP_1) | instid1(VALU_DEP_1)
	v_dual_add_f32 v3, v3, v35 :: v_dual_add_f32 v4, v4, v36
	s_waitcnt lgkmcnt(0)
	v_dual_add_f32 v3, v3, v37 :: v_dual_add_f32 v4, v4, v38
	s_delay_alu instid0(VALU_DEP_1) | instskip(NEXT) | instid1(VALU_DEP_1)
	v_dual_add_f32 v3, v3, v39 :: v_dual_add_f32 v4, v4, v40
	v_dual_add_f32 v26, v3, v5 :: v_dual_add_f32 v27, v4, v6
.LBB117_40:
	s_or_b32 exec_lo, exec_lo, s8
	s_lshl_b32 s18, s12, 5
	s_delay_alu instid0(SALU_CYCLE_1)
	s_ashr_i32 s19, s18, 31
	s_barrier
	s_lshl_b64 s[20:21], s[18:19], 3
	buffer_gl0_inv
	v_add_co_u32 v5, vcc_lo, v1, s20
	v_add_co_ci_u32_e32 v6, vcc_lo, s21, v2, vcc_lo
	s_delay_alu instid0(VALU_DEP_2) | instskip(NEXT) | instid1(VALU_DEP_2)
	v_add_co_u32 v3, vcc_lo, 0x100, v5
	v_add_co_ci_u32_e32 v4, vcc_lo, 0, v6, vcc_lo
	s_and_b32 vcc_lo, exec_lo, s17
	s_cbranch_vccz .LBB117_58
; %bb.41:
	s_delay_alu instid0(VALU_DEP_2)
	v_sub_co_u32 v1, vcc_lo, v3, v9
	s_ashr_i32 s11, s10, 31
	v_subrev_co_ci_u32_e32 v2, vcc_lo, 0, v4, vcc_lo
	s_lshl_b64 s[22:23], s[10:11], 3
	v_or_b32_e32 v20, 32, v0
	v_add_co_u32 v1, vcc_lo, v1, s22
	s_delay_alu instid0(VALU_DEP_3) | instskip(SKIP_1) | instid1(VALU_DEP_2)
	v_add_co_ci_u32_e32 v2, vcc_lo, s23, v2, vcc_lo
	s_sub_i32 s11, s10, 32
	v_add_co_u32 v1, vcc_lo, 0xfffffef8, v1
	s_delay_alu instid0(VALU_DEP_2) | instskip(SKIP_3) | instid1(VALU_DEP_4)
	v_add_co_ci_u32_e32 v2, vcc_lo, -1, v2, vcc_lo
	v_cmp_gt_i32_e32 vcc_lo, s10, v20
	v_cmp_le_i32_e64 s8, s11, v7
	v_add_lshl_u32 v20, v8, v0, 3
	v_dual_cndmask_b32 v2, v2, v4 :: v_dual_cndmask_b32 v1, v1, v3
	s_delay_alu instid0(VALU_DEP_3) | instskip(NEXT) | instid1(SALU_CYCLE_1)
	s_and_saveexec_b32 s13, s8
	s_xor_b32 s8, exec_lo, s13
	s_cbranch_execz .LBB117_43
; %bb.42:
	v_mov_b32_e32 v29, 0
	s_delay_alu instid0(VALU_DEP_1)
	v_mov_b32_e32 v30, v29
	ds_store_b64 v20, v[29:30]
.LBB117_43:
	s_and_not1_saveexec_b32 s8, s8
	s_cbranch_execz .LBB117_45
; %bb.44:
	global_load_b64 v[29:30], v[1:2], off
	s_waitcnt vmcnt(0)
	ds_store_b64 v20, v[29:30]
.LBB117_45:
	s_or_b32 exec_lo, exec_lo, s8
	v_add_nc_u32_e32 v21, 8, v7
	s_delay_alu instid0(VALU_DEP_1) | instskip(NEXT) | instid1(VALU_DEP_1)
	v_cmp_le_i32_e64 s8, s11, v21
	s_and_saveexec_b32 s13, s8
	s_delay_alu instid0(SALU_CYCLE_1)
	s_xor_b32 s8, exec_lo, s13
	s_cbranch_execz .LBB117_47
; %bb.46:
	v_mul_u32_u24_e32 v21, 33, v21
	v_mov_b32_e32 v29, 0
	s_delay_alu instid0(VALU_DEP_2) | instskip(NEXT) | instid1(VALU_DEP_2)
	v_add_lshl_u32 v21, v21, v0, 3
	v_mov_b32_e32 v30, v29
	ds_store_b64 v21, v[29:30]
.LBB117_47:
	s_and_not1_saveexec_b32 s13, s8
	s_cbranch_execz .LBB117_49
; %bb.48:
	s_lshl_b32 s26, s12, 3
	s_delay_alu instid0(SALU_CYCLE_1) | instskip(NEXT) | instid1(SALU_CYCLE_1)
	s_ashr_i32 s27, s26, 31
	s_lshl_b64 s[26:27], s[26:27], 3
	s_delay_alu instid0(SALU_CYCLE_1) | instskip(NEXT) | instid1(VALU_DEP_1)
	v_add_co_u32 v29, s8, v1, s26
	v_add_co_ci_u32_e64 v30, s8, s27, v2, s8
	global_load_b64 v[29:30], v[29:30], off
	s_waitcnt vmcnt(0)
	ds_store_b64 v20, v[29:30] offset:2112
.LBB117_49:
	s_or_b32 exec_lo, exec_lo, s13
	v_add_nc_u32_e32 v21, 16, v7
	s_delay_alu instid0(VALU_DEP_1) | instskip(NEXT) | instid1(VALU_DEP_1)
	v_cmp_le_i32_e64 s8, s11, v21
	s_and_saveexec_b32 s13, s8
	s_delay_alu instid0(SALU_CYCLE_1)
	s_xor_b32 s8, exec_lo, s13
	s_cbranch_execz .LBB117_51
; %bb.50:
	v_mul_u32_u24_e32 v21, 33, v21
	v_mov_b32_e32 v29, 0
	s_delay_alu instid0(VALU_DEP_2) | instskip(NEXT) | instid1(VALU_DEP_2)
	v_add_lshl_u32 v21, v21, v0, 3
	v_mov_b32_e32 v30, v29
	ds_store_b64 v21, v[29:30]
.LBB117_51:
	s_and_not1_saveexec_b32 s13, s8
	s_cbranch_execz .LBB117_53
; %bb.52:
	s_lshl_b32 s26, s12, 4
	s_delay_alu instid0(SALU_CYCLE_1) | instskip(NEXT) | instid1(SALU_CYCLE_1)
	s_ashr_i32 s27, s26, 31
	s_lshl_b64 s[26:27], s[26:27], 3
	s_delay_alu instid0(SALU_CYCLE_1) | instskip(NEXT) | instid1(VALU_DEP_1)
	v_add_co_u32 v29, s8, v1, s26
	v_add_co_ci_u32_e64 v30, s8, s27, v2, s8
	global_load_b64 v[29:30], v[29:30], off
	s_waitcnt vmcnt(0)
	ds_store_b64 v20, v[29:30] offset:4224
.LBB117_53:
	s_or_b32 exec_lo, exec_lo, s13
	v_add_nc_u32_e32 v21, 24, v7
	s_delay_alu instid0(VALU_DEP_1) | instskip(NEXT) | instid1(VALU_DEP_1)
	v_cmp_le_i32_e64 s8, s11, v21
	s_and_saveexec_b32 s11, s8
	s_delay_alu instid0(SALU_CYCLE_1)
	s_xor_b32 s8, exec_lo, s11
	s_cbranch_execz .LBB117_55
; %bb.54:
	v_mov_b32_e32 v29, 0
	s_delay_alu instid0(VALU_DEP_1)
	v_mov_b32_e32 v30, v29
	ds_store_b64 v20, v[29:30] offset:6336
                                        ; implicit-def: $vgpr20
.LBB117_55:
	s_and_not1_saveexec_b32 s11, s8
	s_cbranch_execz .LBB117_57
; %bb.56:
	s_mul_i32 s26, s12, 24
	s_delay_alu instid0(SALU_CYCLE_1) | instskip(NEXT) | instid1(SALU_CYCLE_1)
	s_ashr_i32 s27, s26, 31
	s_lshl_b64 s[26:27], s[26:27], 3
	s_delay_alu instid0(SALU_CYCLE_1) | instskip(NEXT) | instid1(VALU_DEP_1)
	v_add_co_u32 v29, s8, v1, s26
	v_add_co_ci_u32_e64 v30, s8, s27, v2, s8
	global_load_b64 v[29:30], v[29:30], off
	s_waitcnt vmcnt(0)
	ds_store_b64 v20, v[29:30] offset:6336
.LBB117_57:
	s_or_b32 exec_lo, exec_lo, s11
	v_add_co_u32 v1, s8, v1, v9
	s_delay_alu instid0(VALU_DEP_1) | instskip(NEXT) | instid1(VALU_DEP_2)
	v_add_co_ci_u32_e64 v2, s8, 0, v2, s8
	v_sub_co_u32 v1, s8, v1, s22
	s_delay_alu instid0(VALU_DEP_1) | instskip(NEXT) | instid1(VALU_DEP_2)
	v_subrev_co_ci_u32_e64 v2, s8, s23, v2, s8
	v_add_co_u32 v1, s8, 0x108, v1
	s_delay_alu instid0(VALU_DEP_1) | instskip(NEXT) | instid1(VALU_DEP_1)
	v_add_co_ci_u32_e64 v2, s8, 0, v2, s8
	v_dual_cndmask_b32 v1, v1, v3 :: v_dual_cndmask_b32 v2, v2, v4
	s_branch .LBB117_60
.LBB117_58:
                                        ; implicit-def: $vgpr1_vgpr2
	s_cbranch_execz .LBB117_60
; %bb.59:
	s_lshl_b32 s22, s12, 3
	s_ashr_i32 s13, s12, 31
	s_ashr_i32 s23, s22, 31
	v_add_lshl_u32 v33, v8, v0, 3
	s_lshl_b64 s[22:23], s[22:23], 3
	s_delay_alu instid0(SALU_CYCLE_1)
	v_add_co_u32 v1, vcc_lo, v5, s22
	v_add_co_ci_u32_e32 v2, vcc_lo, s23, v6, vcc_lo
	s_lshl_b64 s[22:23], s[12:13], 6
	s_delay_alu instid0(VALU_DEP_2) | instid1(SALU_CYCLE_1)
	v_add_co_u32 v20, vcc_lo, v1, s22
	s_delay_alu instid0(VALU_DEP_2) | instskip(NEXT) | instid1(VALU_DEP_2)
	v_add_co_ci_u32_e32 v21, vcc_lo, s23, v2, vcc_lo
	v_add_co_u32 v29, vcc_lo, v20, s22
	s_delay_alu instid0(VALU_DEP_2)
	v_add_co_ci_u32_e32 v30, vcc_lo, s23, v21, vcc_lo
	s_clause 0x3
	global_load_b64 v[5:6], v[5:6], off offset:256
	global_load_b64 v[31:32], v[1:2], off offset:256
	;; [unrolled: 1-line block ×4, first 2 shown]
	v_dual_mov_b32 v1, v3 :: v_dual_mov_b32 v2, v4
	s_waitcnt vmcnt(3)
	ds_store_b64 v33, v[5:6]
	s_waitcnt vmcnt(2)
	ds_store_b64 v33, v[31:32] offset:2112
	s_waitcnt vmcnt(1)
	ds_store_b64 v33, v[20:21] offset:4224
	;; [unrolled: 2-line block ×3, first 2 shown]
.LBB117_60:
	s_waitcnt lgkmcnt(0)
	s_barrier
	buffer_gl0_inv
	s_and_saveexec_b32 s8, s4
	s_cbranch_execnz .LBB117_85
; %bb.61:
	s_or_b32 exec_lo, exec_lo, s8
	s_and_saveexec_b32 s4, s5
	s_cbranch_execnz .LBB117_86
.LBB117_62:
	s_or_b32 exec_lo, exec_lo, s4
	s_and_saveexec_b32 s4, s6
	s_cbranch_execnz .LBB117_87
.LBB117_63:
	s_or_b32 exec_lo, exec_lo, s4
	v_add_nc_u32_e32 v29, 0x2380, v17
	s_and_saveexec_b32 s4, s7
	s_cbranch_execz .LBB117_65
.LBB117_64:
	ds_load_b64 v[3:4], v18
	s_waitcnt lgkmcnt(0)
	ds_store_b64 v16, v[3:4] offset:24
.LBB117_65:
	s_or_b32 exec_lo, exec_lo, s4
	s_waitcnt lgkmcnt(0)
	s_barrier
	buffer_gl0_inv
	ds_load_b64 v[16:17], v11
	ds_load_b128 v[3:6], v29 offset:256
	ds_load_2addr_b64 v[30:33], v19 offset1:33
	ds_load_b128 v[34:37], v29 offset:272
	ds_load_b64 v[20:21], v18
	v_cmp_eq_u32_e64 s4, 1, v7
	s_waitcnt lgkmcnt(0)
	s_barrier
	buffer_gl0_inv
	v_dual_mul_f32 v38, v4, v17 :: v_dual_mul_f32 v39, v6, v31
	v_mul_f32_e32 v17, v3, v17
	v_dual_mul_f32 v31, v5, v31 :: v_dual_mul_f32 v40, v35, v33
	s_delay_alu instid0(VALU_DEP_3) | instskip(NEXT) | instid1(VALU_DEP_4)
	v_fma_f32 v3, v3, v16, -v38
	v_fma_f32 v5, v5, v30, -v39
	s_delay_alu instid0(VALU_DEP_4) | instskip(NEXT) | instid1(VALU_DEP_3)
	v_dual_fmac_f32 v17, v4, v16 :: v_dual_mul_f32 v4, v37, v21
	v_dual_mul_f32 v16, v36, v21 :: v_dual_add_f32 v3, 0, v3
	s_delay_alu instid0(VALU_DEP_2) | instskip(SKIP_1) | instid1(VALU_DEP_3)
	v_dual_fmac_f32 v31, v6, v30 :: v_dual_add_f32 v6, 0, v17
	v_fma_f32 v17, v34, v32, -v40
	v_dual_fmac_f32 v16, v37, v20 :: v_dual_mul_f32 v33, v34, v33
	s_delay_alu instid0(VALU_DEP_4) | instskip(NEXT) | instid1(VALU_DEP_4)
	v_add_f32_e32 v3, v3, v5
	v_add_f32_e32 v5, v6, v31
	v_fma_f32 v4, v36, v20, -v4
	s_delay_alu instid0(VALU_DEP_4) | instskip(NEXT) | instid1(VALU_DEP_4)
	v_fmac_f32_e32 v33, v35, v32
	v_add_f32_e32 v3, v3, v17
	s_delay_alu instid0(VALU_DEP_2) | instskip(NEXT) | instid1(VALU_DEP_2)
	v_add_f32_e32 v5, v5, v33
	v_add_f32_e32 v3, v3, v4
	s_delay_alu instid0(VALU_DEP_2)
	v_add_f32_e32 v4, v5, v16
	ds_store_b64 v28, v[3:4]
	s_waitcnt lgkmcnt(0)
	s_barrier
	buffer_gl0_inv
	s_and_saveexec_b32 s5, s4
	s_cbranch_execz .LBB117_67
; %bb.66:
	ds_load_2addr_b64 v[3:6], v23 offset1:7
	ds_load_2addr_b64 v[30:33], v23 offset0:1 offset1:2
	ds_load_2addr_b64 v[34:37], v23 offset0:3 offset1:4
	;; [unrolled: 1-line block ×3, first 2 shown]
	s_waitcnt lgkmcnt(2)
	v_dual_add_f32 v3, v30, v3 :: v_dual_add_f32 v4, v31, v4
	s_delay_alu instid0(VALU_DEP_1) | instskip(SKIP_1) | instid1(VALU_DEP_1)
	v_dual_add_f32 v3, v3, v32 :: v_dual_add_f32 v4, v4, v33
	s_waitcnt lgkmcnt(1)
	v_dual_add_f32 v3, v3, v34 :: v_dual_add_f32 v4, v4, v35
	s_delay_alu instid0(VALU_DEP_1) | instskip(SKIP_1) | instid1(VALU_DEP_1)
	v_dual_add_f32 v3, v3, v36 :: v_dual_add_f32 v4, v4, v37
	s_waitcnt lgkmcnt(0)
	v_dual_add_f32 v3, v3, v38 :: v_dual_add_f32 v4, v4, v39
	s_delay_alu instid0(VALU_DEP_1) | instskip(NEXT) | instid1(VALU_DEP_1)
	v_dual_add_f32 v3, v3, v40 :: v_dual_add_f32 v4, v4, v41
	v_dual_add_f32 v26, v3, v5 :: v_dual_add_f32 v27, v4, v6
.LBB117_67:
	s_or_b32 exec_lo, exec_lo, s5
	v_add_co_u32 v3, vcc_lo, 0xffffff00, v1
	v_add_co_ci_u32_e32 v4, vcc_lo, -1, v2, vcc_lo
	s_and_b32 vcc_lo, exec_lo, s17
	s_barrier
	buffer_gl0_inv
	s_cbranch_vccz .LBB117_88
; %bb.68:
	v_sub_co_u32 v5, vcc_lo, v1, v9
	s_ashr_i32 s11, s10, 31
	v_subrev_co_ci_u32_e32 v6, vcc_lo, 0, v2, vcc_lo
	s_lshl_b64 s[6:7], s[10:11], 3
	s_sub_i32 s8, s10, 32
	v_add_co_u32 v5, vcc_lo, v5, s6
	s_delay_alu instid0(VALU_DEP_2) | instskip(SKIP_1) | instid1(VALU_DEP_3)
	v_add_co_ci_u32_e32 v6, vcc_lo, s7, v6, vcc_lo
	v_cmp_le_i32_e64 s5, s8, v7
	v_add_co_u32 v5, vcc_lo, 0xfffffef8, v5
	s_delay_alu instid0(VALU_DEP_3) | instskip(SKIP_2) | instid1(VALU_DEP_3)
	v_add_co_ci_u32_e32 v6, vcc_lo, -1, v6, vcc_lo
	v_cmp_gt_i32_e32 vcc_lo, s10, v0
	v_add_lshl_u32 v16, v8, v0, 3
	v_dual_cndmask_b32 v6, v6, v4 :: v_dual_cndmask_b32 v5, v5, v3
	s_and_saveexec_b32 s11, s5
	s_delay_alu instid0(SALU_CYCLE_1)
	s_xor_b32 s5, exec_lo, s11
	s_cbranch_execz .LBB117_70
; %bb.69:
	v_mov_b32_e32 v20, 0
	s_delay_alu instid0(VALU_DEP_1)
	v_mov_b32_e32 v21, v20
	ds_store_b64 v16, v[20:21]
.LBB117_70:
	s_and_not1_saveexec_b32 s5, s5
	s_cbranch_execz .LBB117_72
; %bb.71:
	global_load_b64 v[20:21], v[5:6], off
	s_waitcnt vmcnt(0)
	ds_store_b64 v16, v[20:21]
.LBB117_72:
	s_or_b32 exec_lo, exec_lo, s5
	v_add_nc_u32_e32 v20, 8, v7
	s_delay_alu instid0(VALU_DEP_1) | instskip(NEXT) | instid1(VALU_DEP_1)
	v_cmp_le_i32_e64 s5, s8, v20
	s_and_saveexec_b32 s11, s5
	s_delay_alu instid0(SALU_CYCLE_1)
	s_xor_b32 s5, exec_lo, s11
	s_cbranch_execz .LBB117_74
; %bb.73:
	v_mul_u32_u24_e32 v17, 33, v20
	v_mov_b32_e32 v30, 0
	s_delay_alu instid0(VALU_DEP_2) | instskip(NEXT) | instid1(VALU_DEP_2)
	v_add_lshl_u32 v17, v17, v0, 3
	v_mov_b32_e32 v31, v30
	ds_store_b64 v17, v[30:31]
.LBB117_74:
	s_and_not1_saveexec_b32 s11, s5
	s_cbranch_execz .LBB117_76
; %bb.75:
	s_lshl_b32 s22, s12, 3
	s_delay_alu instid0(SALU_CYCLE_1) | instskip(NEXT) | instid1(SALU_CYCLE_1)
	s_ashr_i32 s23, s22, 31
	s_lshl_b64 s[22:23], s[22:23], 3
	s_delay_alu instid0(SALU_CYCLE_1) | instskip(NEXT) | instid1(VALU_DEP_1)
	v_add_co_u32 v30, s5, v5, s22
	v_add_co_ci_u32_e64 v31, s5, s23, v6, s5
	global_load_b64 v[30:31], v[30:31], off
	s_waitcnt vmcnt(0)
	ds_store_b64 v16, v[30:31] offset:2112
.LBB117_76:
	s_or_b32 exec_lo, exec_lo, s11
	v_add_nc_u32_e32 v21, 16, v7
	s_delay_alu instid0(VALU_DEP_1) | instskip(NEXT) | instid1(VALU_DEP_1)
	v_cmp_le_i32_e64 s5, s8, v21
	s_and_saveexec_b32 s11, s5
	s_delay_alu instid0(SALU_CYCLE_1)
	s_xor_b32 s5, exec_lo, s11
	s_cbranch_execz .LBB117_78
; %bb.77:
	v_mul_u32_u24_e32 v17, 33, v21
	v_mov_b32_e32 v30, 0
	s_delay_alu instid0(VALU_DEP_2) | instskip(NEXT) | instid1(VALU_DEP_2)
	v_add_lshl_u32 v17, v17, v0, 3
	v_mov_b32_e32 v31, v30
	ds_store_b64 v17, v[30:31]
.LBB117_78:
	s_and_not1_saveexec_b32 s11, s5
	s_cbranch_execz .LBB117_80
; %bb.79:
	s_lshl_b32 s22, s12, 4
	s_delay_alu instid0(SALU_CYCLE_1) | instskip(NEXT) | instid1(SALU_CYCLE_1)
	s_ashr_i32 s23, s22, 31
	s_lshl_b64 s[22:23], s[22:23], 3
	s_delay_alu instid0(SALU_CYCLE_1) | instskip(NEXT) | instid1(VALU_DEP_1)
	v_add_co_u32 v30, s5, v5, s22
	v_add_co_ci_u32_e64 v31, s5, s23, v6, s5
	global_load_b64 v[30:31], v[30:31], off
	s_waitcnt vmcnt(0)
	ds_store_b64 v16, v[30:31] offset:4224
.LBB117_80:
	s_or_b32 exec_lo, exec_lo, s11
	v_add_nc_u32_e32 v30, 24, v7
	s_delay_alu instid0(VALU_DEP_1) | instskip(NEXT) | instid1(VALU_DEP_1)
	v_cmp_le_i32_e64 s5, s8, v30
	s_and_saveexec_b32 s8, s5
	s_delay_alu instid0(SALU_CYCLE_1)
	s_xor_b32 s5, exec_lo, s8
	s_cbranch_execz .LBB117_82
; %bb.81:
	v_mov_b32_e32 v31, 0
	s_delay_alu instid0(VALU_DEP_1)
	v_mov_b32_e32 v32, v31
	ds_store_b64 v16, v[31:32] offset:6336
                                        ; implicit-def: $vgpr16
.LBB117_82:
	s_and_not1_saveexec_b32 s8, s5
	s_cbranch_execz .LBB117_84
; %bb.83:
	s_mul_i32 s22, s12, 24
	s_delay_alu instid0(SALU_CYCLE_1) | instskip(NEXT) | instid1(SALU_CYCLE_1)
	s_ashr_i32 s23, s22, 31
	s_lshl_b64 s[22:23], s[22:23], 3
	s_delay_alu instid0(SALU_CYCLE_1) | instskip(NEXT) | instid1(VALU_DEP_1)
	v_add_co_u32 v31, s5, v5, s22
	v_add_co_ci_u32_e64 v32, s5, s23, v6, s5
	global_load_b64 v[31:32], v[31:32], off
	s_waitcnt vmcnt(0)
	ds_store_b64 v16, v[31:32] offset:6336
.LBB117_84:
	s_or_b32 exec_lo, exec_lo, s8
	v_add_co_u32 v5, s5, v5, v9
	s_delay_alu instid0(VALU_DEP_1) | instskip(NEXT) | instid1(VALU_DEP_2)
	v_add_co_ci_u32_e64 v6, s5, 0, v6, s5
	v_sub_co_u32 v5, s5, v5, s6
	s_delay_alu instid0(VALU_DEP_1) | instskip(NEXT) | instid1(VALU_DEP_2)
	v_subrev_co_ci_u32_e64 v6, s5, s7, v6, s5
	v_add_co_u32 v5, s5, v5, 8
	s_delay_alu instid0(VALU_DEP_1) | instskip(NEXT) | instid1(VALU_DEP_1)
	v_add_co_ci_u32_e64 v6, s5, 0, v6, s5
	v_dual_cndmask_b32 v16, v5, v3 :: v_dual_cndmask_b32 v17, v6, v4
	s_branch .LBB117_90
.LBB117_85:
	ds_load_b64 v[3:4], v11
	s_waitcnt lgkmcnt(0)
	ds_store_b64 v16, v[3:4]
	s_or_b32 exec_lo, exec_lo, s8
	s_and_saveexec_b32 s4, s5
	s_cbranch_execz .LBB117_62
.LBB117_86:
	ds_load_b64 v[3:4], v19
	s_waitcnt lgkmcnt(0)
	ds_store_b64 v16, v[3:4] offset:8
	s_or_b32 exec_lo, exec_lo, s4
	s_and_saveexec_b32 s4, s6
	s_cbranch_execz .LBB117_63
.LBB117_87:
	ds_load_b64 v[3:4], v19 offset:264
	s_waitcnt lgkmcnt(0)
	ds_store_b64 v16, v[3:4] offset:16
	s_or_b32 exec_lo, exec_lo, s4
	v_add_nc_u32_e32 v29, 0x2380, v17
	s_and_saveexec_b32 s4, s7
	s_cbranch_execnz .LBB117_64
	s_branch .LBB117_65
.LBB117_88:
                                        ; implicit-def: $vgpr16_vgpr17
                                        ; implicit-def: $vgpr20
                                        ; implicit-def: $vgpr21
                                        ; implicit-def: $vgpr30
	s_cbranch_execz .LBB117_90
; %bb.89:
	s_lshl_b32 s6, s12, 3
	s_ashr_i32 s13, s12, 31
	s_ashr_i32 s7, s6, 31
	v_add_lshl_u32 v0, v8, v0, 3
	s_lshl_b64 s[6:7], s[6:7], 3
	v_add_nc_u32_e32 v30, 24, v7
	v_add_co_u32 v5, vcc_lo, v1, s6
	v_add_co_ci_u32_e32 v6, vcc_lo, s7, v2, vcc_lo
	s_lshl_b64 s[6:7], s[12:13], 6
	s_delay_alu instid0(VALU_DEP_2) | instid1(SALU_CYCLE_1)
	v_add_co_u32 v16, vcc_lo, v5, s6
	s_delay_alu instid0(VALU_DEP_2) | instskip(NEXT) | instid1(VALU_DEP_2)
	v_add_co_ci_u32_e32 v17, vcc_lo, s7, v6, vcc_lo
	v_add_co_u32 v20, vcc_lo, v16, s6
	s_delay_alu instid0(VALU_DEP_2)
	v_add_co_ci_u32_e32 v21, vcc_lo, s7, v17, vcc_lo
	s_clause 0x3
	global_load_b64 v[1:2], v[1:2], off offset:-256
	global_load_b64 v[5:6], v[5:6], off offset:-256
	;; [unrolled: 1-line block ×4, first 2 shown]
	v_dual_mov_b32 v17, v4 :: v_dual_add_nc_u32 v20, 8, v7
	v_dual_mov_b32 v16, v3 :: v_dual_add_nc_u32 v21, 16, v7
	s_waitcnt vmcnt(3)
	ds_store_b64 v0, v[1:2]
	s_waitcnt vmcnt(2)
	ds_store_b64 v0, v[5:6] offset:2112
	s_waitcnt vmcnt(1)
	ds_store_b64 v0, v[31:32] offset:4224
	;; [unrolled: 2-line block ×3, first 2 shown]
.LBB117_90:
	s_waitcnt lgkmcnt(0)
	s_barrier
	buffer_gl0_inv
	ds_load_b64 v[31:32], v28
	v_lshlrev_b32_e32 v0, 3, v7
	v_add_lshl_u32 v1, v20, v10, 3
	v_lshlrev_b32_e32 v2, 3, v20
	v_add_lshl_u32 v3, v21, v10, 3
	v_lshlrev_b32_e32 v4, 3, v21
	v_add_lshl_u32 v5, v30, v10, 3
	v_lshlrev_b32_e32 v6, 3, v30
	ds_load_b64 v[33:34], v0 offset:9088
	ds_load_b64 v[35:36], v1
	ds_load_b64 v[37:38], v2 offset:9088
	ds_load_b64 v[39:40], v3
	;; [unrolled: 2-line block ×4, first 2 shown]
	ds_load_b128 v[8:11], v29 offset:256
	ds_load_b128 v[0:3], v29 offset:272
	ds_load_2addr_b64 v[4:7], v19 offset1:33
	ds_load_b64 v[18:19], v18
	s_waitcnt lgkmcnt(0)
	s_barrier
	buffer_gl0_inv
	v_mul_f32_e32 v29, v34, v32
	v_mul_f32_e32 v32, v33, v32
	;; [unrolled: 1-line block ×3, first 2 shown]
	s_delay_alu instid0(VALU_DEP_3) | instskip(NEXT) | instid1(VALU_DEP_3)
	v_fma_f32 v29, v33, v31, -v29
	v_dual_fmac_f32 v32, v34, v31 :: v_dual_mul_f32 v33, v45, v44
	s_delay_alu instid0(VALU_DEP_3) | instskip(NEXT) | instid1(VALU_DEP_3)
	v_fma_f32 v34, v41, v39, -v47
	v_dual_mul_f32 v30, v38, v36 :: v_dual_add_f32 v29, 0, v29
	s_delay_alu instid0(VALU_DEP_3) | instskip(SKIP_1) | instid1(VALU_DEP_3)
	v_dual_mul_f32 v36, v37, v36 :: v_dual_fmac_f32 v33, v46, v43
	v_mul_f32_e32 v31, v41, v40
	v_fma_f32 v30, v37, v35, -v30
	v_mul_f32_e32 v48, v46, v44
	s_delay_alu instid0(VALU_DEP_3) | instskip(NEXT) | instid1(VALU_DEP_3)
	v_dual_add_f32 v32, 0, v32 :: v_dual_fmac_f32 v31, v42, v39
	v_add_f32_e32 v29, v29, v30
	s_delay_alu instid0(VALU_DEP_1) | instskip(NEXT) | instid1(VALU_DEP_1)
	v_dual_add_f32 v29, v29, v34 :: v_dual_fmac_f32 v36, v38, v35
	v_add_f32_e32 v30, v32, v36
	v_fma_f32 v32, v45, v43, -v48
	s_delay_alu instid0(VALU_DEP_1) | instskip(NEXT) | instid1(VALU_DEP_1)
	v_dual_add_f32 v30, v30, v31 :: v_dual_add_f32 v29, v29, v32
	v_add_f32_e32 v30, v30, v33
	ds_store_b64 v28, v[29:30]
	s_waitcnt lgkmcnt(0)
	s_barrier
	buffer_gl0_inv
	s_and_saveexec_b32 s5, s4
	s_cbranch_execz .LBB117_92
; %bb.91:
	ds_load_2addr_b64 v[29:32], v23 offset1:1
	ds_load_2addr_b64 v[33:36], v23 offset0:2 offset1:3
	ds_load_2addr_b64 v[37:40], v23 offset0:4 offset1:5
	s_waitcnt lgkmcnt(2)
	v_dual_add_f32 v26, v26, v29 :: v_dual_add_f32 v27, v27, v30
	s_delay_alu instid0(VALU_DEP_1) | instskip(SKIP_3) | instid1(VALU_DEP_1)
	v_dual_add_f32 v26, v26, v31 :: v_dual_add_f32 v27, v27, v32
	ds_load_2addr_b64 v[29:32], v23 offset0:6 offset1:7
	s_waitcnt lgkmcnt(2)
	v_dual_add_f32 v26, v26, v33 :: v_dual_add_f32 v27, v27, v34
	v_dual_add_f32 v26, v26, v35 :: v_dual_add_f32 v27, v27, v36
	s_waitcnt lgkmcnt(1)
	s_delay_alu instid0(VALU_DEP_1) | instskip(NEXT) | instid1(VALU_DEP_1)
	v_dual_add_f32 v26, v26, v37 :: v_dual_add_f32 v27, v27, v38
	v_dual_add_f32 v26, v26, v39 :: v_dual_add_f32 v27, v27, v40
	s_waitcnt lgkmcnt(0)
	s_delay_alu instid0(VALU_DEP_1) | instskip(NEXT) | instid1(VALU_DEP_1)
	v_dual_add_f32 v26, v26, v29 :: v_dual_add_f32 v27, v27, v30
	v_dual_add_f32 v26, v26, v31 :: v_dual_add_f32 v27, v27, v32
.LBB117_92:
	s_or_b32 exec_lo, exec_lo, s5
	v_mul_f32_e32 v29, v9, v21
	v_mul_f32_e32 v21, v8, v21
	v_dual_mul_f32 v30, v11, v5 :: v_dual_mul_f32 v31, v1, v7
	s_delay_alu instid0(VALU_DEP_3) | instskip(NEXT) | instid1(VALU_DEP_3)
	v_fma_f32 v8, v8, v20, -v29
	v_fmac_f32_e32 v21, v9, v20
	v_mul_f32_e32 v7, v0, v7
	s_delay_alu instid0(VALU_DEP_4)
	v_fma_f32 v0, v0, v6, -v31
	s_barrier
	v_dual_add_f32 v8, 0, v8 :: v_dual_mul_f32 v5, v10, v5
	v_fma_f32 v10, v10, v4, -v30
	buffer_gl0_inv
	v_dual_add_f32 v8, v8, v10 :: v_dual_mul_f32 v9, v3, v19
	v_fmac_f32_e32 v5, v11, v4
	s_delay_alu instid0(VALU_DEP_2) | instskip(NEXT) | instid1(VALU_DEP_3)
	v_dual_mul_f32 v11, v2, v19 :: v_dual_add_f32 v0, v8, v0
	v_fma_f32 v2, v2, v18, -v9
	s_delay_alu instid0(VALU_DEP_2) | instskip(NEXT) | instid1(VALU_DEP_2)
	v_fmac_f32_e32 v11, v3, v18
	v_add_f32_e32 v0, v0, v2
	v_dual_add_f32 v4, 0, v21 :: v_dual_fmac_f32 v7, v1, v6
	s_delay_alu instid0(VALU_DEP_1) | instskip(NEXT) | instid1(VALU_DEP_1)
	v_add_f32_e32 v1, v4, v5
	v_add_f32_e32 v1, v1, v7
	s_delay_alu instid0(VALU_DEP_1)
	v_add_f32_e32 v1, v1, v11
	ds_store_b64 v28, v[0:1]
	s_waitcnt lgkmcnt(0)
	s_barrier
	buffer_gl0_inv
	s_and_saveexec_b32 s4, s3
	s_cbranch_execz .LBB117_94
; %bb.93:
	ds_load_2addr_b64 v[0:3], v23 offset1:1
	ds_load_2addr_b64 v[4:7], v23 offset0:2 offset1:3
	ds_load_2addr_b64 v[8:11], v23 offset0:4 offset1:5
	s_waitcnt lgkmcnt(2)
	v_dual_add_f32 v0, v26, v0 :: v_dual_add_f32 v1, v27, v1
	s_delay_alu instid0(VALU_DEP_1) | instskip(SKIP_3) | instid1(VALU_DEP_1)
	v_dual_add_f32 v18, v0, v2 :: v_dual_add_f32 v19, v1, v3
	ds_load_2addr_b64 v[0:3], v23 offset0:6 offset1:7
	s_waitcnt lgkmcnt(2)
	v_dual_add_f32 v4, v18, v4 :: v_dual_add_f32 v5, v19, v5
	v_dual_add_f32 v4, v4, v6 :: v_dual_add_f32 v5, v5, v7
	s_waitcnt lgkmcnt(1)
	s_delay_alu instid0(VALU_DEP_1) | instskip(NEXT) | instid1(VALU_DEP_1)
	v_dual_add_f32 v4, v4, v8 :: v_dual_add_f32 v5, v5, v9
	v_dual_add_f32 v4, v4, v10 :: v_dual_add_f32 v5, v5, v11
	s_waitcnt lgkmcnt(0)
	s_delay_alu instid0(VALU_DEP_1) | instskip(NEXT) | instid1(VALU_DEP_1)
	v_dual_add_f32 v0, v4, v0 :: v_dual_add_f32 v1, v5, v1
	v_dual_add_f32 v26, v0, v2 :: v_dual_add_f32 v27, v1, v3
.LBB117_94:
	s_or_b32 exec_lo, exec_lo, s4
	s_load_b64 s[0:1], s[0:1], 0x68
	s_mul_hi_u32 s3, s9, s15
	s_mul_i32 s25, s25, s15
	s_mul_i32 s4, s9, s15
	s_add_i32 s3, s3, s25
	s_mul_hi_u32 s5, s4, s28
	s_mul_i32 s3, s3, s28
	s_mul_i32 s4, s4, s28
	s_add_i32 s5, s5, s3
	s_mul_hi_i32 s7, s9, s14
	s_lshl_b64 s[4:5], s[4:5], 3
	s_mul_i32 s6, s9, s14
	v_lshlrev_b32_e32 v96, 3, v25
	s_waitcnt lgkmcnt(0)
	s_barrier
	buffer_gl0_inv
	s_add_u32 s3, s0, s4
	s_addc_u32 s4, s1, s5
	s_lshl_b64 s[0:1], s[6:7], 3
	s_delay_alu instid0(SALU_CYCLE_1) | instskip(SKIP_2) | instid1(SALU_CYCLE_1)
	s_add_u32 s3, s3, s0
	s_addc_u32 s11, s4, s1
	s_add_i32 s1, s14, 1
	s_cmp_ge_u32 s1, s28
	s_cbranch_scc1 .LBB117_152
; %bb.95:
	v_dual_mov_b32 v30, 0 :: v_dual_lshlrev_b32 v97, 2, v95
	v_and_b32_e32 v4, 48, v25
	v_and_b32_e32 v2, 15, v25
	v_lshrrev_b32_e32 v3, 4, v22
	s_delay_alu instid0(VALU_DEP_4) | instskip(NEXT) | instid1(VALU_DEP_4)
	v_mad_u64_u32 v[0:1], null, v97, s12, v[25:26]
	v_lshlrev_b32_e32 v5, 3, v4
	s_mul_i32 s4, s16, s24
	v_or_b32_e32 v6, 0x78, v96
	v_lshlrev_b32_e32 v7, 5, v3
	s_ashr_i32 s5, s4, 31
	v_mad_u32_u24 v102, 0x218, v2, v5
	v_ashrrev_i32_e32 v1, 31, v0
	v_mul_i32_i24_e32 v5, 0xffffffe8, v3
	v_add_nc_u32_e32 v3, s16, v4
	s_lshl_b64 s[4:5], s[4:5], 3
	v_mad_u32_u24 v103, 0x218, v2, v6
	v_sub_co_u32 v98, vcc_lo, v12, s4
	v_mad_u32_u24 v104, 0x218, v2, v7
	v_add3_u32 v28, v3, v2, 64
	v_lshlrev_b64 v[2:3], 3, v[0:1]
	v_subrev_co_ci_u32_e32 v99, vcc_lo, s5, v13, vcc_lo
	s_lshl_b32 s8, s12, 4
	s_ashr_i32 s13, s12, 31
	v_sub_co_u32 v122, vcc_lo, 0, v14
	s_lshl_b32 s31, s24, 6
	s_ashr_i32 s9, s8, 31
	s_lshl_b32 s26, s12, 1
	s_mul_i32 s34, s12, 3
	s_mul_i32 s24, s24, s1
	v_sub_co_ci_u32_e32 v123, vcc_lo, 0, v15, vcc_lo
	s_lshl_b64 s[22:23], s[12:13], 4
	s_add_i32 s15, s28, -2
	s_ashr_i32 s27, s26, 31
	s_ashr_i32 s35, s34, 31
	s_lshl_b64 s[16:17], s[12:13], 3
	s_lshl_b32 s4, s24, 6
	v_add_co_u32 v4, vcc_lo, s20, v2
	s_lshl_b64 s[6:7], s[8:9], 5
	s_add_u32 s1, s22, s20
	v_add_co_ci_u32_e32 v6, vcc_lo, s21, v3, vcc_lo
	s_addc_u32 s5, s23, s21
	v_add_co_u32 v7, vcc_lo, s1, v2
	v_add_co_ci_u32_e32 v8, vcc_lo, s5, v3, vcc_lo
	v_add_co_u32 v124, vcc_lo, v16, v4
	v_add_co_ci_u32_e32 v125, vcc_lo, v17, v6, vcc_lo
	s_delay_alu instid0(VALU_DEP_4)
	v_add_co_u32 v126, vcc_lo, v16, v7
	s_add_u32 s13, s16, s20
	v_add_co_ci_u32_e32 v127, vcc_lo, v17, v8, vcc_lo
	s_addc_u32 s33, s17, s21
	v_add_co_u32 v4, vcc_lo, s13, v2
	v_add_co_ci_u32_e32 v6, vcc_lo, s33, v3, vcc_lo
	s_lshl_b64 s[26:27], s[26:27], 3
	s_delay_alu instid0(VALU_DEP_2) | instskip(SKIP_1) | instid1(VALU_DEP_2)
	v_add_co_u32 v128, vcc_lo, v16, v4
	s_add_u32 s24, s20, s26
	v_add_co_ci_u32_e32 v129, vcc_lo, v17, v6, vcc_lo
	s_addc_u32 s25, s21, s27
	v_add_co_u32 v4, vcc_lo, s24, v2
	v_add_co_ci_u32_e32 v6, vcc_lo, s25, v3, vcc_lo
	s_lshl_b64 s[24:25], s[34:35], 3
	s_delay_alu instid0(VALU_DEP_2) | instskip(SKIP_1) | instid1(VALU_DEP_2)
	;; [unrolled: 8-line block ×3, first 2 shown]
	v_add_co_u32 v132, vcc_lo, v16, v4
	s_add_u32 s36, s20, s34
	v_add_co_ci_u32_e32 v133, vcc_lo, v17, v6, vcc_lo
	s_addc_u32 s37, s21, s35
	v_add_co_u32 v4, vcc_lo, s36, v2
	s_add_u32 s13, s13, s34
	v_add_co_ci_u32_e32 v6, vcc_lo, s37, v3, vcc_lo
	s_addc_u32 s33, s33, s35
	v_add_co_u32 v7, vcc_lo, s13, v2
	v_add_co_ci_u32_e32 v8, vcc_lo, s33, v3, vcc_lo
	v_add_co_u32 v134, vcc_lo, v16, v4
	v_add_co_ci_u32_e32 v135, vcc_lo, v17, v6, vcc_lo
	s_delay_alu instid0(VALU_DEP_4)
	v_add_co_u32 v136, vcc_lo, v16, v7
	s_add_u32 s13, s36, s26
	v_add_co_ci_u32_e32 v137, vcc_lo, v17, v8, vcc_lo
	s_addc_u32 s33, s37, s27
	v_add_co_u32 v4, vcc_lo, s13, v2
	s_add_u32 s13, s1, s34
	v_add_co_ci_u32_e32 v6, vcc_lo, s33, v3, vcc_lo
	s_addc_u32 s33, s5, s35
	v_add_co_u32 v7, vcc_lo, s13, v2
	v_add_co_ci_u32_e32 v8, vcc_lo, s33, v3, vcc_lo
	v_add_co_u32 v138, vcc_lo, v16, v4
	v_add_co_ci_u32_e32 v139, vcc_lo, v17, v6, vcc_lo
	s_delay_alu instid0(VALU_DEP_4)
	v_add_co_u32 v140, vcc_lo, v16, v7
	s_add_u32 s13, s36, s24
	v_add_co_ci_u32_e32 v141, vcc_lo, v17, v8, vcc_lo
	s_addc_u32 s33, s37, s25
	s_lshl_b64 s[34:35], s[8:9], 4
	v_add_co_u32 v4, vcc_lo, s13, v2
	s_add_u32 s9, s34, s20
	v_add_co_ci_u32_e32 v6, vcc_lo, s33, v3, vcc_lo
	s_addc_u32 s13, s35, s21
	v_add_co_u32 v7, vcc_lo, s9, v2
	v_add_co_ci_u32_e32 v8, vcc_lo, s13, v3, vcc_lo
	v_add_co_u32 v142, vcc_lo, v16, v4
	v_add_co_ci_u32_e32 v143, vcc_lo, v17, v6, vcc_lo
	s_delay_alu instid0(VALU_DEP_4)
	v_add_co_u32 v144, vcc_lo, v16, v7
	s_add_u32 s20, s9, s16
	v_add_co_ci_u32_e32 v145, vcc_lo, v17, v8, vcc_lo
	s_addc_u32 s21, s13, s17
	v_add_co_u32 v4, vcc_lo, s20, v2
	s_add_u32 s20, s9, s26
	v_add_co_ci_u32_e32 v6, vcc_lo, s21, v3, vcc_lo
	s_addc_u32 s21, s13, s27
	v_add_co_u32 v7, vcc_lo, s20, v2
	v_add_co_ci_u32_e32 v8, vcc_lo, s21, v3, vcc_lo
	v_add_co_u32 v146, vcc_lo, v16, v4
	v_add_co_ci_u32_e32 v147, vcc_lo, v17, v6, vcc_lo
	s_delay_alu instid0(VALU_DEP_4)
	v_add_co_u32 v148, vcc_lo, v16, v7
	s_add_u32 s1, s1, s34
	v_add_co_ci_u32_e32 v149, vcc_lo, v17, v8, vcc_lo
	s_addc_u32 s5, s5, s35
	v_add_co_u32 v4, vcc_lo, s1, v2
	v_add_co_ci_u32_e32 v6, vcc_lo, s5, v3, vcc_lo
	v_add_co_u32 v0, vcc_lo, s18, v0
	v_add_co_ci_u32_e32 v1, vcc_lo, s19, v1, vcc_lo
	s_delay_alu instid0(VALU_DEP_4) | instskip(SKIP_1) | instid1(VALU_DEP_2)
	v_add_co_u32 v150, vcc_lo, v16, v4
	s_add_u32 s1, s9, s24
	v_lshlrev_b64 v[0:1], 3, v[0:1]
	v_add_co_ci_u32_e32 v151, vcc_lo, v17, v6, vcc_lo
	s_addc_u32 s5, s13, s25
	v_add_co_u32 v4, vcc_lo, s1, v2
	v_add_co_ci_u32_e32 v6, vcc_lo, s5, v3, vcc_lo
	s_delay_alu instid0(VALU_DEP_4) | instskip(NEXT) | instid1(VALU_DEP_3)
	v_mad_i64_i32 v[2:3], null, s8, 24, v[0:1]
	v_add_co_u32 v152, vcc_lo, v16, v4
	s_delay_alu instid0(VALU_DEP_3) | instskip(SKIP_2) | instid1(VALU_DEP_3)
	v_add_co_ci_u32_e32 v153, vcc_lo, v17, v6, vcc_lo
	s_mul_i32 s1, s12, 0x180
	s_mul_hi_i32 s5, s8, 24
	v_add_co_u32 v154, vcc_lo, v16, v2
	s_delay_alu instid0(VALU_DEP_4) | instskip(SKIP_4) | instid1(VALU_DEP_4)
	v_add_co_ci_u32_e32 v155, vcc_lo, v17, v3, vcc_lo
	v_add_co_u32 v4, vcc_lo, v2, s16
	v_add_co_ci_u32_e32 v6, vcc_lo, s17, v3, vcc_lo
	v_add_co_u32 v7, vcc_lo, v2, s26
	;; [unrolled: 2-line block ×3, first 2 shown]
	s_delay_alu instid0(VALU_DEP_4) | instskip(NEXT) | instid1(VALU_DEP_4)
	v_add_co_ci_u32_e32 v157, vcc_lo, v17, v6, vcc_lo
	v_add_co_u32 v158, vcc_lo, v16, v7
	s_add_u32 s1, s1, s22
	v_add_co_ci_u32_e32 v159, vcc_lo, v17, v8, vcc_lo
	s_addc_u32 s5, s5, s23
	v_add_co_u32 v0, vcc_lo, s1, v0
	v_add_co_ci_u32_e32 v1, vcc_lo, s5, v1, vcc_lo
	v_add_co_u32 v2, vcc_lo, v2, s24
	v_add_co_ci_u32_e32 v3, vcc_lo, s25, v3, vcc_lo
	s_delay_alu instid0(VALU_DEP_4) | instskip(NEXT) | instid1(VALU_DEP_4)
	v_add_co_u32 v160, vcc_lo, v16, v0
	v_add_co_ci_u32_e32 v161, vcc_lo, v17, v1, vcc_lo
	s_delay_alu instid0(VALU_DEP_4)
	v_add_co_u32 v162, vcc_lo, v16, v2
	v_add_nc_u32_e32 v100, 0x2180, v96
	v_add_nc_u32_e32 v101, 0x2380, v96
	v_cmp_gt_u32_e64 s0, 64, v22
	v_or_b32_e32 v105, 1, v97
	v_or_b32_e32 v106, 2, v97
	;; [unrolled: 1-line block ×3, first 2 shown]
	v_lshl_add_u32 v108, v95, 5, 0x2180
	v_mad_u32_u24 v109, 0x860, v95, v96
	v_add_nc_u32_e32 v110, 16, v97
	v_add_nc_u32_e32 v111, 17, v97
	;; [unrolled: 1-line block ×12, first 2 shown]
	v_add_co_ci_u32_e32 v163, vcc_lo, v17, v3, vcc_lo
	v_add_nc_u32_e32 v164, v104, v5
	s_cmp_eq_u32 s15, s14
	s_cselect_b32 s12, s29, 0
	s_and_saveexec_b32 s1, s2
	s_cbranch_execz .LBB117_100
.LBB117_96:
	v_cmp_le_i32_e32 vcc_lo, s12, v25
	s_cmp_lg_u32 s12, 0
	s_cselect_b32 s5, -1, 0
	s_delay_alu instid0(SALU_CYCLE_1) | instskip(NEXT) | instid1(SALU_CYCLE_1)
	s_and_b32 s5, s5, vcc_lo
	s_and_saveexec_b32 s8, s5
	s_delay_alu instid0(SALU_CYCLE_1)
	s_xor_b32 s5, exec_lo, s8
	s_cbranch_execz .LBB117_98
; %bb.97:
	v_mov_b32_e32 v31, v30
	ds_store_b64 v100, v[30:31]
.LBB117_98:
	s_and_not1_saveexec_b32 s5, s5
	s_cbranch_execz .LBB117_100
; %bb.99:
	s_ashr_i32 s5, s4, 31
	s_delay_alu instid0(SALU_CYCLE_1) | instskip(NEXT) | instid1(SALU_CYCLE_1)
	s_lshl_b64 s[8:9], s[4:5], 3
	v_add_co_u32 v0, vcc_lo, v98, s8
	v_add_co_ci_u32_e32 v1, vcc_lo, s9, v99, vcc_lo
	global_load_b64 v[0:1], v[0:1], off
	s_waitcnt vmcnt(0)
	ds_store_b64 v100, v[0:1]
.LBB117_100:                            ; =>This Inner Loop Header: Depth=1
	s_or_b32 exec_lo, exec_lo, s1
	s_cmp_eq_u32 s12, 0
	v_add_co_u32 v0, vcc_lo, v124, v122
	s_cselect_b32 s5, -1, 0
	s_cmp_lg_u32 s12, 0
	v_add_co_ci_u32_e32 v1, vcc_lo, v125, v123, vcc_lo
	s_cselect_b32 s1, -1, 0
	s_waitcnt lgkmcnt(0)
	s_and_b32 vcc_lo, exec_lo, s1
	s_barrier
	buffer_gl0_inv
	s_cbranch_vccz .LBB117_108
; %bb.101:                              ;   in Loop: Header=BB117_100 Depth=1
	v_mov_b32_e32 v31, 0
	v_mov_b32_e32 v32, 0
	s_mov_b32 s8, exec_lo
	s_delay_alu instid0(VALU_DEP_1)
	v_dual_mov_b32 v34, v32 :: v_dual_mov_b32 v33, v31
	v_cmpx_gt_i32_e64 s12, v97
	s_cbranch_execz .LBB117_103
; %bb.102:                              ;   in Loop: Header=BB117_100 Depth=1
	global_load_b64 v[33:34], v[0:1], off
.LBB117_103:                            ;   in Loop: Header=BB117_100 Depth=1
	s_or_b32 exec_lo, exec_lo, s8
	s_delay_alu instid0(SALU_CYCLE_1)
	s_mov_b32 s8, exec_lo
	v_cmpx_gt_i32_e64 s12, v105
	s_cbranch_execz .LBB117_105
; %bb.104:                              ;   in Loop: Header=BB117_100 Depth=1
	v_add_co_u32 v2, vcc_lo, v128, v122
	v_add_co_ci_u32_e32 v3, vcc_lo, v129, v123, vcc_lo
	global_load_b64 v[31:32], v[2:3], off
.LBB117_105:                            ;   in Loop: Header=BB117_100 Depth=1
	s_or_b32 exec_lo, exec_lo, s8
	v_mov_b32_e32 v35, 0
	v_mov_b32_e32 v36, 0
	s_mov_b32 s8, exec_lo
	v_cmpx_gt_i32_e64 s12, v106
	s_cbranch_execz .LBB117_107
; %bb.106:                              ;   in Loop: Header=BB117_100 Depth=1
	v_add_co_u32 v2, vcc_lo, v130, v122
	v_add_co_ci_u32_e32 v3, vcc_lo, v131, v123, vcc_lo
	global_load_b64 v[35:36], v[2:3], off
.LBB117_107:                            ;   in Loop: Header=BB117_100 Depth=1
	s_or_b32 exec_lo, exec_lo, s8
	v_cmp_gt_i32_e64 s13, s12, v107
	s_mov_b64 s[8:9], 0
	s_branch .LBB117_110
.LBB117_108:                            ;   in Loop: Header=BB117_100 Depth=1
	s_mov_b32 s13, 0
                                        ; implicit-def: $sgpr8_sgpr9
                                        ; implicit-def: $vgpr35_vgpr36
                                        ; implicit-def: $vgpr31_vgpr32
                                        ; implicit-def: $vgpr33_vgpr34
	s_cbranch_execz .LBB117_110
; %bb.109:                              ;   in Loop: Header=BB117_100 Depth=1
	v_add_co_u32 v2, vcc_lo, v128, v122
	v_add_co_ci_u32_e32 v3, vcc_lo, v129, v123, vcc_lo
	v_add_co_u32 v4, vcc_lo, v126, v122
	v_add_co_ci_u32_e32 v5, vcc_lo, v127, v123, vcc_lo
	global_load_b64 v[33:34], v[0:1], off
	global_load_b64 v[31:32], v[2:3], off
	;; [unrolled: 1-line block ×3, first 2 shown]
	s_or_b32 s13, s13, exec_lo
                                        ; implicit-def: $sgpr8_sgpr9
.LBB117_110:                            ;   in Loop: Header=BB117_100 Depth=1
	v_dual_mov_b32 v38, s9 :: v_dual_mov_b32 v37, s8
	s_delay_alu instid0(VALU_DEP_2)
	s_and_saveexec_b32 s8, s13
	s_cbranch_execz .LBB117_112
; %bb.111:                              ;   in Loop: Header=BB117_100 Depth=1
	v_add_co_u32 v0, vcc_lo, v132, v122
	v_add_co_ci_u32_e32 v1, vcc_lo, v133, v123, vcc_lo
	global_load_b64 v[37:38], v[0:1], off
.LBB117_112:                            ;   in Loop: Header=BB117_100 Depth=1
	s_or_b32 exec_lo, exec_lo, s8
	ds_load_b64 v[0:1], v101
	ds_load_b64 v[39:40], v108
	v_cndmask_b32_e64 v29, 0, 1, s1
	s_waitcnt vmcnt(0) lgkmcnt(1)
	v_mul_f32_e32 v3, v1, v33
	v_mul_f32_e32 v5, v1, v31
	;; [unrolled: 1-line block ×3, first 2 shown]
	v_dual_mul_f32 v4, v1, v32 :: v_dual_mul_f32 v9, v0, v38
	s_delay_alu instid0(VALU_DEP_4) | instskip(SKIP_4) | instid1(VALU_DEP_4)
	v_dual_mul_f32 v6, v1, v36 :: v_dual_fmac_f32 v3, v0, v34
	v_mul_f32_e32 v7, v1, v35
	v_dual_mul_f32 v8, v1, v38 :: v_dual_fmac_f32 v5, v0, v32
	v_fma_f32 v2, v0, v33, -v2
	v_fma_f32 v4, v0, v31, -v4
	v_fmac_f32_e32 v7, v0, v36
	v_fma_f32 v6, v0, v35, -v6
	v_fma_f32 v8, v0, v37, -v8
	v_fmac_f32_e32 v9, v1, v37
	ds_store_b64 v109, v[2:3]
	ds_load_b64 v[45:46], v108 offset:8
	ds_store_b64 v109, v[4:5] offset:536
	ds_load_b64 v[43:44], v108 offset:16
	ds_store_b64 v109, v[6:7] offset:1072
	;; [unrolled: 2-line block ×3, first 2 shown]
	s_waitcnt lgkmcnt(0)
	s_barrier
	buffer_gl0_inv
	ds_load_2addr_b64 v[4:7], v104 offset1:1
	ds_load_2addr_b64 v[0:3], v104 offset0:2 offset1:3
	v_add_co_u32 v8, vcc_lo, v134, v122
	v_add_co_ci_u32_e32 v9, vcc_lo, v135, v123, vcc_lo
	s_and_not1_b32 vcc_lo, exec_lo, s1
	s_waitcnt lgkmcnt(0)
	s_barrier
	buffer_gl0_inv
	s_cbranch_vccnz .LBB117_120
; %bb.113:                              ;   in Loop: Header=BB117_100 Depth=1
	v_mov_b32_e32 v47, 0
	v_mov_b32_e32 v48, 0
	s_mov_b32 s1, exec_lo
	s_delay_alu instid0(VALU_DEP_1)
	v_dual_mov_b32 v50, v48 :: v_dual_mov_b32 v49, v47
	v_cmpx_gt_i32_e64 s12, v110
	s_cbranch_execz .LBB117_115
; %bb.114:                              ;   in Loop: Header=BB117_100 Depth=1
	global_load_b64 v[49:50], v[8:9], off
.LBB117_115:                            ;   in Loop: Header=BB117_100 Depth=1
	s_or_b32 exec_lo, exec_lo, s1
	s_delay_alu instid0(SALU_CYCLE_1)
	s_mov_b32 s1, exec_lo
	v_cmpx_gt_i32_e64 s12, v111
	s_cbranch_execz .LBB117_117
; %bb.116:                              ;   in Loop: Header=BB117_100 Depth=1
	v_add_co_u32 v10, vcc_lo, v136, v122
	v_add_co_ci_u32_e32 v11, vcc_lo, v137, v123, vcc_lo
	global_load_b64 v[47:48], v[10:11], off
.LBB117_117:                            ;   in Loop: Header=BB117_100 Depth=1
	s_or_b32 exec_lo, exec_lo, s1
	v_mov_b32_e32 v51, 0
	v_mov_b32_e32 v52, 0
	s_mov_b32 s1, exec_lo
	v_cmpx_gt_i32_e64 s12, v112
	s_cbranch_execz .LBB117_119
; %bb.118:                              ;   in Loop: Header=BB117_100 Depth=1
	v_add_co_u32 v10, vcc_lo, v138, v122
	v_add_co_ci_u32_e32 v11, vcc_lo, v139, v123, vcc_lo
	global_load_b64 v[51:52], v[10:11], off
.LBB117_119:                            ;   in Loop: Header=BB117_100 Depth=1
	s_or_b32 exec_lo, exec_lo, s1
	v_cmp_gt_i32_e64 s1, s12, v113
	s_mov_b64 s[8:9], 0
	s_branch .LBB117_122
.LBB117_120:                            ;   in Loop: Header=BB117_100 Depth=1
	s_mov_b32 s1, 0
                                        ; implicit-def: $sgpr8_sgpr9
                                        ; implicit-def: $vgpr51_vgpr52
                                        ; implicit-def: $vgpr47_vgpr48
                                        ; implicit-def: $vgpr49_vgpr50
	s_cbranch_execz .LBB117_122
; %bb.121:                              ;   in Loop: Header=BB117_100 Depth=1
	v_add_co_u32 v10, vcc_lo, v136, v122
	v_add_co_ci_u32_e32 v11, vcc_lo, v137, v123, vcc_lo
	v_add_co_u32 v12, vcc_lo, v140, v122
	v_add_co_ci_u32_e32 v13, vcc_lo, v141, v123, vcc_lo
	global_load_b64 v[49:50], v[8:9], off
	global_load_b64 v[47:48], v[10:11], off
	;; [unrolled: 1-line block ×3, first 2 shown]
	s_or_b32 s1, s1, exec_lo
                                        ; implicit-def: $sgpr8_sgpr9
.LBB117_122:                            ;   in Loop: Header=BB117_100 Depth=1
	v_dual_mov_b32 v54, s9 :: v_dual_mov_b32 v53, s8
	s_delay_alu instid0(VALU_DEP_2)
	s_and_saveexec_b32 s8, s1
	s_cbranch_execz .LBB117_124
; %bb.123:                              ;   in Loop: Header=BB117_100 Depth=1
	v_add_co_u32 v8, vcc_lo, v142, v122
	v_add_co_ci_u32_e32 v9, vcc_lo, v143, v123, vcc_lo
	global_load_b64 v[53:54], v[8:9], off
.LBB117_124:                            ;   in Loop: Header=BB117_100 Depth=1
	s_or_b32 exec_lo, exec_lo, s8
	ds_load_b64 v[8:9], v101
	ds_load_b64 v[55:56], v108 offset:128
	v_cmp_ne_u32_e32 vcc_lo, 1, v29
	s_and_b32 vcc_lo, exec_lo, vcc_lo
	s_waitcnt vmcnt(0) lgkmcnt(1)
	v_mul_f32_e32 v11, v9, v49
	v_mul_f32_e32 v13, v9, v47
	;; [unrolled: 1-line block ×3, first 2 shown]
	v_dual_mul_f32 v12, v9, v48 :: v_dual_mul_f32 v17, v8, v54
	s_delay_alu instid0(VALU_DEP_4) | instskip(SKIP_4) | instid1(VALU_DEP_4)
	v_dual_mul_f32 v14, v9, v52 :: v_dual_fmac_f32 v11, v8, v50
	v_mul_f32_e32 v15, v9, v51
	v_dual_mul_f32 v16, v9, v54 :: v_dual_fmac_f32 v13, v8, v48
	v_fma_f32 v10, v8, v49, -v10
	v_fma_f32 v12, v8, v47, -v12
	v_fmac_f32_e32 v15, v8, v52
	v_fma_f32 v14, v8, v51, -v14
	v_fma_f32 v16, v8, v53, -v16
	v_fmac_f32_e32 v17, v9, v53
	ds_store_b64 v109, v[10:11]
	ds_load_b64 v[61:62], v108 offset:136
	ds_store_b64 v109, v[12:13] offset:536
	ds_load_b64 v[59:60], v108 offset:144
	ds_store_b64 v109, v[14:15] offset:1072
	;; [unrolled: 2-line block ×3, first 2 shown]
	s_waitcnt lgkmcnt(0)
	s_barrier
	buffer_gl0_inv
	ds_load_2addr_b64 v[12:15], v104 offset1:1
	ds_load_2addr_b64 v[8:11], v104 offset0:2 offset1:3
	v_add_co_u32 v16, s1, v144, v122
	s_delay_alu instid0(VALU_DEP_1)
	v_add_co_ci_u32_e64 v17, s1, v145, v123, s1
	s_waitcnt lgkmcnt(0)
	s_barrier
	buffer_gl0_inv
	s_cbranch_vccnz .LBB117_132
; %bb.125:                              ;   in Loop: Header=BB117_100 Depth=1
	v_mov_b32_e32 v63, 0
	v_mov_b32_e32 v64, 0
	s_mov_b32 s1, exec_lo
	s_delay_alu instid0(VALU_DEP_1)
	v_dual_mov_b32 v66, v64 :: v_dual_mov_b32 v65, v63
	v_cmpx_gt_i32_e64 s12, v114
	s_cbranch_execz .LBB117_127
; %bb.126:                              ;   in Loop: Header=BB117_100 Depth=1
	global_load_b64 v[65:66], v[16:17], off
.LBB117_127:                            ;   in Loop: Header=BB117_100 Depth=1
	s_or_b32 exec_lo, exec_lo, s1
	s_delay_alu instid0(SALU_CYCLE_1)
	s_mov_b32 s1, exec_lo
	v_cmpx_gt_i32_e64 s12, v115
	s_cbranch_execz .LBB117_129
; %bb.128:                              ;   in Loop: Header=BB117_100 Depth=1
	v_add_co_u32 v18, vcc_lo, v146, v122
	v_add_co_ci_u32_e32 v19, vcc_lo, v147, v123, vcc_lo
	global_load_b64 v[63:64], v[18:19], off
.LBB117_129:                            ;   in Loop: Header=BB117_100 Depth=1
	s_or_b32 exec_lo, exec_lo, s1
	v_mov_b32_e32 v67, 0
	v_mov_b32_e32 v68, 0
	s_mov_b32 s1, exec_lo
	v_cmpx_gt_i32_e64 s12, v116
	s_cbranch_execz .LBB117_131
; %bb.130:                              ;   in Loop: Header=BB117_100 Depth=1
	v_add_co_u32 v18, vcc_lo, v148, v122
	v_add_co_ci_u32_e32 v19, vcc_lo, v149, v123, vcc_lo
	global_load_b64 v[67:68], v[18:19], off
.LBB117_131:                            ;   in Loop: Header=BB117_100 Depth=1
	s_or_b32 exec_lo, exec_lo, s1
	v_cmp_gt_i32_e64 s1, s12, v117
	s_mov_b64 s[8:9], 0
	s_branch .LBB117_134
.LBB117_132:                            ;   in Loop: Header=BB117_100 Depth=1
	s_mov_b32 s1, 0
                                        ; implicit-def: $sgpr8_sgpr9
                                        ; implicit-def: $vgpr67_vgpr68
                                        ; implicit-def: $vgpr63_vgpr64
                                        ; implicit-def: $vgpr65_vgpr66
	s_cbranch_execz .LBB117_134
; %bb.133:                              ;   in Loop: Header=BB117_100 Depth=1
	v_add_co_u32 v18, vcc_lo, v146, v122
	v_add_co_ci_u32_e32 v19, vcc_lo, v147, v123, vcc_lo
	v_add_co_u32 v20, vcc_lo, v150, v122
	v_add_co_ci_u32_e32 v21, vcc_lo, v151, v123, vcc_lo
	global_load_b64 v[65:66], v[16:17], off
	global_load_b64 v[63:64], v[18:19], off
	;; [unrolled: 1-line block ×3, first 2 shown]
	s_or_b32 s1, s1, exec_lo
                                        ; implicit-def: $sgpr8_sgpr9
.LBB117_134:                            ;   in Loop: Header=BB117_100 Depth=1
	v_dual_mov_b32 v70, s9 :: v_dual_mov_b32 v69, s8
	s_delay_alu instid0(VALU_DEP_2)
	s_and_saveexec_b32 s8, s1
	s_cbranch_execz .LBB117_136
; %bb.135:                              ;   in Loop: Header=BB117_100 Depth=1
	v_add_co_u32 v16, vcc_lo, v152, v122
	v_add_co_ci_u32_e32 v17, vcc_lo, v153, v123, vcc_lo
	global_load_b64 v[69:70], v[16:17], off
.LBB117_136:                            ;   in Loop: Header=BB117_100 Depth=1
	s_or_b32 exec_lo, exec_lo, s8
	ds_load_b64 v[16:17], v101
	ds_load_b64 v[71:72], v108 offset:256
	v_cmp_ne_u32_e32 vcc_lo, 1, v29
	v_add_co_u32 v85, s1, v154, v122
	s_delay_alu instid0(VALU_DEP_1)
	v_add_co_ci_u32_e64 v86, s1, v155, v123, s1
	s_and_b32 vcc_lo, exec_lo, vcc_lo
	s_waitcnt vmcnt(0) lgkmcnt(1)
	v_dual_mul_f32 v19, v17, v65 :: v_dual_mul_f32 v80, v16, v70
	v_mul_f32_e32 v21, v17, v63
	v_mul_f32_e32 v18, v17, v66
	s_delay_alu instid0(VALU_DEP_3)
	v_dual_mul_f32 v20, v17, v64 :: v_dual_fmac_f32 v19, v16, v66
	v_mul_f32_e32 v22, v17, v68
	v_mul_f32_e32 v23, v17, v67
	;; [unrolled: 1-line block ×3, first 2 shown]
	v_fmac_f32_e32 v21, v16, v64
	v_fma_f32 v18, v16, v65, -v18
	v_fma_f32 v20, v16, v63, -v20
	;; [unrolled: 1-line block ×3, first 2 shown]
	v_dual_fmac_f32 v23, v16, v68 :: v_dual_fmac_f32 v80, v17, v69
	v_fma_f32 v79, v16, v69, -v73
	ds_store_b64 v109, v[18:19]
	ds_load_b64 v[77:78], v108 offset:264
	ds_store_b64 v109, v[20:21] offset:536
	ds_load_b64 v[75:76], v108 offset:272
	ds_store_b64 v109, v[22:23] offset:1072
	;; [unrolled: 2-line block ×3, first 2 shown]
	s_waitcnt lgkmcnt(0)
	s_barrier
	buffer_gl0_inv
	ds_load_2addr_b64 v[20:23], v104 offset1:1
	ds_load_2addr_b64 v[16:19], v104 offset0:2 offset1:3
	s_waitcnt lgkmcnt(0)
	s_barrier
	buffer_gl0_inv
	s_cbranch_vccnz .LBB117_144
; %bb.137:                              ;   in Loop: Header=BB117_100 Depth=1
	v_mov_b32_e32 v79, 0
	v_mov_b32_e32 v80, 0
	s_mov_b32 s1, exec_lo
	s_delay_alu instid0(VALU_DEP_1)
	v_dual_mov_b32 v82, v80 :: v_dual_mov_b32 v81, v79
	v_cmpx_gt_i32_e64 s12, v118
	s_cbranch_execz .LBB117_139
; %bb.138:                              ;   in Loop: Header=BB117_100 Depth=1
	global_load_b64 v[81:82], v[85:86], off
.LBB117_139:                            ;   in Loop: Header=BB117_100 Depth=1
	s_or_b32 exec_lo, exec_lo, s1
	s_delay_alu instid0(SALU_CYCLE_1)
	s_mov_b32 s1, exec_lo
	v_cmpx_gt_i32_e64 s12, v119
	s_cbranch_execz .LBB117_141
; %bb.140:                              ;   in Loop: Header=BB117_100 Depth=1
	v_add_co_u32 v79, vcc_lo, v156, v122
	v_add_co_ci_u32_e32 v80, vcc_lo, v157, v123, vcc_lo
	global_load_b64 v[79:80], v[79:80], off
.LBB117_141:                            ;   in Loop: Header=BB117_100 Depth=1
	s_or_b32 exec_lo, exec_lo, s1
	v_mov_b32_e32 v83, 0
	v_mov_b32_e32 v84, 0
	s_mov_b32 s1, exec_lo
	v_cmpx_gt_i32_e64 s12, v120
	s_cbranch_execz .LBB117_143
; %bb.142:                              ;   in Loop: Header=BB117_100 Depth=1
	v_add_co_u32 v83, vcc_lo, v158, v122
	v_add_co_ci_u32_e32 v84, vcc_lo, v159, v123, vcc_lo
	global_load_b64 v[83:84], v[83:84], off
.LBB117_143:                            ;   in Loop: Header=BB117_100 Depth=1
	s_or_b32 exec_lo, exec_lo, s1
	v_cmp_gt_i32_e64 s1, s12, v121
	s_mov_b64 s[8:9], 0
	s_branch .LBB117_146
.LBB117_144:                            ;   in Loop: Header=BB117_100 Depth=1
	s_mov_b32 s1, 0
                                        ; implicit-def: $sgpr8_sgpr9
                                        ; implicit-def: $vgpr83_vgpr84
                                        ; implicit-def: $vgpr79_vgpr80
                                        ; implicit-def: $vgpr81_vgpr82
	s_cbranch_execz .LBB117_146
; %bb.145:                              ;   in Loop: Header=BB117_100 Depth=1
	s_waitcnt vmcnt(0)
	v_add_co_u32 v79, vcc_lo, v156, v122
	v_add_co_ci_u32_e32 v80, vcc_lo, v157, v123, vcc_lo
	v_add_co_u32 v83, vcc_lo, v160, v122
	v_add_co_ci_u32_e32 v84, vcc_lo, v161, v123, vcc_lo
	global_load_b64 v[81:82], v[85:86], off
	global_load_b64 v[79:80], v[79:80], off
	;; [unrolled: 1-line block ×3, first 2 shown]
	s_or_b32 s1, s1, exec_lo
                                        ; implicit-def: $sgpr8_sgpr9
.LBB117_146:                            ;   in Loop: Header=BB117_100 Depth=1
	v_dual_mov_b32 v86, s9 :: v_dual_mov_b32 v85, s8
	s_delay_alu instid0(VALU_DEP_2)
	s_and_saveexec_b32 s8, s1
	s_cbranch_execz .LBB117_148
; %bb.147:                              ;   in Loop: Header=BB117_100 Depth=1
	v_add_co_u32 v85, vcc_lo, v162, v122
	v_add_co_ci_u32_e32 v86, vcc_lo, v163, v123, vcc_lo
	global_load_b64 v[85:86], v[85:86], off
.LBB117_148:                            ;   in Loop: Header=BB117_100 Depth=1
	s_or_b32 exec_lo, exec_lo, s8
	ds_load_b64 v[89:90], v101
	ds_load_b64 v[87:88], v108 offset:384
	v_add_f32_e32 v4, 0, v4
	v_cmp_gt_i32_e32 vcc_lo, s12, v25
	v_add_f32_e32 v13, 0, v13
	v_dual_add_f32 v5, 0, v5 :: v_dual_add_f32 v20, 0, v20
	v_dual_add_f32 v21, 0, v21 :: v_dual_add_f32 v12, 0, v12
	s_or_b32 s1, s5, vcc_lo
	s_delay_alu instid0(VALU_DEP_2) | instskip(SKIP_1) | instid1(VALU_DEP_3)
	v_add_f32_e32 v5, v5, v7
	v_dual_add_f32 v13, v13, v15 :: v_dual_add_f32 v4, v4, v6
	v_add_f32_e32 v12, v12, v14
	s_and_b32 s5, s0, s1
	s_delay_alu instid0(VALU_DEP_3) | instskip(NEXT) | instid1(VALU_DEP_3)
	v_add_f32_e32 v15, v5, v1
	v_add_f32_e32 v9, v13, v9
	;; [unrolled: 1-line block ×3, first 2 shown]
	s_waitcnt vmcnt(0) lgkmcnt(1)
	v_mul_f32_e32 v94, v90, v84
	v_mul_f32_e32 v168, v90, v83
	;; [unrolled: 1-line block ×5, first 2 shown]
	v_dual_mul_f32 v93, v90, v80 :: v_dual_mul_f32 v170, v89, v86
	v_dual_mul_f32 v169, v90, v86 :: v_dual_fmac_f32 v168, v89, v84
	s_delay_alu instid0(VALU_DEP_4) | instskip(NEXT) | instid1(VALU_DEP_4)
	v_fmac_f32_e32 v166, v89, v80
	v_fma_f32 v91, v89, v81, -v29
	v_add_f32_e32 v29, v20, v22
	v_fmac_f32_e32 v92, v89, v82
	v_fma_f32 v165, v89, v79, -v93
	v_fma_f32 v167, v89, v83, -v94
	;; [unrolled: 1-line block ×3, first 2 shown]
	v_fmac_f32_e32 v170, v90, v85
	ds_store_b64 v109, v[91:92]
	ds_load_b64 v[93:94], v108 offset:392
	ds_store_b64 v109, v[165:166] offset:536
	ds_load_b64 v[91:92], v108 offset:400
	ds_store_b64 v109, v[167:168] offset:1072
	;; [unrolled: 2-line block ×3, first 2 shown]
	v_add_f32_e32 v169, v21, v23
	s_waitcnt lgkmcnt(0)
	s_barrier
	buffer_gl0_inv
	ds_load_2addr_b64 v[165:168], v104 offset1:1
	ds_load_2addr_b64 v[20:23], v104 offset0:2 offset1:3
	v_dual_add_f32 v7, v169, v17 :: v_dual_add_f32 v8, v12, v8
	v_add_f32_e32 v2, v13, v2
	s_waitcnt lgkmcnt(0)
	s_barrier
	s_delay_alu instid0(VALU_DEP_2) | instskip(SKIP_3) | instid1(VALU_DEP_2)
	v_dual_add_f32 v1, v7, v19 :: v_dual_add_f32 v4, v8, v10
	buffer_gl0_inv
	v_dual_add_f32 v3, v15, v3 :: v_dual_add_f32 v12, 0, v165
	v_add_f32_e32 v14, 0, v166
	v_dual_add_f32 v6, v29, v16 :: v_dual_add_f32 v5, v12, v167
	s_delay_alu instid0(VALU_DEP_2) | instskip(NEXT) | instid1(VALU_DEP_1)
	v_add_f32_e32 v12, v14, v168
	v_dual_add_f32 v7, v12, v21 :: v_dual_add_f32 v0, v6, v18
	s_delay_alu instid0(VALU_DEP_3) | instskip(SKIP_1) | instid1(VALU_DEP_2)
	v_add_f32_e32 v6, v5, v20
	v_add_f32_e32 v5, v9, v11
	v_dual_add_f32 v7, v7, v23 :: v_dual_add_f32 v6, v6, v22
	ds_store_2addr_b64 v164, v[2:3], v[4:5] offset1:16
	ds_store_2addr_b64 v164, v[0:1], v[6:7] offset0:32 offset1:48
	s_waitcnt lgkmcnt(0)
	s_barrier
	buffer_gl0_inv
	s_and_saveexec_b32 s1, s5
	s_cbranch_execz .LBB117_150
; %bb.149:                              ;   in Loop: Header=BB117_100 Depth=1
	ds_load_b64 v[11:12], v102
	ds_load_2addr_b64 v[0:3], v102 offset0:1 offset1:2
	ds_load_2addr_b64 v[4:7], v102 offset0:3 offset1:4
	v_ashrrev_i32_e32 v29, 31, v28
	s_waitcnt lgkmcnt(1)
	v_dual_add_f32 v0, v0, v11 :: v_dual_add_f32 v1, v1, v12
	ds_load_2addr_b64 v[8:11], v102 offset0:5 offset1:6
	v_add_f32_e32 v0, v0, v2
	v_add_f32_e32 v12, v1, v3
	s_waitcnt lgkmcnt(1)
	s_delay_alu instid0(VALU_DEP_2) | instskip(SKIP_3) | instid1(VALU_DEP_2)
	v_add_f32_e32 v4, v0, v4
	ds_load_2addr_b64 v[0:3], v102 offset0:7 offset1:8
	v_add_f32_e32 v5, v12, v5
	v_add_f32_e32 v4, v4, v6
	;; [unrolled: 1-line block ×3, first 2 shown]
	s_waitcnt lgkmcnt(1)
	s_delay_alu instid0(VALU_DEP_2) | instskip(SKIP_3) | instid1(VALU_DEP_2)
	v_add_f32_e32 v8, v4, v8
	ds_load_2addr_b64 v[4:7], v102 offset0:9 offset1:10
	v_add_f32_e32 v9, v12, v9
	v_add_f32_e32 v8, v8, v10
	;; [unrolled: 1-line block ×3, first 2 shown]
	s_waitcnt lgkmcnt(1)
	s_delay_alu instid0(VALU_DEP_2) | instskip(SKIP_4) | instid1(VALU_DEP_1)
	v_add_f32_e32 v0, v8, v0
	ds_load_2addr_b64 v[8:11], v102 offset0:11 offset1:12
	v_add_f32_e32 v1, v12, v1
	v_add_f32_e32 v12, v0, v2
	s_waitcnt lgkmcnt(1)
	v_add_f32_e32 v4, v12, v4
	s_delay_alu instid0(VALU_DEP_1) | instskip(SKIP_1) | instid1(VALU_DEP_1)
	v_add_f32_e32 v6, v4, v6
	s_waitcnt lgkmcnt(0)
	v_add_f32_e32 v6, v6, v8
	s_delay_alu instid0(VALU_DEP_1) | instskip(SKIP_2) | instid1(VALU_DEP_1)
	v_dual_add_f32 v6, v6, v10 :: v_dual_add_f32 v13, v1, v3
	ds_load_2addr_b64 v[0:3], v102 offset0:13 offset1:14
	v_add_f32_e32 v5, v13, v5
	v_add_f32_e32 v7, v5, v7
	ds_load_b64 v[4:5], v103
	v_add_f32_e32 v7, v7, v9
	s_waitcnt lgkmcnt(1)
	s_delay_alu instid0(VALU_DEP_1) | instskip(NEXT) | instid1(VALU_DEP_1)
	v_dual_add_f32 v7, v7, v11 :: v_dual_add_f32 v0, v6, v0
	v_dual_add_f32 v1, v7, v1 :: v_dual_add_f32 v2, v0, v2
	s_delay_alu instid0(VALU_DEP_1) | instskip(SKIP_2) | instid1(VALU_DEP_2)
	v_add_f32_e32 v3, v1, v3
	v_lshlrev_b64 v[0:1], 3, v[28:29]
	s_waitcnt lgkmcnt(0)
	v_dual_add_f32 v2, v2, v4 :: v_dual_add_f32 v3, v3, v5
	s_delay_alu instid0(VALU_DEP_2) | instskip(NEXT) | instid1(VALU_DEP_3)
	v_add_co_u32 v0, vcc_lo, s3, v0
	v_add_co_ci_u32_e32 v1, vcc_lo, s11, v1, vcc_lo
	global_store_b64 v[0:1], v[2:3], off
.LBB117_150:                            ;   in Loop: Header=BB117_100 Depth=1
	s_or_b32 exec_lo, exec_lo, s1
	v_dual_mul_f32 v0, v40, v34 :: v_dual_mul_f32 v3, v46, v31
	v_dual_mul_f32 v1, v40, v33 :: v_dual_mul_f32 v2, v46, v32
	;; [unrolled: 1-line block ×3, first 2 shown]
	s_delay_alu instid0(VALU_DEP_3) | instskip(NEXT) | instid1(VALU_DEP_3)
	v_fma_f32 v0, v39, v33, -v0
	v_fmac_f32_e32 v1, v39, v34
	s_delay_alu instid0(VALU_DEP_4) | instskip(SKIP_1) | instid1(VALU_DEP_4)
	v_fma_f32 v2, v45, v31, -v2
	v_dual_mul_f32 v5, v44, v35 :: v_dual_mul_f32 v6, v42, v38
	v_dual_add_f32 v0, v26, v0 :: v_dual_mul_f32 v9, v56, v49
	v_dual_mul_f32 v8, v56, v50 :: v_dual_fmac_f32 v3, v45, v32
	v_fma_f32 v4, v43, v35, -v4
	s_delay_alu instid0(VALU_DEP_3) | instskip(SKIP_3) | instid1(VALU_DEP_4)
	v_add_f32_e32 v0, v0, v2
	v_dual_mul_f32 v2, v62, v48 :: v_dual_add_f32 v1, v27, v1
	v_fma_f32 v6, v41, v37, -v6
	v_fmac_f32_e32 v5, v43, v36
	v_add_f32_e32 v0, v0, v4
	v_mul_f32_e32 v4, v62, v47
	v_add_f32_e32 v1, v1, v3
	v_fma_f32 v3, v55, v49, -v8
	v_fmac_f32_e32 v7, v41, v38
	v_add_f32_e32 v0, v0, v6
	s_delay_alu instid0(VALU_DEP_4) | instskip(SKIP_1) | instid1(VALU_DEP_3)
	v_dual_mul_f32 v6, v60, v52 :: v_dual_add_f32 v1, v1, v5
	v_fma_f32 v2, v61, v47, -v2
	v_dual_fmac_f32 v9, v55, v50 :: v_dual_add_f32 v0, v0, v3
	v_mul_f32_e32 v3, v58, v54
	s_delay_alu instid0(VALU_DEP_4) | instskip(SKIP_3) | instid1(VALU_DEP_4)
	v_add_f32_e32 v1, v1, v7
	v_fma_f32 v5, v59, v51, -v6
	v_fmac_f32_e32 v4, v61, v48
	v_add_f32_e32 v0, v0, v2
	v_dual_mul_f32 v2, v60, v51 :: v_dual_add_f32 v1, v1, v9
	v_fma_f32 v3, v57, v53, -v3
	v_add_co_u32 v124, vcc_lo, v124, s6
	s_delay_alu instid0(VALU_DEP_3) | instskip(SKIP_4) | instid1(VALU_DEP_4)
	v_fmac_f32_e32 v2, v59, v52
	v_add_f32_e32 v0, v0, v5
	v_mul_f32_e32 v5, v72, v66
	v_dual_add_f32 v1, v1, v4 :: v_dual_mul_f32 v4, v58, v53
	v_add_co_ci_u32_e32 v125, vcc_lo, s7, v125, vcc_lo
	v_add_f32_e32 v0, v0, v3
	s_delay_alu instid0(VALU_DEP_4)
	v_fma_f32 v3, v71, v65, -v5
	v_mul_f32_e32 v5, v78, v64
	v_add_f32_e32 v1, v1, v2
	v_fmac_f32_e32 v4, v57, v54
	v_add_co_u32 v126, vcc_lo, v126, s6
	v_add_f32_e32 v0, v0, v3
	v_fma_f32 v3, v77, v63, -v5
	v_mul_f32_e32 v5, v76, v68
	v_dual_mul_f32 v2, v72, v65 :: v_dual_add_f32 v1, v1, v4
	v_mul_f32_e32 v4, v78, v63
	s_delay_alu instid0(VALU_DEP_4) | instskip(NEXT) | instid1(VALU_DEP_4)
	v_add_f32_e32 v0, v0, v3
	v_fma_f32 v3, v75, v67, -v5
	v_mul_f32_e32 v5, v74, v70
	v_add_co_ci_u32_e32 v127, vcc_lo, s7, v127, vcc_lo
	v_fmac_f32_e32 v4, v77, v64
	v_fmac_f32_e32 v2, v71, v66
	v_add_co_u32 v128, vcc_lo, v128, s6
	v_add_co_ci_u32_e32 v129, vcc_lo, s7, v129, vcc_lo
	s_delay_alu instid0(VALU_DEP_3) | instskip(SKIP_2) | instid1(VALU_DEP_3)
	v_dual_add_f32 v1, v1, v2 :: v_dual_mul_f32 v2, v76, v67
	v_add_co_u32 v130, vcc_lo, v130, s6
	v_add_co_ci_u32_e32 v131, vcc_lo, s7, v131, vcc_lo
	v_dual_add_f32 v1, v1, v4 :: v_dual_add_f32 v0, v0, v3
	v_fma_f32 v3, v73, v69, -v5
	v_add_co_u32 v132, vcc_lo, v132, s6
	v_mul_f32_e32 v5, v74, v69
	v_add_co_ci_u32_e32 v133, vcc_lo, s7, v133, vcc_lo
	s_delay_alu instid0(VALU_DEP_4) | instskip(NEXT) | instid1(VALU_DEP_3)
	v_dual_add_f32 v0, v0, v3 :: v_dual_mul_f32 v3, v94, v80
	v_dual_fmac_f32 v2, v75, v68 :: v_dual_fmac_f32 v5, v73, v70
	v_add_co_u32 v134, vcc_lo, v134, s6
	v_add_co_ci_u32_e32 v135, vcc_lo, s7, v135, vcc_lo
	v_add_co_u32 v136, vcc_lo, v136, s6
	s_delay_alu instid0(VALU_DEP_4) | instskip(SKIP_3) | instid1(VALU_DEP_4)
	v_add_f32_e32 v1, v1, v2
	v_mul_f32_e32 v4, v88, v82
	v_add_co_ci_u32_e32 v137, vcc_lo, s7, v137, vcc_lo
	v_add_co_u32 v138, vcc_lo, v138, s6
	v_add_f32_e32 v1, v1, v5
	v_add_co_ci_u32_e32 v139, vcc_lo, s7, v139, vcc_lo
	v_fma_f32 v2, v87, v81, -v4
	v_mul_f32_e32 v4, v88, v81
	v_add_co_u32 v140, vcc_lo, v140, s6
	v_add_co_ci_u32_e32 v141, vcc_lo, s7, v141, vcc_lo
	v_add_co_u32 v142, vcc_lo, v142, s6
	s_delay_alu instid0(VALU_DEP_4) | instskip(SKIP_3) | instid1(VALU_DEP_4)
	v_dual_fmac_f32 v4, v87, v82 :: v_dual_mul_f32 v5, v92, v84
	v_add_f32_e32 v0, v0, v2
	v_fma_f32 v2, v93, v79, -v3
	v_mul_f32_e32 v3, v94, v79
	v_add_f32_e32 v1, v1, v4
	v_add_co_ci_u32_e32 v143, vcc_lo, s7, v143, vcc_lo
	v_add_co_u32 v144, vcc_lo, v144, s6
	v_add_co_ci_u32_e32 v145, vcc_lo, s7, v145, vcc_lo
	v_add_co_u32 v146, vcc_lo, v146, s6
	v_fmac_f32_e32 v3, v93, v80
	v_add_co_ci_u32_e32 v147, vcc_lo, s7, v147, vcc_lo
	v_add_co_u32 v148, vcc_lo, v148, s6
	v_add_co_ci_u32_e32 v149, vcc_lo, s7, v149, vcc_lo
	s_delay_alu instid0(VALU_DEP_4) | instskip(SKIP_4) | instid1(VALU_DEP_4)
	v_dual_add_f32 v0, v0, v2 :: v_dual_add_f32 v1, v1, v3
	v_mul_f32_e32 v6, v90, v85
	v_add_co_u32 v150, vcc_lo, v150, s6
	v_add_co_ci_u32_e32 v151, vcc_lo, s7, v151, vcc_lo
	v_add_co_u32 v152, vcc_lo, v152, s6
	v_fmac_f32_e32 v6, v89, v86
	v_mul_f32_e32 v2, v92, v83
	v_add_co_ci_u32_e32 v153, vcc_lo, s7, v153, vcc_lo
	v_add_co_u32 v154, vcc_lo, v154, s6
	v_add_co_ci_u32_e32 v155, vcc_lo, s7, v155, vcc_lo
	v_add_co_u32 v156, vcc_lo, v156, s6
	v_fma_f32 v4, v91, v83, -v5
	v_dual_mul_f32 v5, v90, v86 :: v_dual_fmac_f32 v2, v91, v84
	v_add_co_ci_u32_e32 v157, vcc_lo, s7, v157, vcc_lo
	v_add_co_u32 v158, vcc_lo, v158, s6
	v_add_co_ci_u32_e32 v159, vcc_lo, s7, v159, vcc_lo
	v_add_f32_e32 v0, v0, v4
	v_fma_f32 v3, v89, v85, -v5
	v_add_f32_e32 v1, v1, v2
	v_add_co_u32 v160, vcc_lo, v160, s6
	v_add_co_ci_u32_e32 v161, vcc_lo, s7, v161, vcc_lo
	s_delay_alu instid0(VALU_DEP_3)
	v_add_f32_e32 v27, v1, v6
	v_add_co_u32 v162, vcc_lo, v162, s6
	v_add_f32_e32 v26, v0, v3
	v_add_nc_u32_e32 v28, 64, v28
	v_add_co_ci_u32_e32 v163, vcc_lo, s7, v163, vcc_lo
	s_add_i32 s5, s14, 2
	s_add_i32 s1, s14, 1
	;; [unrolled: 1-line block ×3, first 2 shown]
	s_cmp_ge_u32 s5, s28
	s_waitcnt_vscnt null, 0x0
	s_barrier
	buffer_gl0_inv
	s_cbranch_scc1 .LBB117_152
; %bb.151:                              ;   in Loop: Header=BB117_100 Depth=1
	s_mov_b32 s14, s1
	s_delay_alu instid0(SALU_CYCLE_1)
	s_cmp_eq_u32 s15, s14
	s_cselect_b32 s12, s29, 0
	s_and_saveexec_b32 s1, s2
	s_cbranch_execnz .LBB117_96
	s_branch .LBB117_100
.LBB117_152:
	v_cmp_gt_i32_e32 vcc_lo, s10, v25
	v_mad_u32_u24 v0, 0x218, v95, v96
	s_or_b32 s0, s30, vcc_lo
	ds_store_b64 v0, v[26:27]
	s_and_b32 s0, s2, s0
	s_waitcnt lgkmcnt(0)
	s_barrier
	buffer_gl0_inv
	s_and_saveexec_b32 s1, s0
	s_cbranch_execz .LBB117_154
; %bb.153:
	ds_load_2addr_b64 v[0:3], v96 offset1:67
	ds_load_2addr_b64 v[4:7], v96 offset0:134 offset1:201
	v_ashrrev_i32_e32 v25, 31, v24
	s_waitcnt lgkmcnt(1)
	v_dual_add_f32 v0, v2, v0 :: v_dual_add_f32 v1, v3, v1
	s_waitcnt lgkmcnt(0)
	s_delay_alu instid0(VALU_DEP_1) | instskip(SKIP_1) | instid1(VALU_DEP_2)
	v_dual_add_f32 v2, v0, v4 :: v_dual_add_f32 v3, v1, v5
	v_lshlrev_b64 v[0:1], 3, v[24:25]
	v_dual_add_f32 v2, v2, v6 :: v_dual_add_f32 v3, v3, v7
	s_delay_alu instid0(VALU_DEP_2) | instskip(NEXT) | instid1(VALU_DEP_3)
	v_add_co_u32 v0, vcc_lo, s3, v0
	v_add_co_ci_u32_e32 v1, vcc_lo, s11, v1, vcc_lo
	global_store_b64 v[0:1], v[2:3], off
.LBB117_154:
	s_nop 0
	s_sendmsg sendmsg(MSG_DEALLOC_VGPRS)
	s_endpgm
	.section	.rodata,"a",@progbits
	.p2align	6, 0x0
	.amdhsa_kernel _ZL26rocblas_hemvn_kernel_upperILb0ELi64ELi4ELi33ELi32ELi16Ei19rocblas_complex_numIfEPKS1_PS1_EviT6_lT7_lT5_lS6_lS7_lS5_lT8_i
		.amdhsa_group_segment_fixed_size 9600
		.amdhsa_private_segment_fixed_size 0
		.amdhsa_kernarg_size 376
		.amdhsa_user_sgpr_count 14
		.amdhsa_user_sgpr_dispatch_ptr 0
		.amdhsa_user_sgpr_queue_ptr 0
		.amdhsa_user_sgpr_kernarg_segment_ptr 1
		.amdhsa_user_sgpr_dispatch_id 0
		.amdhsa_user_sgpr_private_segment_size 0
		.amdhsa_wavefront_size32 1
		.amdhsa_uses_dynamic_stack 0
		.amdhsa_enable_private_segment 0
		.amdhsa_system_sgpr_workgroup_id_x 1
		.amdhsa_system_sgpr_workgroup_id_y 0
		.amdhsa_system_sgpr_workgroup_id_z 1
		.amdhsa_system_sgpr_workgroup_info 0
		.amdhsa_system_vgpr_workitem_id 1
		.amdhsa_next_free_vgpr 171
		.amdhsa_next_free_sgpr 38
		.amdhsa_reserve_vcc 1
		.amdhsa_float_round_mode_32 0
		.amdhsa_float_round_mode_16_64 0
		.amdhsa_float_denorm_mode_32 3
		.amdhsa_float_denorm_mode_16_64 3
		.amdhsa_dx10_clamp 1
		.amdhsa_ieee_mode 1
		.amdhsa_fp16_overflow 0
		.amdhsa_workgroup_processor_mode 1
		.amdhsa_memory_ordered 1
		.amdhsa_forward_progress 0
		.amdhsa_shared_vgpr_count 0
		.amdhsa_exception_fp_ieee_invalid_op 0
		.amdhsa_exception_fp_denorm_src 0
		.amdhsa_exception_fp_ieee_div_zero 0
		.amdhsa_exception_fp_ieee_overflow 0
		.amdhsa_exception_fp_ieee_underflow 0
		.amdhsa_exception_fp_ieee_inexact 0
		.amdhsa_exception_int_div_zero 0
	.end_amdhsa_kernel
	.section	.text._ZL26rocblas_hemvn_kernel_upperILb0ELi64ELi4ELi33ELi32ELi16Ei19rocblas_complex_numIfEPKS1_PS1_EviT6_lT7_lT5_lS6_lS7_lS5_lT8_i,"axG",@progbits,_ZL26rocblas_hemvn_kernel_upperILb0ELi64ELi4ELi33ELi32ELi16Ei19rocblas_complex_numIfEPKS1_PS1_EviT6_lT7_lT5_lS6_lS7_lS5_lT8_i,comdat
.Lfunc_end117:
	.size	_ZL26rocblas_hemvn_kernel_upperILb0ELi64ELi4ELi33ELi32ELi16Ei19rocblas_complex_numIfEPKS1_PS1_EviT6_lT7_lT5_lS6_lS7_lS5_lT8_i, .Lfunc_end117-_ZL26rocblas_hemvn_kernel_upperILb0ELi64ELi4ELi33ELi32ELi16Ei19rocblas_complex_numIfEPKS1_PS1_EviT6_lT7_lT5_lS6_lS7_lS5_lT8_i
                                        ; -- End function
	.section	.AMDGPU.csdata,"",@progbits
; Kernel info:
; codeLenInByte = 9904
; NumSgprs: 40
; NumVgprs: 171
; ScratchSize: 0
; MemoryBound: 1
; FloatMode: 240
; IeeeMode: 1
; LDSByteSize: 9600 bytes/workgroup (compile time only)
; SGPRBlocks: 4
; VGPRBlocks: 21
; NumSGPRsForWavesPerEU: 40
; NumVGPRsForWavesPerEU: 171
; Occupancy: 8
; WaveLimiterHint : 1
; COMPUTE_PGM_RSRC2:SCRATCH_EN: 0
; COMPUTE_PGM_RSRC2:USER_SGPR: 14
; COMPUTE_PGM_RSRC2:TRAP_HANDLER: 0
; COMPUTE_PGM_RSRC2:TGID_X_EN: 1
; COMPUTE_PGM_RSRC2:TGID_Y_EN: 0
; COMPUTE_PGM_RSRC2:TGID_Z_EN: 1
; COMPUTE_PGM_RSRC2:TIDIG_COMP_CNT: 1
	.section	.text._ZL26rocblas_hemvn_kernel_lowerILb0ELi64ELi4ELi33ELi32ELi16ElPK19rocblas_complex_numIfES3_PS1_EviT6_lT7_lT5_lS6_lS7_lS5_lT8_i,"axG",@progbits,_ZL26rocblas_hemvn_kernel_lowerILb0ELi64ELi4ELi33ELi32ELi16ElPK19rocblas_complex_numIfES3_PS1_EviT6_lT7_lT5_lS6_lS7_lS5_lT8_i,comdat
	.globl	_ZL26rocblas_hemvn_kernel_lowerILb0ELi64ELi4ELi33ELi32ELi16ElPK19rocblas_complex_numIfES3_PS1_EviT6_lT7_lT5_lS6_lS7_lS5_lT8_i ; -- Begin function _ZL26rocblas_hemvn_kernel_lowerILb0ELi64ELi4ELi33ELi32ELi16ElPK19rocblas_complex_numIfES3_PS1_EviT6_lT7_lT5_lS6_lS7_lS5_lT8_i
	.p2align	8
	.type	_ZL26rocblas_hemvn_kernel_lowerILb0ELi64ELi4ELi33ELi32ELi16ElPK19rocblas_complex_numIfES3_PS1_EviT6_lT7_lT5_lS6_lS7_lS5_lT8_i,@function
_ZL26rocblas_hemvn_kernel_lowerILb0ELi64ELi4ELi33ELi32ELi16ElPK19rocblas_complex_numIfES3_PS1_EviT6_lT7_lT5_lS6_lS7_lS5_lT8_i: ; @_ZL26rocblas_hemvn_kernel_lowerILb0ELi64ELi4ELi33ELi32ELi16ElPK19rocblas_complex_numIfES3_PS1_EviT6_lT7_lT5_lS6_lS7_lS5_lT8_i
; %bb.0:
	s_load_b64 s[4:5], s[0:1], 0x84
	s_add_u32 s2, s0, 0x78
	s_addc_u32 s3, s1, 0
	s_waitcnt lgkmcnt(0)
	s_lshr_b32 s6, s4, 16
	s_and_b32 s4, s4, 0xffff
	s_and_b32 s5, s5, 0xffff
	s_mul_i32 s4, s6, s4
	s_delay_alu instid0(SALU_CYCLE_1) | instskip(NEXT) | instid1(SALU_CYCLE_1)
	s_mul_i32 s4, s4, s5
	s_cmpk_lg_i32 s4, 0x100
	s_cbranch_scc1 .LBB118_103
; %bb.1:
	s_load_b512 s[16:31], s[0:1], 0x8
	s_waitcnt lgkmcnt(0)
	s_mul_i32 s4, s15, s19
	s_mul_hi_u32 s5, s15, s18
	s_delay_alu instid0(SALU_CYCLE_1) | instskip(SKIP_1) | instid1(SALU_CYCLE_1)
	s_add_i32 s5, s5, s4
	s_mul_i32 s4, s15, s18
	s_lshl_b64 s[4:5], s[4:5], 3
	s_delay_alu instid0(SALU_CYCLE_1)
	s_add_u32 s4, s16, s4
	s_addc_u32 s5, s17, s5
	s_load_b64 s[4:5], s[4:5], 0x0
	s_clause 0x1
	s_load_b64 s[10:11], s[0:1], 0x68
	s_load_b256 s[36:43], s[0:1], 0x48
	s_waitcnt lgkmcnt(0)
	s_or_b32 s4, s4, s5
	s_mov_b32 s5, -1
	s_bitset0_b32 s4, 31
	s_delay_alu instid0(SALU_CYCLE_1) | instskip(SKIP_1) | instid1(SALU_CYCLE_1)
	s_cmp_lg_u32 s4, 0
	s_cselect_b32 s4, -1, 0
	s_and_b32 vcc_lo, exec_lo, s4
	s_cbranch_vccnz .LBB118_3
; %bb.2:
	s_mul_i32 s5, s15, s43
	s_mul_hi_u32 s7, s15, s42
	s_mul_i32 s6, s15, s42
	s_add_i32 s7, s7, s5
	s_delay_alu instid0(SALU_CYCLE_1) | instskip(NEXT) | instid1(SALU_CYCLE_1)
	s_lshl_b64 s[6:7], s[6:7], 3
	s_add_u32 s6, s40, s6
	s_addc_u32 s7, s41, s7
	s_load_b64 s[6:7], s[6:7], 0x0
	s_waitcnt lgkmcnt(0)
	v_cmp_neq_f32_e64 s5, s6, 1.0
	v_cmp_neq_f32_e64 s6, s7, 0
	s_delay_alu instid0(VALU_DEP_1)
	s_or_b32 s5, s5, s6
.LBB118_3:
	s_delay_alu instid0(SALU_CYCLE_1)
	s_and_not1_b32 vcc_lo, exec_lo, s5
	s_cbranch_vccnz .LBB118_103
; %bb.4:
	s_and_not1_b32 vcc_lo, exec_lo, s4
	s_cbranch_vccnz .LBB118_103
; %bb.5:
	s_mul_i32 s5, s15, s39
	s_mul_hi_u32 s6, s15, s38
	s_mul_i32 s4, s15, s38
	s_add_i32 s5, s6, s5
	s_load_b32 s33, s[0:1], 0x0
	s_lshl_b64 s[4:5], s[4:5], 3
	v_and_b32_e32 v26, 0x3ff, v0
	s_add_u32 s4, s28, s4
	s_addc_u32 s5, s29, s5
	s_lshl_b64 s[0:1], s[30:31], 3
	s_load_b32 s28, s[2:3], 0x0
	s_add_u32 s4, s4, s0
	s_addc_u32 s1, s5, s1
	s_lshl_b32 s12, s14, 6
	v_bfe_u32 v72, v0, 10, 10
	v_add_nc_u32_e32 v16, s12, v26
	s_delay_alu instid0(VALU_DEP_1)
	v_ashrrev_i32_e32 v17, 31, v16
	v_mul_lo_u32 v3, v16, s37
	v_mad_u64_u32 v[1:2], null, v16, s36, 0
	s_waitcnt lgkmcnt(0)
	s_ashr_i32 s29, s33, 31
	v_mul_lo_u32 v4, v17, s36
	s_lshr_b32 s0, s29, 26
	s_delay_alu instid0(SALU_CYCLE_1) | instskip(SKIP_4) | instid1(VALU_DEP_2)
	s_add_i32 s2, s33, s0
	v_cmp_ne_u32_e64 s0, 0, v72
	s_and_not1_b32 s2, s2, 63
	s_add_i32 s3, s28, -1
	s_sub_i32 s5, s33, s2
	v_add3_u32 v2, v2, v3, v4
	s_cmp_eq_u32 s14, s3
	s_mov_b32 s2, -1
	s_cselect_b32 s16, s5, 0
	s_delay_alu instid0(VALU_DEP_1) | instskip(NEXT) | instid1(VALU_DEP_1)
	v_lshlrev_b64 v[0:1], 3, v[1:2]
	v_add_co_u32 v20, vcc_lo, s4, v0
	s_delay_alu instid0(VALU_DEP_2) | instskip(SKIP_1) | instid1(VALU_DEP_1)
	v_add_co_ci_u32_e32 v21, vcc_lo, s1, v1, vcc_lo
	v_cmp_eq_u32_e64 s1, 0, v72
	s_and_saveexec_b32 s3, s1
	s_cbranch_execz .LBB118_10
; %bb.6:
	v_cmp_le_i32_e32 vcc_lo, s16, v26
	s_cmp_lg_u32 s16, 0
	v_lshl_add_u32 v0, v26, 3, 0x2380
	s_cselect_b32 s4, -1, 0
	s_delay_alu instid0(SALU_CYCLE_1) | instskip(NEXT) | instid1(SALU_CYCLE_1)
	s_and_b32 s4, s4, vcc_lo
	s_and_saveexec_b32 s5, s4
	s_delay_alu instid0(SALU_CYCLE_1)
	s_xor_b32 s4, exec_lo, s5
	s_cbranch_execz .LBB118_8
; %bb.7:
	v_mov_b32_e32 v1, 0
	s_delay_alu instid0(VALU_DEP_1)
	v_mov_b32_e32 v2, v1
	ds_store_b64 v0, v[1:2]
                                        ; implicit-def: $vgpr0
.LBB118_8:
	s_and_not1_saveexec_b32 s4, s4
	s_cbranch_execz .LBB118_10
; %bb.9:
	global_load_b64 v[1:2], v[20:21], off
	s_waitcnt vmcnt(0)
	ds_store_b64 v0, v[1:2]
.LBB118_10:
	s_or_b32 exec_lo, exec_lo, s3
	v_lshl_add_u32 v27, v72, 6, v26
	v_dual_mov_b32 v1, 0 :: v_dual_and_b32 v0, 31, v26
	s_mul_i32 s3, s15, s27
	s_mul_hi_u32 s5, s15, s26
	s_delay_alu instid0(VALU_DEP_2)
	v_lshrrev_b32_e32 v5, 5, v27
	s_mul_i32 s4, s15, s26
	s_add_i32 s5, s5, s3
	s_mul_i32 s7, s12, s25
	s_lshl_b64 s[4:5], s[4:5], 3
	v_mad_u64_u32 v[2:3], null, v5, s24, v[0:1]
	s_add_u32 s3, s20, s4
	s_addc_u32 s6, s21, s5
	s_lshl_b64 s[4:5], s[22:23], 3
	s_mul_hi_u32 s8, s12, s24
	s_add_u32 s3, s3, s4
	s_addc_u32 s6, s6, s5
	s_delay_alu instid0(VALU_DEP_1) | instskip(SKIP_1) | instid1(SALU_CYCLE_1)
	v_mov_b32_e32 v1, v3
	s_ashr_i32 s13, s12, 31
	s_lshl_b64 s[4:5], s[12:13], 3
	s_mul_i32 s9, s13, s24
	s_delay_alu instid0(VALU_DEP_1)
	v_mad_u64_u32 v[3:4], null, v5, s25, v[1:2]
	s_add_u32 s3, s3, s4
	s_addc_u32 s6, s6, s5
	s_add_i32 s5, s8, s7
	s_mul_i32 s4, s12, s24
	s_add_i32 s5, s5, s9
	s_delay_alu instid0(SALU_CYCLE_1) | instskip(NEXT) | instid1(VALU_DEP_1)
	s_lshl_b64 s[18:19], s[4:5], 3
	v_lshlrev_b64 v[22:23], 3, v[2:3]
	s_add_u32 s3, s18, s3
	s_addc_u32 s4, s19, s6
	s_cmp_lg_u32 s16, 0
	s_cselect_b32 s22, -1, 0
	s_delay_alu instid0(VALU_DEP_1)
	v_add_co_u32 v1, vcc_lo, s3, v22
	v_add_co_ci_u32_e32 v2, vcc_lo, s4, v23, vcc_lo
	s_cmp_eq_u32 s16, 0
	s_cselect_b32 s7, -1, 0
	s_and_b32 vcc_lo, exec_lo, s22
	s_cbranch_vccnz .LBB118_12
; %bb.11:
	v_mad_u64_u32 v[3:4], null, 0xc0, s24, v[1:2]
	s_lshl_b64 s[2:3], s[24:25], 6
	s_delay_alu instid0(VALU_DEP_1) | instskip(SKIP_2) | instid1(VALU_DEP_2)
	v_mad_u64_u32 v[6:7], null, 0xc0, s25, v[4:5]
	v_add_co_u32 v7, vcc_lo, v1, s2
	v_add_co_ci_u32_e32 v8, vcc_lo, s3, v2, vcc_lo
	v_add_co_u32 v9, vcc_lo, v7, s2
	s_delay_alu instid0(VALU_DEP_2)
	v_add_co_ci_u32_e32 v10, vcc_lo, s3, v8, vcc_lo
	v_mov_b32_e32 v4, v6
	s_clause 0x1
	global_load_b64 v[11:12], v[1:2], off
	global_load_b64 v[6:7], v[7:8], off
	;; [unrolled: 1-line block ×4, first 2 shown]
	v_mul_u32_u24_e32 v10, 33, v5
	s_mov_b32 s2, 0
	s_delay_alu instid0(VALU_DEP_1)
	v_add_lshl_u32 v10, v10, v0, 3
	s_waitcnt vmcnt(3)
	ds_store_b64 v10, v[11:12]
	s_waitcnt vmcnt(2)
	ds_store_b64 v10, v[6:7] offset:2112
	s_waitcnt vmcnt(1)
	ds_store_b64 v10, v[8:9] offset:4224
	;; [unrolled: 2-line block ×3, first 2 shown]
.LBB118_12:
	s_and_not1_b32 vcc_lo, exec_lo, s2
	s_cbranch_vccnz .LBB118_30
; %bb.13:
	v_lshlrev_b32_e32 v6, 3, v0
	s_ashr_i32 s17, s16, 31
	v_mul_u32_u24_e32 v7, 33, v5
	s_lshl_b64 s[4:5], s[16:17], 3
	v_cmp_le_i32_e64 s2, s16, v5
	v_sub_co_u32 v3, vcc_lo, v1, v6
	v_subrev_co_ci_u32_e32 v4, vcc_lo, 0, v2, vcc_lo
	v_add_lshl_u32 v7, v7, v0, 3
	s_delay_alu instid0(VALU_DEP_3) | instskip(NEXT) | instid1(VALU_DEP_3)
	v_add_co_u32 v3, vcc_lo, v3, s4
	v_add_co_ci_u32_e32 v4, vcc_lo, s5, v4, vcc_lo
	s_delay_alu instid0(VALU_DEP_2) | instskip(NEXT) | instid1(VALU_DEP_2)
	v_add_co_u32 v3, vcc_lo, v3, -8
	v_add_co_ci_u32_e32 v4, vcc_lo, -1, v4, vcc_lo
	v_cmp_gt_i32_e32 vcc_lo, s16, v0
	s_delay_alu instid0(VALU_DEP_2) | instskip(SKIP_1) | instid1(SALU_CYCLE_1)
	v_dual_cndmask_b32 v3, v3, v1 :: v_dual_cndmask_b32 v4, v4, v2
	s_and_saveexec_b32 s3, s2
	s_xor_b32 s2, exec_lo, s3
	s_cbranch_execz .LBB118_15
; %bb.14:
	v_mov_b32_e32 v8, 0
	s_delay_alu instid0(VALU_DEP_1)
	v_mov_b32_e32 v9, v8
	ds_store_b64 v7, v[8:9]
.LBB118_15:
	s_and_not1_saveexec_b32 s2, s2
	s_cbranch_execz .LBB118_17
; %bb.16:
	global_load_b64 v[8:9], v[3:4], off
	s_waitcnt vmcnt(0)
	ds_store_b64 v7, v[8:9]
.LBB118_17:
	s_or_b32 exec_lo, exec_lo, s2
	v_add_nc_u32_e32 v8, 8, v5
	s_delay_alu instid0(VALU_DEP_1) | instskip(NEXT) | instid1(VALU_DEP_1)
	v_cmp_le_i32_e64 s2, s16, v8
	s_and_saveexec_b32 s3, s2
	s_delay_alu instid0(SALU_CYCLE_1)
	s_xor_b32 s2, exec_lo, s3
	s_cbranch_execz .LBB118_19
; %bb.18:
	v_mul_u32_u24_e32 v9, 33, v8
	v_mov_b32_e32 v8, 0
	s_delay_alu instid0(VALU_DEP_2) | instskip(NEXT) | instid1(VALU_DEP_2)
	v_add_lshl_u32 v10, v9, v0, 3
	v_mov_b32_e32 v9, v8
	ds_store_b64 v10, v[8:9]
.LBB118_19:
	s_and_not1_saveexec_b32 s3, s2
	s_cbranch_execz .LBB118_21
; %bb.20:
	s_lshl_b64 s[8:9], s[24:25], 6
	s_delay_alu instid0(SALU_CYCLE_1) | instskip(NEXT) | instid1(VALU_DEP_1)
	v_add_co_u32 v8, s2, v3, s8
	v_add_co_ci_u32_e64 v9, s2, s9, v4, s2
	global_load_b64 v[8:9], v[8:9], off
	s_waitcnt vmcnt(0)
	ds_store_b64 v7, v[8:9] offset:2112
.LBB118_21:
	s_or_b32 exec_lo, exec_lo, s3
	v_add_nc_u32_e32 v8, 16, v5
	s_delay_alu instid0(VALU_DEP_1) | instskip(NEXT) | instid1(VALU_DEP_1)
	v_cmp_le_i32_e64 s2, s16, v8
	s_and_saveexec_b32 s3, s2
	s_delay_alu instid0(SALU_CYCLE_1)
	s_xor_b32 s2, exec_lo, s3
	s_cbranch_execz .LBB118_23
; %bb.22:
	v_mov_b32_e32 v8, 0
	s_delay_alu instid0(VALU_DEP_1)
	v_mov_b32_e32 v9, v8
	ds_store_b64 v7, v[8:9] offset:4224
.LBB118_23:
	s_and_not1_saveexec_b32 s3, s2
	s_cbranch_execz .LBB118_25
; %bb.24:
	s_lshl_b64 s[8:9], s[24:25], 7
	s_delay_alu instid0(SALU_CYCLE_1) | instskip(NEXT) | instid1(VALU_DEP_1)
	v_add_co_u32 v8, s2, v3, s8
	v_add_co_ci_u32_e64 v9, s2, s9, v4, s2
	global_load_b64 v[8:9], v[8:9], off
	s_waitcnt vmcnt(0)
	ds_store_b64 v7, v[8:9] offset:4224
.LBB118_25:
	s_or_b32 exec_lo, exec_lo, s3
	v_add_nc_u32_e32 v8, 24, v5
	s_delay_alu instid0(VALU_DEP_1) | instskip(NEXT) | instid1(VALU_DEP_1)
	v_cmp_le_i32_e64 s2, s16, v8
	s_and_saveexec_b32 s3, s2
	s_delay_alu instid0(SALU_CYCLE_1)
	s_xor_b32 s2, exec_lo, s3
	s_cbranch_execz .LBB118_27
; %bb.26:
	v_mov_b32_e32 v8, 0
	s_delay_alu instid0(VALU_DEP_1)
	v_mov_b32_e32 v9, v8
	ds_store_b64 v7, v[8:9] offset:6336
                                        ; implicit-def: $vgpr7
.LBB118_27:
	s_and_not1_saveexec_b32 s2, s2
	s_cbranch_execz .LBB118_29
; %bb.28:
	v_mad_u64_u32 v[8:9], null, 0xc0, s24, v[3:4]
	s_delay_alu instid0(VALU_DEP_1) | instskip(NEXT) | instid1(VALU_DEP_1)
	v_mad_u64_u32 v[10:11], null, 0xc0, s25, v[9:10]
	v_mov_b32_e32 v9, v10
	global_load_b64 v[8:9], v[8:9], off
	s_waitcnt vmcnt(0)
	ds_store_b64 v7, v[8:9] offset:6336
.LBB118_29:
	s_or_b32 exec_lo, exec_lo, s2
	v_add_co_u32 v3, s2, v3, v6
	s_delay_alu instid0(VALU_DEP_1) | instskip(NEXT) | instid1(VALU_DEP_2)
	v_add_co_ci_u32_e64 v4, s2, 0, v4, s2
	v_sub_co_u32 v3, s2, v3, s4
	s_delay_alu instid0(VALU_DEP_1) | instskip(NEXT) | instid1(VALU_DEP_2)
	v_subrev_co_ci_u32_e64 v4, s2, s5, v4, s2
	v_add_co_u32 v3, s2, v3, 8
	s_delay_alu instid0(VALU_DEP_1) | instskip(NEXT) | instid1(VALU_DEP_1)
	v_add_co_ci_u32_e64 v4, s2, 0, v4, s2
	v_dual_cndmask_b32 v1, v3, v1 :: v_dual_cndmask_b32 v2, v4, v2
.LBB118_30:
	v_lshlrev_b32_e32 v3, 2, v5
	v_mul_u32_u24_e32 v28, 33, v0
	v_mul_u32_u24_e32 v7, 0x84, v5
	s_waitcnt lgkmcnt(0)
	s_barrier
	v_cmp_lt_u32_e64 s3, v3, v0
	v_add_lshl_u32 v4, v3, v28, 3
	buffer_gl0_inv
	s_and_saveexec_b32 s2, s3
	s_cbranch_execz .LBB118_32
; %bb.31:
	v_add_lshl_u32 v6, v7, v0, 3
	ds_load_b64 v[8:9], v6
	s_waitcnt lgkmcnt(0)
	ds_store_b64 v4, v[8:9]
.LBB118_32:
	s_or_b32 exec_lo, exec_lo, s2
	v_or_b32_e32 v6, 1, v3
	s_delay_alu instid0(VALU_DEP_1) | instskip(NEXT) | instid1(VALU_DEP_1)
	v_cmp_lt_u32_e64 s4, v6, v0
	s_and_saveexec_b32 s2, s4
	s_cbranch_execz .LBB118_34
; %bb.33:
	v_mul_u32_u24_e32 v6, 33, v6
	s_delay_alu instid0(VALU_DEP_1)
	v_add_lshl_u32 v6, v6, v0, 3
	ds_load_b64 v[8:9], v6
	s_waitcnt lgkmcnt(0)
	ds_store_b64 v4, v[8:9] offset:8
.LBB118_34:
	s_or_b32 exec_lo, exec_lo, s2
	v_or_b32_e32 v6, 2, v3
	s_delay_alu instid0(VALU_DEP_1) | instskip(NEXT) | instid1(VALU_DEP_1)
	v_cmp_lt_u32_e64 s5, v6, v0
	s_and_saveexec_b32 s2, s5
	s_cbranch_execz .LBB118_36
; %bb.35:
	v_mul_u32_u24_e32 v6, 33, v6
	s_delay_alu instid0(VALU_DEP_1)
	v_add_lshl_u32 v6, v6, v0, 3
	ds_load_b64 v[8:9], v6
	s_waitcnt lgkmcnt(0)
	ds_store_b64 v4, v[8:9] offset:16
.LBB118_36:
	s_or_b32 exec_lo, exec_lo, s2
	v_or_b32_e32 v6, 3, v3
	s_delay_alu instid0(VALU_DEP_1) | instskip(SKIP_1) | instid1(VALU_DEP_2)
	v_mad_u32_u24 v8, v6, 33, v0
	v_cmp_lt_u32_e64 s6, v6, v0
	v_lshlrev_b32_e32 v6, 3, v8
	s_delay_alu instid0(VALU_DEP_2)
	s_and_saveexec_b32 s2, s6
	s_cbranch_execz .LBB118_38
; %bb.37:
	ds_load_b64 v[8:9], v6
	s_waitcnt lgkmcnt(0)
	ds_store_b64 v4, v[8:9] offset:24
.LBB118_38:
	s_or_b32 exec_lo, exec_lo, s2
	v_add_lshl_u32 v7, v7, v0, 3
	v_lshlrev_b32_e32 v3, 3, v3
	v_add_nc_u32_e32 v8, 0xfffffdf0, v6
	s_waitcnt lgkmcnt(0)
	s_barrier
	buffer_gl0_inv
	ds_load_b64 v[13:14], v7
	ds_load_b128 v[9:12], v3 offset:9088
	ds_load_2addr_b64 v[29:32], v8 offset1:33
	ds_load_b128 v[33:36], v3 offset:9104
	ds_load_b64 v[18:19], v6
	v_cmp_gt_u32_e64 s2, 32, v27
	s_waitcnt lgkmcnt(0)
	s_barrier
	buffer_gl0_inv
	v_mul_f32_e32 v15, v10, v14
	v_mul_f32_e32 v14, v9, v14
	;; [unrolled: 1-line block ×3, first 2 shown]
	v_dual_mul_f32 v25, v11, v30 :: v_dual_mul_f32 v30, v34, v32
	v_mul_f32_e32 v32, v33, v32
	v_fma_f32 v9, v9, v13, -v15
	v_dual_fmac_f32 v14, v10, v13 :: v_dual_mul_f32 v13, v35, v19
	s_delay_alu instid0(VALU_DEP_4) | instskip(NEXT) | instid1(VALU_DEP_3)
	v_fmac_f32_e32 v25, v12, v29
	v_add_f32_e32 v9, 0, v9
	v_fma_f32 v11, v11, v29, -v24
	s_delay_alu instid0(VALU_DEP_4) | instskip(SKIP_2) | instid1(VALU_DEP_4)
	v_add_f32_e32 v12, 0, v14
	v_fma_f32 v14, v33, v31, -v30
	v_dual_fmac_f32 v32, v34, v31 :: v_dual_fmac_f32 v13, v36, v18
	v_add_f32_e32 v9, v9, v11
	v_mul_f32_e32 v10, v36, v19
	v_add_f32_e32 v11, v12, v25
	v_add_lshl_u32 v29, v5, v28, 3
	v_mov_b32_e32 v19, 0
	v_add_f32_e32 v9, v9, v14
	v_fma_f32 v10, v35, v18, -v10
	v_dual_add_f32 v11, v11, v32 :: v_dual_mov_b32 v18, 0
	s_delay_alu instid0(VALU_DEP_1)
	v_dual_add_f32 v9, v9, v10 :: v_dual_add_f32 v10, v11, v13
	ds_store_b64 v29, v[9:10]
	s_waitcnt lgkmcnt(0)
	s_barrier
	buffer_gl0_inv
	s_and_saveexec_b32 s8, s2
	s_cbranch_execz .LBB118_40
; %bb.39:
	v_lshlrev_b32_e32 v13, 3, v28
	ds_load_2addr_b64 v[9:12], v13 offset1:7
	ds_load_2addr_b64 v[30:33], v13 offset0:1 offset1:2
	ds_load_2addr_b64 v[34:37], v13 offset0:3 offset1:4
	;; [unrolled: 1-line block ×3, first 2 shown]
	s_waitcnt lgkmcnt(2)
	v_dual_add_f32 v10, v31, v10 :: v_dual_add_f32 v9, v30, v9
	s_delay_alu instid0(VALU_DEP_1) | instskip(SKIP_1) | instid1(VALU_DEP_1)
	v_dual_add_f32 v10, v10, v33 :: v_dual_add_f32 v9, v9, v32
	s_waitcnt lgkmcnt(1)
	v_dual_add_f32 v10, v10, v35 :: v_dual_add_f32 v9, v9, v34
	s_delay_alu instid0(VALU_DEP_1) | instskip(SKIP_1) | instid1(VALU_DEP_1)
	v_dual_add_f32 v10, v10, v37 :: v_dual_add_f32 v9, v9, v36
	s_waitcnt lgkmcnt(0)
	v_dual_add_f32 v10, v10, v39 :: v_dual_add_f32 v9, v9, v38
	s_delay_alu instid0(VALU_DEP_1) | instskip(NEXT) | instid1(VALU_DEP_1)
	v_dual_add_f32 v10, v10, v41 :: v_dual_add_f32 v9, v9, v40
	v_dual_add_f32 v19, v10, v12 :: v_dual_add_f32 v18, v9, v11
.LBB118_40:
	s_or_b32 exec_lo, exec_lo, s8
	s_lshl_b64 s[8:9], s[24:25], 8
	v_cndmask_b32_e64 v9, 0, 1, s7
	v_add_co_u32 v1, vcc_lo, v1, s8
	v_add_co_ci_u32_e32 v2, vcc_lo, s9, v2, vcc_lo
	s_delay_alu instid0(VALU_DEP_2) | instskip(NEXT) | instid1(VALU_DEP_2)
	v_add_co_u32 v10, vcc_lo, 0x100, v1
	v_add_co_ci_u32_e32 v11, vcc_lo, 0, v2, vcc_lo
	s_and_not1_b32 vcc_lo, exec_lo, s7
	s_barrier
	buffer_gl0_inv
	s_cbranch_vccnz .LBB118_42
; %bb.41:
	v_mad_u64_u32 v[12:13], null, 0xc0, s24, v[1:2]
	s_lshl_b64 s[20:21], s[24:25], 6
	s_delay_alu instid0(SALU_CYCLE_1) | instskip(SKIP_1) | instid1(VALU_DEP_3)
	v_add_co_u32 v24, vcc_lo, v1, s20
	v_add_co_ci_u32_e32 v25, vcc_lo, s21, v2, vcc_lo
	v_mad_u64_u32 v[14:15], null, 0xc0, s25, v[13:14]
	s_delay_alu instid0(VALU_DEP_3) | instskip(NEXT) | instid1(VALU_DEP_3)
	v_add_co_u32 v30, vcc_lo, v24, s20
	v_add_co_ci_u32_e32 v31, vcc_lo, s21, v25, vcc_lo
	s_delay_alu instid0(VALU_DEP_3)
	v_mov_b32_e32 v13, v14
	s_clause 0x3
	global_load_b64 v[1:2], v[1:2], off offset:256
	global_load_b64 v[14:15], v[24:25], off offset:256
	;; [unrolled: 1-line block ×4, first 2 shown]
	v_mul_u32_u24_e32 v30, 33, v5
	s_delay_alu instid0(VALU_DEP_1)
	v_add_lshl_u32 v30, v30, v0, 3
	s_waitcnt vmcnt(3)
	ds_store_b64 v30, v[1:2]
	s_waitcnt vmcnt(2)
	ds_store_b64 v30, v[14:15] offset:2112
	s_waitcnt vmcnt(1)
	ds_store_b64 v30, v[24:25] offset:4224
	;; [unrolled: 2-line block ×3, first 2 shown]
	s_cbranch_execz .LBB118_43
	s_branch .LBB118_60
.LBB118_42:
.LBB118_43:
	v_lshlrev_b32_e32 v12, 3, v0
	s_ashr_i32 s17, s16, 31
	v_or_b32_e32 v13, 32, v0
	s_lshl_b64 s[20:21], s[16:17], 3
	s_sub_i32 s17, s16, 32
	v_sub_co_u32 v1, vcc_lo, v10, v12
	v_subrev_co_ci_u32_e32 v2, vcc_lo, 0, v11, vcc_lo
	v_cmp_le_i32_e64 s7, s17, v5
	s_delay_alu instid0(VALU_DEP_3) | instskip(NEXT) | instid1(VALU_DEP_3)
	v_add_co_u32 v1, vcc_lo, v1, s20
	v_add_co_ci_u32_e32 v2, vcc_lo, s21, v2, vcc_lo
	s_delay_alu instid0(VALU_DEP_2) | instskip(NEXT) | instid1(VALU_DEP_2)
	v_add_co_u32 v1, vcc_lo, 0xfffffef8, v1
	v_add_co_ci_u32_e32 v2, vcc_lo, -1, v2, vcc_lo
	v_cmp_gt_i32_e32 vcc_lo, s16, v13
	v_mul_u32_u24_e32 v13, 33, v5
	s_delay_alu instid0(VALU_DEP_3) | instskip(NEXT) | instid1(VALU_DEP_2)
	v_dual_cndmask_b32 v1, v1, v10 :: v_dual_cndmask_b32 v2, v2, v11
	v_add_lshl_u32 v13, v13, v0, 3
	s_and_saveexec_b32 s23, s7
	s_delay_alu instid0(SALU_CYCLE_1)
	s_xor_b32 s7, exec_lo, s23
	s_cbranch_execz .LBB118_45
; %bb.44:
	v_mov_b32_e32 v14, 0
	s_delay_alu instid0(VALU_DEP_1)
	v_mov_b32_e32 v15, v14
	ds_store_b64 v13, v[14:15]
.LBB118_45:
	s_and_not1_saveexec_b32 s7, s7
	s_cbranch_execz .LBB118_47
; %bb.46:
	global_load_b64 v[14:15], v[1:2], off
	s_waitcnt vmcnt(0)
	ds_store_b64 v13, v[14:15]
.LBB118_47:
	s_or_b32 exec_lo, exec_lo, s7
	v_add_nc_u32_e32 v14, 8, v5
	s_delay_alu instid0(VALU_DEP_1) | instskip(NEXT) | instid1(VALU_DEP_1)
	v_cmp_le_i32_e64 s7, s17, v14
	s_and_saveexec_b32 s23, s7
	s_delay_alu instid0(SALU_CYCLE_1)
	s_xor_b32 s7, exec_lo, s23
	s_cbranch_execz .LBB118_49
; %bb.48:
	v_mul_u32_u24_e32 v15, 33, v14
	v_mov_b32_e32 v14, 0
	s_delay_alu instid0(VALU_DEP_2) | instskip(NEXT) | instid1(VALU_DEP_2)
	v_add_lshl_u32 v24, v15, v0, 3
	v_mov_b32_e32 v15, v14
	ds_store_b64 v24, v[14:15]
.LBB118_49:
	s_and_not1_saveexec_b32 s23, s7
	s_cbranch_execz .LBB118_51
; %bb.50:
	s_lshl_b64 s[26:27], s[24:25], 6
	s_delay_alu instid0(SALU_CYCLE_1) | instskip(NEXT) | instid1(VALU_DEP_1)
	v_add_co_u32 v14, s7, v1, s26
	v_add_co_ci_u32_e64 v15, s7, s27, v2, s7
	global_load_b64 v[14:15], v[14:15], off
	s_waitcnt vmcnt(0)
	ds_store_b64 v13, v[14:15] offset:2112
.LBB118_51:
	s_or_b32 exec_lo, exec_lo, s23
	v_add_nc_u32_e32 v14, 16, v5
	s_delay_alu instid0(VALU_DEP_1) | instskip(NEXT) | instid1(VALU_DEP_1)
	v_cmp_le_i32_e64 s7, s17, v14
	s_and_saveexec_b32 s23, s7
	s_delay_alu instid0(SALU_CYCLE_1)
	s_xor_b32 s7, exec_lo, s23
	s_cbranch_execz .LBB118_53
; %bb.52:
	v_mov_b32_e32 v14, 0
	s_delay_alu instid0(VALU_DEP_1)
	v_mov_b32_e32 v15, v14
	ds_store_b64 v13, v[14:15] offset:4224
.LBB118_53:
	s_and_not1_saveexec_b32 s23, s7
	s_cbranch_execz .LBB118_55
; %bb.54:
	s_lshl_b64 s[26:27], s[24:25], 7
	s_delay_alu instid0(SALU_CYCLE_1) | instskip(NEXT) | instid1(VALU_DEP_1)
	v_add_co_u32 v14, s7, v1, s26
	v_add_co_ci_u32_e64 v15, s7, s27, v2, s7
	global_load_b64 v[14:15], v[14:15], off
	s_waitcnt vmcnt(0)
	ds_store_b64 v13, v[14:15] offset:4224
.LBB118_55:
	s_or_b32 exec_lo, exec_lo, s23
	v_add_nc_u32_e32 v14, 24, v5
	s_delay_alu instid0(VALU_DEP_1) | instskip(NEXT) | instid1(VALU_DEP_1)
	v_cmp_le_i32_e64 s7, s17, v14
	s_and_saveexec_b32 s17, s7
	s_delay_alu instid0(SALU_CYCLE_1)
	s_xor_b32 s7, exec_lo, s17
	s_cbranch_execz .LBB118_57
; %bb.56:
	v_mov_b32_e32 v14, 0
	s_delay_alu instid0(VALU_DEP_1)
	v_mov_b32_e32 v15, v14
	ds_store_b64 v13, v[14:15] offset:6336
                                        ; implicit-def: $vgpr13
.LBB118_57:
	s_and_not1_saveexec_b32 s7, s7
	s_cbranch_execz .LBB118_59
; %bb.58:
	v_mad_u64_u32 v[14:15], null, 0xc0, s24, v[1:2]
	s_delay_alu instid0(VALU_DEP_1) | instskip(NEXT) | instid1(VALU_DEP_1)
	v_mad_u64_u32 v[24:25], null, 0xc0, s25, v[15:16]
	v_mov_b32_e32 v15, v24
	global_load_b64 v[14:15], v[14:15], off
	s_waitcnt vmcnt(0)
	ds_store_b64 v13, v[14:15] offset:6336
.LBB118_59:
	s_or_b32 exec_lo, exec_lo, s7
	v_add_co_u32 v1, s7, v1, v12
	s_delay_alu instid0(VALU_DEP_1) | instskip(NEXT) | instid1(VALU_DEP_2)
	v_add_co_ci_u32_e64 v2, s7, 0, v2, s7
	v_sub_co_u32 v1, s7, v1, s20
	s_delay_alu instid0(VALU_DEP_1) | instskip(NEXT) | instid1(VALU_DEP_2)
	v_subrev_co_ci_u32_e64 v2, s7, s21, v2, s7
	v_add_co_u32 v1, s7, 0x108, v1
	s_delay_alu instid0(VALU_DEP_1) | instskip(NEXT) | instid1(VALU_DEP_1)
	v_add_co_ci_u32_e64 v2, s7, 0, v2, s7
	v_dual_cndmask_b32 v10, v1, v10 :: v_dual_cndmask_b32 v11, v2, v11
.LBB118_60:
	v_add_nc_u32_e32 v3, 0x2380, v3
	s_lshl_b64 s[20:21], s[24:25], 5
	s_waitcnt lgkmcnt(0)
	s_barrier
	buffer_gl0_inv
	s_and_saveexec_b32 s7, s3
	s_cbranch_execnz .LBB118_69
; %bb.61:
	s_or_b32 exec_lo, exec_lo, s7
	s_and_saveexec_b32 s3, s4
	s_cbranch_execnz .LBB118_70
.LBB118_62:
	s_or_b32 exec_lo, exec_lo, s3
	s_and_saveexec_b32 s3, s5
	s_cbranch_execnz .LBB118_71
.LBB118_63:
	s_or_b32 exec_lo, exec_lo, s3
	s_and_saveexec_b32 s3, s6
	s_cbranch_execz .LBB118_65
.LBB118_64:
	ds_load_b64 v[1:2], v6
	s_waitcnt lgkmcnt(0)
	ds_store_b64 v4, v[1:2] offset:24
.LBB118_65:
	s_or_b32 exec_lo, exec_lo, s3
	s_waitcnt lgkmcnt(0)
	s_barrier
	buffer_gl0_inv
	ds_load_b64 v[1:2], v7
	ds_load_b128 v[12:15], v3 offset:256
	ds_load_2addr_b64 v[30:33], v8 offset1:33
	ds_load_b128 v[34:37], v3 offset:272
	ds_load_b64 v[6:7], v6
	v_cmp_eq_u32_e64 s3, 1, v5
	s_waitcnt lgkmcnt(0)
	s_barrier
	buffer_gl0_inv
	v_dual_mul_f32 v8, v13, v2 :: v_dual_mul_f32 v25, v14, v31
	v_mul_f32_e32 v2, v12, v2
	v_mul_f32_e32 v24, v15, v31
	;; [unrolled: 1-line block ×4, first 2 shown]
	v_fma_f32 v8, v12, v1, -v8
	v_dual_fmac_f32 v2, v13, v1 :: v_dual_fmac_f32 v25, v15, v30
	v_mul_f32_e32 v1, v37, v7
	v_fma_f32 v12, v14, v30, -v24
	s_delay_alu instid0(VALU_DEP_4) | instskip(NEXT) | instid1(VALU_DEP_4)
	v_add_f32_e32 v8, 0, v8
	v_dual_add_f32 v2, 0, v2 :: v_dual_mul_f32 v7, v36, v7
	v_fma_f32 v13, v34, v32, -v31
	v_fmac_f32_e32 v33, v35, v32
	s_delay_alu instid0(VALU_DEP_4) | instskip(NEXT) | instid1(VALU_DEP_4)
	v_add_f32_e32 v8, v8, v12
	v_dual_add_f32 v2, v2, v25 :: v_dual_fmac_f32 v7, v37, v6
	v_fma_f32 v1, v36, v6, -v1
	s_delay_alu instid0(VALU_DEP_3) | instskip(NEXT) | instid1(VALU_DEP_3)
	v_add_f32_e32 v6, v8, v13
	v_add_f32_e32 v2, v2, v33
	s_delay_alu instid0(VALU_DEP_2) | instskip(NEXT) | instid1(VALU_DEP_2)
	v_add_f32_e32 v1, v6, v1
	v_add_f32_e32 v2, v2, v7
	ds_store_b64 v29, v[1:2]
	s_waitcnt lgkmcnt(0)
	s_barrier
	buffer_gl0_inv
	s_and_saveexec_b32 s4, s3
	s_cbranch_execz .LBB118_67
; %bb.66:
	v_lshlrev_b32_e32 v1, 3, v28
	ds_load_2addr_b64 v[12:15], v1 offset1:7
	ds_load_2addr_b64 v[30:33], v1 offset0:1 offset1:2
	ds_load_2addr_b64 v[34:37], v1 offset0:3 offset1:4
	;; [unrolled: 1-line block ×3, first 2 shown]
	s_waitcnt lgkmcnt(2)
	v_dual_add_f32 v2, v31, v13 :: v_dual_add_f32 v1, v30, v12
	s_delay_alu instid0(VALU_DEP_1) | instskip(SKIP_1) | instid1(VALU_DEP_1)
	v_dual_add_f32 v2, v2, v33 :: v_dual_add_f32 v1, v1, v32
	s_waitcnt lgkmcnt(1)
	v_dual_add_f32 v2, v2, v35 :: v_dual_add_f32 v1, v1, v34
	s_delay_alu instid0(VALU_DEP_1) | instskip(SKIP_1) | instid1(VALU_DEP_1)
	v_dual_add_f32 v2, v2, v37 :: v_dual_add_f32 v1, v1, v36
	s_waitcnt lgkmcnt(0)
	v_dual_add_f32 v2, v2, v39 :: v_dual_add_f32 v1, v1, v38
	s_delay_alu instid0(VALU_DEP_1) | instskip(NEXT) | instid1(VALU_DEP_1)
	v_dual_add_f32 v2, v2, v41 :: v_dual_add_f32 v1, v1, v40
	v_dual_add_f32 v19, v2, v15 :: v_dual_add_f32 v18, v1, v14
.LBB118_67:
	s_or_b32 exec_lo, exec_lo, s4
	s_lshl_b64 s[4:5], s[20:21], 3
	v_cmp_ne_u32_e32 vcc_lo, 1, v9
	v_sub_co_u32 v24, s4, v10, s4
	s_delay_alu instid0(VALU_DEP_1)
	v_subrev_co_ci_u32_e64 v25, s4, s5, v11, s4
	s_barrier
	buffer_gl0_inv
	s_cbranch_vccnz .LBB118_72
; %bb.68:
	v_mad_u64_u32 v[1:2], null, 0xc0, s24, v[24:25]
	s_lshl_b64 s[4:5], s[24:25], 6
	s_delay_alu instid0(VALU_DEP_1) | instskip(SKIP_2) | instid1(VALU_DEP_2)
	v_mad_u64_u32 v[6:7], null, 0xc0, s25, v[2:3]
	v_add_co_u32 v7, vcc_lo, v24, s4
	v_add_co_ci_u32_e32 v8, vcc_lo, s5, v25, vcc_lo
	v_add_co_u32 v9, vcc_lo, v7, s4
	s_delay_alu instid0(VALU_DEP_2)
	v_add_co_ci_u32_e32 v10, vcc_lo, s5, v8, vcc_lo
	v_mov_b32_e32 v2, v6
	s_clause 0x3
	global_load_b64 v[12:13], v[24:25], off
	global_load_b64 v[14:15], v[7:8], off
	;; [unrolled: 1-line block ×4, first 2 shown]
	v_mad_u32_u24 v6, v5, 33, v0
	v_add_nc_u32_e32 v7, 8, v5
	v_add_nc_u32_e32 v8, 16, v5
	v_add_nc_u32_e32 v10, 24, v5
	s_delay_alu instid0(VALU_DEP_4)
	v_lshlrev_b32_e32 v9, 3, v6
	v_add_nc_u32_e32 v1, 0x108, v6
	v_add_nc_u32_e32 v2, 0x210, v6
	;; [unrolled: 1-line block ×3, first 2 shown]
	s_waitcnt vmcnt(3)
	ds_store_b64 v9, v[12:13]
	s_waitcnt vmcnt(2)
	ds_store_b64 v9, v[14:15] offset:2112
	s_waitcnt vmcnt(1)
	ds_store_b64 v9, v[30:31] offset:4224
	;; [unrolled: 2-line block ×3, first 2 shown]
	s_cbranch_execz .LBB118_73
	s_branch .LBB118_90
.LBB118_69:
	ds_load_b64 v[1:2], v7
	s_waitcnt lgkmcnt(0)
	ds_store_b64 v4, v[1:2]
	s_or_b32 exec_lo, exec_lo, s7
	s_and_saveexec_b32 s3, s4
	s_cbranch_execz .LBB118_62
.LBB118_70:
	ds_load_b64 v[1:2], v8
	s_waitcnt lgkmcnt(0)
	ds_store_b64 v4, v[1:2] offset:8
	s_or_b32 exec_lo, exec_lo, s3
	s_and_saveexec_b32 s3, s5
	s_cbranch_execz .LBB118_63
.LBB118_71:
	ds_load_b64 v[1:2], v8 offset:264
	s_waitcnt lgkmcnt(0)
	ds_store_b64 v4, v[1:2] offset:16
	s_or_b32 exec_lo, exec_lo, s3
	s_and_saveexec_b32 s3, s6
	s_cbranch_execnz .LBB118_64
	s_branch .LBB118_65
.LBB118_72:
                                        ; implicit-def: $vgpr6
                                        ; implicit-def: $vgpr7
                                        ; implicit-def: $vgpr1
                                        ; implicit-def: $vgpr8
                                        ; implicit-def: $vgpr2
                                        ; implicit-def: $vgpr10
                                        ; implicit-def: $vgpr11
.LBB118_73:
	v_lshlrev_b32_e32 v9, 3, v0
	s_ashr_i32 s17, s16, 31
	v_or_b32_e32 v6, 32, v0
	s_lshl_b64 s[6:7], s[16:17], 3
	v_cmp_le_i32_e64 s4, s16, v5
	v_sub_co_u32 v1, vcc_lo, v24, v9
	v_subrev_co_ci_u32_e32 v2, vcc_lo, 0, v25, vcc_lo
	s_delay_alu instid0(VALU_DEP_2) | instskip(NEXT) | instid1(VALU_DEP_2)
	v_add_co_u32 v1, vcc_lo, v1, s6
	v_add_co_ci_u32_e32 v2, vcc_lo, s7, v2, vcc_lo
	s_delay_alu instid0(VALU_DEP_2) | instskip(NEXT) | instid1(VALU_DEP_2)
	v_add_co_u32 v1, vcc_lo, 0xfffffef8, v1
	v_add_co_ci_u32_e32 v2, vcc_lo, -1, v2, vcc_lo
	v_cmp_gt_i32_e32 vcc_lo, s16, v6
	v_mad_u32_u24 v6, v5, 33, v0
	s_delay_alu instid0(VALU_DEP_3) | instskip(NEXT) | instid1(VALU_DEP_2)
	v_dual_cndmask_b32 v2, v2, v25 :: v_dual_cndmask_b32 v1, v1, v24
	v_lshlrev_b32_e32 v12, 3, v6
	s_and_saveexec_b32 s5, s4
	s_delay_alu instid0(SALU_CYCLE_1)
	s_xor_b32 s4, exec_lo, s5
	s_cbranch_execz .LBB118_75
; %bb.74:
	v_mov_b32_e32 v7, 0
	s_delay_alu instid0(VALU_DEP_1)
	v_mov_b32_e32 v8, v7
	ds_store_b64 v12, v[7:8]
.LBB118_75:
	s_and_not1_saveexec_b32 s4, s4
	s_cbranch_execz .LBB118_77
; %bb.76:
	global_load_b64 v[7:8], v[1:2], off
	s_waitcnt vmcnt(0)
	ds_store_b64 v12, v[7:8]
.LBB118_77:
	s_or_b32 exec_lo, exec_lo, s4
	v_add_nc_u32_e32 v7, 8, v5
	s_delay_alu instid0(VALU_DEP_1) | instskip(NEXT) | instid1(VALU_DEP_1)
	v_cmp_le_i32_e64 s4, s16, v7
	s_and_saveexec_b32 s5, s4
	s_delay_alu instid0(SALU_CYCLE_1)
	s_xor_b32 s4, exec_lo, s5
	s_cbranch_execz .LBB118_79
; %bb.78:
	v_mul_u32_u24_e32 v8, 33, v7
	v_mov_b32_e32 v10, 0
	s_delay_alu instid0(VALU_DEP_2) | instskip(NEXT) | instid1(VALU_DEP_2)
	v_add_lshl_u32 v8, v8, v0, 3
	v_mov_b32_e32 v11, v10
	ds_store_b64 v8, v[10:11]
.LBB118_79:
	s_and_not1_saveexec_b32 s5, s4
	s_cbranch_execz .LBB118_81
; %bb.80:
	s_lshl_b64 s[20:21], s[24:25], 6
	s_delay_alu instid0(SALU_CYCLE_1) | instskip(NEXT) | instid1(VALU_DEP_1)
	v_add_co_u32 v10, s4, v1, s20
	v_add_co_ci_u32_e64 v11, s4, s21, v2, s4
	global_load_b64 v[10:11], v[10:11], off
	s_waitcnt vmcnt(0)
	ds_store_b64 v12, v[10:11] offset:2112
.LBB118_81:
	s_or_b32 exec_lo, exec_lo, s5
	v_add_nc_u32_e32 v8, 16, v5
	s_delay_alu instid0(VALU_DEP_1) | instskip(NEXT) | instid1(VALU_DEP_1)
	v_cmp_le_i32_e64 s4, s16, v8
	s_and_saveexec_b32 s5, s4
	s_delay_alu instid0(SALU_CYCLE_1)
	s_xor_b32 s4, exec_lo, s5
	s_cbranch_execz .LBB118_83
; %bb.82:
	v_mul_u32_u24_e32 v11, 33, v8
	v_mov_b32_e32 v10, 0
	s_delay_alu instid0(VALU_DEP_2) | instskip(NEXT) | instid1(VALU_DEP_2)
	v_add_lshl_u32 v0, v11, v0, 3
	v_mov_b32_e32 v11, v10
	ds_store_b64 v0, v[10:11]
.LBB118_83:
	s_and_not1_saveexec_b32 s5, s4
	s_cbranch_execz .LBB118_85
; %bb.84:
	s_lshl_b64 s[20:21], s[24:25], 7
	s_delay_alu instid0(SALU_CYCLE_1) | instskip(NEXT) | instid1(VALU_DEP_1)
	v_add_co_u32 v10, s4, v1, s20
	v_add_co_ci_u32_e64 v11, s4, s21, v2, s4
	global_load_b64 v[10:11], v[10:11], off
	s_waitcnt vmcnt(0)
	ds_store_b64 v12, v[10:11] offset:4224
.LBB118_85:
	s_or_b32 exec_lo, exec_lo, s5
	v_add_nc_u32_e32 v10, 24, v5
                                        ; implicit-def: $vgpr11
	s_delay_alu instid0(VALU_DEP_1) | instskip(NEXT) | instid1(VALU_DEP_1)
	v_cmp_le_i32_e64 s4, s16, v10
	s_and_saveexec_b32 s5, s4
	s_delay_alu instid0(SALU_CYCLE_1)
	s_xor_b32 s4, exec_lo, s5
	s_cbranch_execz .LBB118_87
; %bb.86:
	v_mov_b32_e32 v13, 0
	s_delay_alu instid0(VALU_DEP_1)
	v_dual_mov_b32 v14, v13 :: v_dual_add_nc_u32 v11, 0x318, v6
	ds_store_b64 v12, v[13:14] offset:6336
                                        ; implicit-def: $vgpr12
.LBB118_87:
	s_and_not1_saveexec_b32 s4, s4
	s_cbranch_execz .LBB118_89
; %bb.88:
	v_mad_u64_u32 v[13:14], null, 0xc0, s24, v[1:2]
	s_delay_alu instid0(VALU_DEP_1) | instskip(NEXT) | instid1(VALU_DEP_1)
	v_dual_mov_b32 v0, v14 :: v_dual_add_nc_u32 v11, 0x318, v6
	v_mad_u64_u32 v[14:15], null, 0xc0, s25, v[0:1]
	global_load_b64 v[13:14], v[13:14], off
	s_waitcnt vmcnt(0)
	ds_store_b64 v12, v[13:14] offset:6336
.LBB118_89:
	s_or_b32 exec_lo, exec_lo, s4
	v_add_co_u32 v0, s4, v1, v9
	s_delay_alu instid0(VALU_DEP_1) | instskip(NEXT) | instid1(VALU_DEP_2)
	v_add_co_ci_u32_e64 v1, s4, 0, v2, s4
	v_sub_co_u32 v0, s4, v0, s6
	s_delay_alu instid0(VALU_DEP_1) | instskip(NEXT) | instid1(VALU_DEP_2)
	v_subrev_co_ci_u32_e64 v1, s4, s7, v1, s4
	v_add_co_u32 v0, s4, 0x108, v0
	s_delay_alu instid0(VALU_DEP_1) | instskip(NEXT) | instid1(VALU_DEP_2)
	v_add_co_ci_u32_e64 v2, s4, 0, v1, s4
	v_dual_cndmask_b32 v24, v0, v24 :: v_dual_add_nc_u32 v1, 0x108, v6
	s_delay_alu instid0(VALU_DEP_2)
	v_dual_cndmask_b32 v25, v2, v25 :: v_dual_add_nc_u32 v2, 0x210, v6
.LBB118_90:
	v_lshlrev_b32_e32 v0, 3, v6
	v_lshlrev_b32_e32 v5, 3, v5
	s_delay_alu instid0(VALU_DEP_4)
	v_lshlrev_b32_e32 v1, 3, v1
	v_lshlrev_b32_e32 v6, 3, v7
	;; [unrolled: 1-line block ×6, first 2 shown]
	s_waitcnt lgkmcnt(0)
	s_barrier
	buffer_gl0_inv
	ds_load_b64 v[30:31], v0
	ds_load_b64 v[32:33], v5 offset:9088
	ds_load_b64 v[34:35], v1
	ds_load_b64 v[36:37], v6 offset:9088
	;; [unrolled: 2-line block ×4, first 2 shown]
	ds_load_b128 v[8:11], v3 offset:256
	ds_load_b128 v[0:3], v3 offset:272
	ds_load_2addr_b64 v[12:15], v4 offset1:1
	ds_load_2addr_b64 v[4:7], v4 offset0:2 offset1:3
	s_waitcnt lgkmcnt(0)
	s_barrier
	buffer_gl0_inv
	v_mul_f32_e32 v46, v33, v31
	v_mul_f32_e32 v31, v32, v31
	;; [unrolled: 1-line block ×4, first 2 shown]
	s_delay_alu instid0(VALU_DEP_4) | instskip(NEXT) | instid1(VALU_DEP_4)
	v_fma_f32 v32, v32, v30, -v46
	v_dual_fmac_f32 v31, v33, v30 :: v_dual_mul_f32 v30, v40, v39
	v_mul_f32_e32 v35, v36, v35
	v_fma_f32 v33, v36, v34, -v47
	s_delay_alu instid0(VALU_DEP_4) | instskip(NEXT) | instid1(VALU_DEP_4)
	v_dual_add_f32 v32, 0, v32 :: v_dual_mul_f32 v49, v45, v43
	v_fmac_f32_e32 v30, v41, v38
	s_delay_alu instid0(VALU_DEP_4) | instskip(SKIP_4) | instid1(VALU_DEP_4)
	v_dual_fmac_f32 v35, v37, v34 :: v_dual_mul_f32 v34, v44, v43
	v_add_f32_e32 v31, 0, v31
	v_fma_f32 v36, v40, v38, -v48
	v_add_f32_e32 v32, v32, v33
	v_fma_f32 v33, v44, v42, -v49
	v_dual_fmac_f32 v34, v45, v42 :: v_dual_add_f32 v31, v31, v35
	s_delay_alu instid0(VALU_DEP_1) | instskip(NEXT) | instid1(VALU_DEP_1)
	v_dual_add_f32 v32, v32, v36 :: v_dual_add_f32 v31, v31, v30
	v_dual_add_f32 v30, v32, v33 :: v_dual_add_f32 v31, v31, v34
	ds_store_b64 v29, v[30:31]
	s_waitcnt lgkmcnt(0)
	s_barrier
	buffer_gl0_inv
	s_and_saveexec_b32 s4, s3
	s_cbranch_execz .LBB118_92
; %bb.91:
	v_lshlrev_b32_e32 v42, 3, v28
	ds_load_2addr_b64 v[30:33], v42 offset1:1
	ds_load_2addr_b64 v[34:37], v42 offset0:2 offset1:3
	s_waitcnt lgkmcnt(1)
	v_dual_add_f32 v19, v19, v31 :: v_dual_add_f32 v18, v18, v30
	ds_load_2addr_b64 v[38:41], v42 offset0:4 offset1:5
	v_dual_add_f32 v19, v19, v33 :: v_dual_add_f32 v18, v18, v32
	ds_load_2addr_b64 v[30:33], v42 offset0:6 offset1:7
	s_waitcnt lgkmcnt(2)
	v_dual_add_f32 v19, v19, v35 :: v_dual_add_f32 v18, v18, v34
	s_delay_alu instid0(VALU_DEP_1) | instskip(SKIP_1) | instid1(VALU_DEP_1)
	v_dual_add_f32 v19, v19, v37 :: v_dual_add_f32 v18, v18, v36
	s_waitcnt lgkmcnt(1)
	v_dual_add_f32 v19, v19, v39 :: v_dual_add_f32 v18, v18, v38
	s_delay_alu instid0(VALU_DEP_1) | instskip(SKIP_1) | instid1(VALU_DEP_1)
	v_dual_add_f32 v19, v19, v41 :: v_dual_add_f32 v18, v18, v40
	s_waitcnt lgkmcnt(0)
	v_dual_add_f32 v19, v19, v31 :: v_dual_add_f32 v18, v18, v30
	s_delay_alu instid0(VALU_DEP_1)
	v_dual_add_f32 v19, v19, v33 :: v_dual_add_f32 v18, v18, v32
.LBB118_92:
	s_or_b32 exec_lo, exec_lo, s4
	v_dual_mul_f32 v30, v9, v13 :: v_dual_mul_f32 v31, v11, v15
	v_mul_f32_e32 v13, v8, v13
	v_dual_mul_f32 v15, v10, v15 :: v_dual_mul_f32 v32, v1, v5
	s_delay_alu instid0(VALU_DEP_3) | instskip(NEXT) | instid1(VALU_DEP_4)
	v_fma_f32 v8, v8, v12, -v30
	v_fma_f32 v10, v10, v14, -v31
	v_mul_f32_e32 v5, v0, v5
	s_delay_alu instid0(VALU_DEP_4)
	v_fmac_f32_e32 v15, v11, v14
	v_fma_f32 v0, v0, v4, -v32
	v_add_f32_e32 v8, 0, v8
	v_fmac_f32_e32 v13, v9, v12
	v_fmac_f32_e32 v5, v1, v4
	s_barrier
	s_delay_alu instid0(VALU_DEP_3)
	v_dual_add_f32 v8, v8, v10 :: v_dual_mul_f32 v9, v3, v7
	v_mul_f32_e32 v7, v2, v7
	buffer_gl0_inv
	v_add_f32_e32 v0, v8, v0
	v_fma_f32 v2, v2, v6, -v9
	v_add_f32_e32 v11, 0, v13
	v_fmac_f32_e32 v7, v3, v6
	s_delay_alu instid0(VALU_DEP_2) | instskip(NEXT) | instid1(VALU_DEP_1)
	v_dual_add_f32 v0, v0, v2 :: v_dual_add_f32 v1, v11, v15
	v_add_f32_e32 v1, v1, v5
	s_delay_alu instid0(VALU_DEP_1)
	v_add_f32_e32 v1, v1, v7
	ds_store_b64 v29, v[0:1]
	s_waitcnt lgkmcnt(0)
	s_barrier
	buffer_gl0_inv
	s_and_saveexec_b32 s3, s2
	s_cbranch_execz .LBB118_94
; %bb.93:
	v_lshlrev_b32_e32 v12, 3, v28
	ds_load_2addr_b64 v[0:3], v12 offset1:1
	ds_load_2addr_b64 v[4:7], v12 offset0:2 offset1:3
	s_waitcnt lgkmcnt(1)
	v_add_f32_e32 v1, v19, v1
	ds_load_2addr_b64 v[8:11], v12 offset0:4 offset1:5
	v_add_f32_e32 v14, v1, v3
	s_waitcnt lgkmcnt(1)
	s_delay_alu instid0(VALU_DEP_1) | instskip(NEXT) | instid1(VALU_DEP_1)
	v_add_f32_e32 v5, v14, v5
	v_dual_add_f32 v0, v18, v0 :: v_dual_add_f32 v5, v5, v7
	s_delay_alu instid0(VALU_DEP_1) | instskip(SKIP_3) | instid1(VALU_DEP_1)
	v_add_f32_e32 v13, v0, v2
	ds_load_2addr_b64 v[0:3], v12 offset0:6 offset1:7
	v_add_f32_e32 v4, v13, v4
	s_waitcnt lgkmcnt(1)
	v_dual_add_f32 v5, v5, v9 :: v_dual_add_f32 v4, v4, v6
	s_delay_alu instid0(VALU_DEP_1) | instskip(SKIP_1) | instid1(VALU_DEP_1)
	v_dual_add_f32 v5, v5, v11 :: v_dual_add_f32 v4, v4, v8
	s_waitcnt lgkmcnt(0)
	v_dual_add_f32 v4, v4, v10 :: v_dual_add_f32 v1, v5, v1
	s_delay_alu instid0(VALU_DEP_1) | instskip(NEXT) | instid1(VALU_DEP_1)
	v_dual_add_f32 v0, v4, v0 :: v_dual_add_f32 v19, v1, v3
	v_add_f32_e32 v18, v0, v2
.LBB118_94:
	s_or_b32 exec_lo, exec_lo, s3
	s_mul_hi_u32 s2, s33, s15
	s_mul_i32 s29, s29, s15
	s_mul_i32 s3, s33, s15
	s_add_i32 s2, s2, s29
	s_mul_hi_u32 s5, s3, s28
	s_mul_i32 s4, s2, s28
	s_mul_i32 s2, s3, s28
	s_add_i32 s3, s5, s4
	s_mul_i32 s4, s14, s33
	s_lshl_b64 s[2:3], s[2:3], 3
	v_cmp_le_i32_e32 vcc_lo, s16, v26
	s_add_u32 s6, s10, s2
	s_addc_u32 s7, s11, s3
	s_ashr_i32 s5, s4, 31
	v_lshlrev_b32_e32 v73, 3, v26
	s_lshl_b64 s[2:3], s[4:5], 3
	s_delay_alu instid0(SALU_CYCLE_1)
	s_add_u32 s15, s6, s2
	s_addc_u32 s20, s7, s3
	s_and_b32 vcc_lo, s22, vcc_lo
	s_cmp_lt_i32 s14, 1
	s_barrier
	buffer_gl0_inv
	s_cbranch_scc1 .LBB118_101
; %bb.95:
	v_lshlrev_b32_e32 v4, 2, v72
	s_mul_i32 s3, s12, s37
	s_mul_hi_u32 s5, s12, s36
	s_mul_i32 s10, s13, s36
	s_mul_i32 s4, s12, s36
	v_mad_u64_u32 v[0:1], null, v4, s24, 0
	s_ashr_i32 s17, s16, 31
	s_mul_hi_u32 s12, s24, 24
	s_lshl_b64 s[6:7], s[16:17], 3
	v_and_b32_e32 v7, 48, v26
	v_and_b32_e32 v5, 15, v26
	v_lshrrev_b32_e32 v6, 4, v27
	s_delay_alu instid0(VALU_DEP_4) | instskip(SKIP_1) | instid1(VALU_DEP_1)
	v_mad_u64_u32 v[2:3], null, v4, s25, v[1:2]
	v_sub_co_u32 v3, s2, v24, s18
	v_subrev_co_ci_u32_e64 v4, s2, s19, v25, s2
	s_add_i32 s2, s5, s3
	s_mul_i32 s3, s25, 24
	s_delay_alu instid0(VALU_DEP_3) | instskip(SKIP_2) | instid1(VALU_DEP_1)
	v_mov_b32_e32 v1, v2
	s_add_i32 s5, s2, s10
	v_sub_co_u32 v2, s2, v3, v22
	v_sub_co_ci_u32_e64 v3, s2, v4, v23, s2
	s_delay_alu instid0(VALU_DEP_3)
	v_lshlrev_b64 v[0:1], 3, v[0:1]
	s_lshl_b64 s[4:5], s[4:5], 3
	s_add_i32 s16, s12, s3
	s_mul_i32 s3, s25, 0x90
	s_mul_hi_u32 s12, s24, 0x90
	v_lshlrev_b32_e32 v8, 5, v6
	v_add_co_u32 v0, s2, v2, v0
	s_delay_alu instid0(VALU_DEP_1) | instskip(SKIP_1) | instid1(VALU_DEP_1)
	v_add_co_ci_u32_e64 v1, s2, v3, v1, s2
	v_sub_co_u32 v74, s2, v20, s4
	v_subrev_co_ci_u32_e64 v75, s2, s5, v21, s2
	s_delay_alu instid0(VALU_DEP_4) | instskip(NEXT) | instid1(VALU_DEP_1)
	v_add_co_u32 v2, s2, v0, s6
	v_add_co_ci_u32_e64 v3, s2, s7, v1, s2
	v_add_co_u32 v0, s2, v0, v73
	s_delay_alu instid0(VALU_DEP_1) | instskip(NEXT) | instid1(VALU_DEP_4)
	v_add_co_ci_u32_e64 v1, s2, 0, v1, s2
	v_add_co_u32 v2, s2, 0xfffffef8, v2
	s_delay_alu instid0(VALU_DEP_1) | instskip(NEXT) | instid1(VALU_DEP_4)
	v_add_co_ci_u32_e64 v3, s2, -1, v3, s2
	v_add_co_u32 v0, s2, 0xffffff00, v0
	s_add_i32 s18, s12, s3
	s_mul_i32 s3, s25, 0x98
	s_mul_hi_u32 s12, s24, 0x98
	v_add_co_ci_u32_e64 v4, s2, -1, v1, s2
	s_add_i32 s21, s12, s3
	s_mul_i32 s3, s25, 0x110
	s_mul_hi_u32 s12, s24, 0x110
	v_dual_mov_b32 v1, 0 :: v_dual_cndmask_b32 v2, v0, v2
	s_add_i32 s23, s12, s3
	s_mul_i32 s3, s25, 0x118
	s_mul_hi_u32 s12, s24, 0x118
	v_lshlrev_b32_e32 v0, 3, v7
	s_add_i32 s27, s12, s3
	s_mul_i32 s3, s25, 0x190
	s_mul_hi_u32 s12, s24, 0x190
	v_dual_cndmask_b32 v3, v4, v3 :: v_dual_add_nc_u32 v76, 0x2180, v73
	s_add_i32 s29, s12, s3
	s_mul_i32 s3, s25, 0x198
	s_mul_hi_u32 s12, s24, 0x198
	v_or_b32_e32 v4, 0x78, v73
	v_mad_u32_u24 v78, 0x218, v5, v0
	v_lshlrev_b32_e32 v0, 3, v6
	s_add_i32 s31, s12, s3
	s_mul_i32 s3, s25, 0x188
	s_mul_hi_u32 s12, s24, 0x188
	v_add_nc_u32_e32 v77, 0x2380, v73
	s_add_i32 s34, s12, s3
	s_mul_i32 s3, s25, 0x180
	s_mul_hi_u32 s12, s24, 0x180
	v_cmp_gt_u32_e64 s2, 64, v27
	s_add_i32 s38, s12, s3
	s_mul_i32 s3, s25, 0x108
	s_mul_hi_u32 s12, s24, 0x108
	v_mad_u32_u24 v79, 0x218, v5, v4
	v_mad_u32_u24 v80, 0x218, v5, v8
	v_lshl_add_u32 v81, v72, 5, 0x2180
	v_mad_u32_u24 v82, 0x860, v72, v73
	v_mad_u32_u24 v83, 0x218, v5, v0
	v_or_b32_e32 v84, v7, v5
	s_add_i32 s40, s12, s3
	s_mul_i32 s3, s25, 0x88
	s_mul_hi_u32 s12, s24, 0x88
	s_lshl_b64 s[4:5], s[24:25], 3
	s_lshl_b64 s[6:7], s[24:25], 9
	;; [unrolled: 1-line block ×3, first 2 shown]
	s_mul_i32 s17, s24, 24
	s_mul_i32 s19, s24, 0x90
	;; [unrolled: 1-line block ×10, first 2 shown]
	s_add_i32 s42, s12, s3
	s_mul_i32 s43, s24, 0x88
	s_lshl_b64 s[12:13], s[24:25], 7
	s_mov_b32 s24, 0
	s_branch .LBB118_97
.LBB118_96:                             ;   in Loop: Header=BB118_97 Depth=1
	s_or_b32 exec_lo, exec_lo, s25
	v_dual_mul_f32 v0, v13, v5 :: v_dual_mul_f32 v85, v31, v11
	v_mul_f32_e32 v13, v13, v4
	v_dual_mul_f32 v31, v31, v10 :: v_dual_mul_f32 v86, v29, v9
	s_delay_alu instid0(VALU_DEP_3) | instskip(SKIP_3) | instid1(VALU_DEP_4)
	v_fma_f32 v0, v12, v4, -v0
	v_dual_mul_f32 v4, v29, v8 :: v_dual_mul_f32 v29, v27, v7
	v_mul_f32_e32 v27, v27, v6
	v_fma_f32 v10, v30, v10, -v85
	v_add_f32_e32 v0, v18, v0
	v_mul_f32_e32 v18, v43, v25
	v_fmac_f32_e32 v13, v12, v5
	v_mul_f32_e32 v43, v43, v24
	v_fma_f32 v5, v28, v8, -v86
	v_add_f32_e32 v0, v0, v10
	v_mul_f32_e32 v8, v47, v23
	v_dual_fmac_f32 v31, v30, v11 :: v_dual_add_f32 v10, v19, v13
	v_fma_f32 v6, v26, v6, -v29
	s_delay_alu instid0(VALU_DEP_4) | instskip(NEXT) | instid1(VALU_DEP_3)
	v_dual_add_f32 v0, v0, v5 :: v_dual_mul_f32 v5, v47, v22
	v_dual_fmac_f32 v4, v28, v9 :: v_dual_add_f32 v9, v10, v31
	v_fma_f32 v10, v42, v24, -v18
	s_delay_alu instid0(VALU_DEP_3) | instskip(SKIP_1) | instid1(VALU_DEP_4)
	v_dual_add_f32 v0, v0, v6 :: v_dual_fmac_f32 v27, v26, v7
	v_fma_f32 v7, v46, v22, -v8
	v_dual_add_f32 v4, v9, v4 :: v_dual_fmac_f32 v43, v42, v25
	s_delay_alu instid0(VALU_DEP_3) | instskip(SKIP_1) | instid1(VALU_DEP_3)
	v_add_f32_e32 v0, v0, v10
	v_dual_mul_f32 v6, v45, v21 :: v_dual_fmac_f32 v5, v46, v23
	v_add_f32_e32 v4, v4, v27
	v_add_co_u32 v2, s3, v2, s6
	s_delay_alu instid0(VALU_DEP_4) | instskip(NEXT) | instid1(VALU_DEP_3)
	v_dual_add_f32 v0, v0, v7 :: v_dual_mul_f32 v7, v45, v20
	v_add_f32_e32 v4, v4, v43
	v_mul_f32_e32 v8, v41, v15
	v_fma_f32 v6, v44, v20, -v6
	v_add_co_ci_u32_e64 v3, s3, s7, v3, s3
	v_fmac_f32_e32 v7, v44, v21
	v_dual_add_f32 v4, v4, v5 :: v_dual_mul_f32 v5, v41, v14
	v_fma_f32 v8, v40, v14, -v8
	s_add_i32 s14, s14, -1
	s_add_i32 s24, s24, 64
	s_delay_alu instid0(VALU_DEP_2)
	v_add_f32_e32 v4, v4, v7
	v_fmac_f32_e32 v5, v40, v15
	v_mul_f32_e32 v7, v57, v38
	v_mul_f32_e32 v9, v67, v48
	s_cmp_eq_u32 s14, 0
	s_waitcnt_vscnt null, 0x0
	v_dual_add_f32 v4, v4, v5 :: v_dual_mul_f32 v5, v63, v36
	v_add_f32_e32 v0, v0, v6
	v_mul_f32_e32 v6, v57, v39
	v_fmac_f32_e32 v7, v56, v39
	s_barrier
	s_delay_alu instid0(VALU_DEP_3)
	v_dual_fmac_f32 v5, v62, v37 :: v_dual_add_f32 v0, v0, v8
	v_mul_f32_e32 v8, v63, v37
	v_fma_f32 v6, v56, v38, -v6
	v_dual_add_f32 v4, v4, v7 :: v_dual_fmac_f32 v9, v66, v49
	v_mul_f32_e32 v7, v61, v34
	buffer_gl0_inv
	v_dual_add_f32 v4, v4, v5 :: v_dual_mul_f32 v5, v65, v55
	v_add_f32_e32 v0, v0, v6
	v_fma_f32 v6, v62, v36, -v8
	v_mul_f32_e32 v8, v61, v35
	v_fmac_f32_e32 v7, v60, v35
	v_fma_f32 v5, v64, v54, -v5
	s_delay_alu instid0(VALU_DEP_4) | instskip(NEXT) | instid1(VALU_DEP_4)
	v_add_f32_e32 v0, v0, v6
	v_fma_f32 v6, v60, v34, -v8
	v_mul_f32_e32 v8, v59, v33
	s_delay_alu instid0(VALU_DEP_2) | instskip(NEXT) | instid1(VALU_DEP_2)
	v_add_f32_e32 v0, v0, v6
	v_fma_f32 v6, v58, v32, -v8
	v_mul_f32_e32 v8, v59, v32
	v_dual_add_f32 v4, v4, v7 :: v_dual_mul_f32 v7, v65, v54
	s_delay_alu instid0(VALU_DEP_3) | instskip(NEXT) | instid1(VALU_DEP_2)
	v_add_f32_e32 v0, v0, v6
	v_dual_mul_f32 v6, v71, v53 :: v_dual_fmac_f32 v7, v64, v55
	s_delay_alu instid0(VALU_DEP_2) | instskip(NEXT) | instid1(VALU_DEP_2)
	v_add_f32_e32 v0, v0, v5
	v_fma_f32 v5, v70, v52, -v6
	v_mul_f32_e32 v6, v71, v52
	s_delay_alu instid0(VALU_DEP_2) | instskip(SKIP_1) | instid1(VALU_DEP_2)
	v_dual_add_f32 v0, v0, v5 :: v_dual_mul_f32 v5, v69, v50
	v_fmac_f32_e32 v8, v58, v33
	v_dual_fmac_f32 v6, v70, v53 :: v_dual_fmac_f32 v5, v68, v51
	s_delay_alu instid0(VALU_DEP_2) | instskip(SKIP_1) | instid1(VALU_DEP_2)
	v_add_f32_e32 v4, v4, v8
	v_mul_f32_e32 v8, v69, v51
	v_add_f32_e32 v4, v4, v7
	s_delay_alu instid0(VALU_DEP_2) | instskip(SKIP_1) | instid1(VALU_DEP_3)
	v_fma_f32 v7, v68, v50, -v8
	v_mul_f32_e32 v8, v67, v49
	v_add_f32_e32 v4, v4, v6
	s_delay_alu instid0(VALU_DEP_3) | instskip(NEXT) | instid1(VALU_DEP_3)
	v_add_f32_e32 v0, v0, v7
	v_fma_f32 v6, v66, v48, -v8
	s_delay_alu instid0(VALU_DEP_3) | instskip(NEXT) | instid1(VALU_DEP_2)
	v_add_f32_e32 v4, v4, v5
	v_add_f32_e32 v18, v0, v6
	s_delay_alu instid0(VALU_DEP_2)
	v_add_f32_e32 v19, v4, v9
	s_cbranch_scc1 .LBB118_101
.LBB118_97:                             ; =>This Inner Loop Header: Depth=1
	s_and_saveexec_b32 s25, s1
	s_cbranch_execz .LBB118_99
; %bb.98:                               ;   in Loop: Header=BB118_97 Depth=1
	s_mul_i32 s3, s24, s37
	s_mul_hi_u32 s45, s24, s36
	s_mul_i32 s44, s24, s36
	s_add_i32 s45, s45, s3
	s_delay_alu instid0(SALU_CYCLE_1) | instskip(NEXT) | instid1(SALU_CYCLE_1)
	s_lshl_b64 s[44:45], s[44:45], 3
	v_add_co_u32 v4, s3, v74, s44
	s_delay_alu instid0(VALU_DEP_1)
	v_add_co_ci_u32_e64 v5, s3, s45, v75, s3
	global_load_b64 v[4:5], v[4:5], off
	s_waitcnt vmcnt(0)
	ds_store_b64 v76, v[4:5]
.LBB118_99:                             ;   in Loop: Header=BB118_97 Depth=1
	s_or_b32 exec_lo, exec_lo, s25
	v_add_co_u32 v6, s3, v2, s4
	s_delay_alu instid0(VALU_DEP_1) | instskip(SKIP_1) | instid1(VALU_DEP_1)
	v_add_co_ci_u32_e64 v7, s3, s5, v3, s3
	v_add_co_u32 v8, s3, v2, s10
	v_add_co_ci_u32_e64 v9, s3, s11, v3, s3
	v_add_co_u32 v12, s3, v2, s17
	s_delay_alu instid0(VALU_DEP_1)
	v_add_co_ci_u32_e64 v13, s3, s16, v3, s3
	s_waitcnt lgkmcnt(0)
	s_barrier
	buffer_gl0_inv
	s_clause 0x3
	global_load_b64 v[4:5], v[2:3], off
	global_load_b64 v[10:11], v[6:7], off
	;; [unrolled: 1-line block ×4, first 2 shown]
	ds_load_b64 v[14:15], v77
	ds_load_b64 v[12:13], v81
	v_add_co_u32 v20, s3, v2, s12
	s_delay_alu instid0(VALU_DEP_1) | instskip(SKIP_1) | instid1(VALU_DEP_1)
	v_add_co_ci_u32_e64 v21, s3, s13, v3, s3
	v_add_co_u32 v22, s3, v2, s43
	v_add_co_ci_u32_e64 v23, s3, s42, v3, s3
	v_add_co_u32 v32, s3, v2, s19
	s_delay_alu instid0(VALU_DEP_1)
	v_add_co_ci_u32_e64 v33, s3, s18, v3, s3
	s_waitcnt vmcnt(0) lgkmcnt(1)
	v_dual_mul_f32 v0, v15, v5 :: v_dual_mul_f32 v37, v14, v7
	v_mul_f32_e32 v35, v15, v8
	v_mul_f32_e32 v26, v15, v10
	;; [unrolled: 1-line block ×3, first 2 shown]
	s_delay_alu instid0(VALU_DEP_4) | instskip(NEXT) | instid1(VALU_DEP_4)
	v_fma_f32 v24, v14, v4, -v0
	v_dual_mul_f32 v0, v15, v11 :: v_dual_fmac_f32 v35, v14, v9
	s_delay_alu instid0(VALU_DEP_4) | instskip(SKIP_3) | instid1(VALU_DEP_4)
	v_dual_mul_f32 v25, v15, v4 :: v_dual_fmac_f32 v26, v14, v11
	v_mul_f32_e32 v28, v15, v7
	v_fma_f32 v34, v14, v8, -v27
	v_fmac_f32_e32 v37, v15, v6
	v_fmac_f32_e32 v25, v14, v5
	s_delay_alu instid0(VALU_DEP_4) | instskip(SKIP_4) | instid1(VALU_DEP_1)
	v_fma_f32 v36, v14, v6, -v28
	ds_store_b64 v82, v[24:25]
	v_fma_f32 v25, v14, v10, -v0
	ds_load_b64 v[30:31], v81 offset:8
	v_add_co_u32 v14, s3, v2, s22
	v_add_co_ci_u32_e64 v15, s3, s21, v3, s3
	ds_store_b64 v82, v[25:26] offset:536
	ds_load_b64 v[28:29], v81 offset:16
	ds_store_b64 v82, v[34:35] offset:1072
	ds_load_b64 v[26:27], v81 offset:24
	ds_store_b64 v82, v[36:37] offset:1608
	s_waitcnt lgkmcnt(0)
	s_barrier
	buffer_gl0_inv
	ds_load_2addr_b64 v[85:88], v80 offset1:1
	ds_load_2addr_b64 v[89:92], v80 offset0:2 offset1:3
	s_waitcnt lgkmcnt(0)
	s_barrier
	buffer_gl0_inv
	s_clause 0x3
	global_load_b64 v[24:25], v[20:21], off
	global_load_b64 v[22:23], v[22:23], off
	;; [unrolled: 1-line block ×4, first 2 shown]
	ds_load_b64 v[32:33], v77
	ds_load_b64 v[42:43], v81 offset:128
	v_add_co_u32 v34, s3, v2, s8
	s_delay_alu instid0(VALU_DEP_1) | instskip(SKIP_1) | instid1(VALU_DEP_1)
	v_add_co_ci_u32_e64 v35, s3, s9, v3, s3
	v_add_co_u32 v36, s3, v2, s41
	v_add_co_ci_u32_e64 v37, s3, s40, v3, s3
	v_add_co_u32 v48, s3, v2, s26
	s_delay_alu instid0(VALU_DEP_1)
	v_add_co_ci_u32_e64 v49, s3, s23, v3, s3
	s_waitcnt vmcnt(2) lgkmcnt(1)
	v_mul_f32_e32 v40, v33, v23
	v_mul_f32_e32 v0, v33, v25
	;; [unrolled: 1-line block ×4, first 2 shown]
	s_waitcnt vmcnt(1)
	v_mul_f32_e32 v44, v33, v21
	v_mul_f32_e32 v51, v33, v20
	s_waitcnt vmcnt(0)
	v_mul_f32_e32 v45, v33, v15
	v_mul_f32_e32 v53, v32, v15
	v_fma_f32 v38, v32, v24, -v0
	v_fmac_f32_e32 v39, v32, v25
	v_fma_f32 v40, v32, v22, -v40
	v_fmac_f32_e32 v41, v32, v23
	;; [unrolled: 2-line block ×4, first 2 shown]
	ds_store_b64 v82, v[38:39]
	ds_load_b64 v[46:47], v81 offset:136
	ds_store_b64 v82, v[40:41] offset:536
	ds_load_b64 v[44:45], v81 offset:144
	ds_store_b64 v82, v[50:51] offset:1072
	;; [unrolled: 2-line block ×3, first 2 shown]
	s_waitcnt lgkmcnt(0)
	s_barrier
	buffer_gl0_inv
	ds_load_2addr_b64 v[93:96], v80 offset1:1
	ds_load_2addr_b64 v[97:100], v80 offset0:2 offset1:3
	s_waitcnt lgkmcnt(0)
	s_barrier
	buffer_gl0_inv
	global_load_b64 v[38:39], v[34:35], off
	v_add_co_u32 v32, s3, v2, s28
	s_delay_alu instid0(VALU_DEP_1)
	v_add_co_ci_u32_e64 v33, s3, s27, v3, s3
	s_clause 0x2
	global_load_b64 v[36:37], v[36:37], off
	global_load_b64 v[34:35], v[48:49], off
	;; [unrolled: 1-line block ×3, first 2 shown]
	ds_load_b64 v[48:49], v77
	ds_load_b64 v[56:57], v81 offset:256
	v_add_co_u32 v50, s3, v2, s39
	s_delay_alu instid0(VALU_DEP_1) | instskip(SKIP_1) | instid1(VALU_DEP_1)
	v_add_co_ci_u32_e64 v51, s3, s38, v3, s3
	v_add_co_u32 v52, s3, v2, s35
	v_add_co_ci_u32_e64 v53, s3, s34, v3, s3
	v_add_co_u32 v64, s3, v2, s30
	s_delay_alu instid0(VALU_DEP_1)
	v_add_co_ci_u32_e64 v65, s3, s29, v3, s3
	v_add_f32_e32 v94, 0, v94
	s_waitcnt vmcnt(3) lgkmcnt(1)
	v_mul_f32_e32 v0, v49, v39
	v_mul_f32_e32 v55, v49, v38
	s_waitcnt vmcnt(2)
	v_mul_f32_e32 v58, v49, v37
	s_delay_alu instid0(VALU_DEP_3)
	v_fma_f32 v54, v48, v38, -v0
	s_waitcnt vmcnt(0)
	v_mul_f32_e32 v69, v48, v33
	v_dual_add_f32 v0, 0, v85 :: v_dual_mul_f32 v59, v49, v36
	v_mul_f32_e32 v60, v49, v35
	v_mul_f32_e32 v67, v49, v34
	s_delay_alu instid0(VALU_DEP_3)
	v_dual_fmac_f32 v69, v49, v32 :: v_dual_add_f32 v0, v0, v87
	v_mul_f32_e32 v61, v49, v33
	v_fmac_f32_e32 v55, v48, v39
	v_fma_f32 v58, v48, v36, -v58
	v_fmac_f32_e32 v59, v48, v37
	v_fma_f32 v66, v48, v34, -v60
	v_fmac_f32_e32 v67, v48, v35
	v_dual_add_f32 v113, 0, v86 :: v_dual_add_f32 v0, v0, v89
	v_fma_f32 v68, v48, v32, -v61
	ds_store_b64 v82, v[54:55]
	ds_load_b64 v[62:63], v81 offset:264
	ds_store_b64 v82, v[58:59] offset:536
	v_add_co_u32 v48, s3, v2, s33
	ds_load_b64 v[60:61], v81 offset:272
	v_dual_add_f32 v89, v0, v91 :: v_dual_add_f32 v0, v94, v96
	ds_store_b64 v82, v[66:67] offset:1072
	ds_load_b64 v[58:59], v81 offset:280
	ds_store_b64 v82, v[68:69] offset:1608
	s_waitcnt lgkmcnt(0)
	s_barrier
	buffer_gl0_inv
	ds_load_2addr_b64 v[101:104], v80 offset1:1
	ds_load_2addr_b64 v[105:108], v80 offset0:2 offset1:3
	s_waitcnt lgkmcnt(0)
	s_barrier
	buffer_gl0_inv
	global_load_b64 v[54:55], v[50:51], off
	v_add_co_ci_u32_e64 v49, s3, s31, v3, s3
	s_clause 0x2
	global_load_b64 v[52:53], v[52:53], off
	global_load_b64 v[50:51], v[64:65], off
	;; [unrolled: 1-line block ×3, first 2 shown]
	ds_load_b64 v[66:67], v77
	ds_load_b64 v[64:65], v81 offset:384
	v_add_f32_e32 v0, v0, v98
	s_waitcnt vmcnt(3) lgkmcnt(1)
	v_mul_f32_e32 v68, v67, v55
	v_mul_f32_e32 v69, v67, v54
	s_waitcnt vmcnt(2)
	v_mul_f32_e32 v70, v67, v53
	v_mul_f32_e32 v86, v67, v52
	s_waitcnt vmcnt(1)
	;; [unrolled: 3-line block ×3, first 2 shown]
	v_mul_f32_e32 v111, v67, v49
	v_mul_f32_e32 v112, v66, v49
	v_fma_f32 v68, v66, v54, -v68
	v_fmac_f32_e32 v69, v66, v55
	v_fma_f32 v85, v66, v52, -v70
	v_fmac_f32_e32 v86, v66, v53
	;; [unrolled: 2-line block ×4, first 2 shown]
	ds_store_b64 v82, v[68:69]
	ds_load_b64 v[70:71], v81 offset:392
	ds_store_b64 v82, v[85:86] offset:536
	ds_load_b64 v[68:69], v81 offset:400
	ds_store_b64 v82, v[109:110] offset:1072
	ds_load_b64 v[66:67], v81 offset:408
	ds_store_b64 v82, v[111:112] offset:1608
	s_waitcnt lgkmcnt(0)
	s_barrier
	buffer_gl0_inv
	ds_load_2addr_b64 v[109:112], v80 offset1:1
	v_add_f32_e32 v85, v113, v88
	s_delay_alu instid0(VALU_DEP_1)
	v_add_f32_e32 v90, v85, v90
	ds_load_2addr_b64 v[85:88], v80 offset0:2 offset1:3
	s_waitcnt lgkmcnt(0)
	s_barrier
	buffer_gl0_inv
	v_add_f32_e32 v90, v90, v92
	v_add_f32_e32 v92, 0, v101
	s_delay_alu instid0(VALU_DEP_1) | instskip(SKIP_2) | instid1(VALU_DEP_3)
	v_add_f32_e32 v92, v92, v103
	v_add_f32_e32 v94, 0, v109
	;; [unrolled: 1-line block ×5, first 2 shown]
	s_delay_alu instid0(VALU_DEP_4) | instskip(NEXT) | instid1(VALU_DEP_4)
	v_add_f32_e32 v94, v94, v111
	v_add_f32_e32 v93, v93, v95
	s_delay_alu instid0(VALU_DEP_2) | instskip(NEXT) | instid1(VALU_DEP_2)
	v_dual_add_f32 v95, 0, v110 :: v_dual_add_f32 v94, v94, v85
	v_add_f32_e32 v91, v93, v97
	s_delay_alu instid0(VALU_DEP_2) | instskip(SKIP_1) | instid1(VALU_DEP_4)
	v_add_f32_e32 v95, v95, v112
	v_add_f32_e32 v85, v96, v107
	;; [unrolled: 1-line block ×3, first 2 shown]
	s_delay_alu instid0(VALU_DEP_4) | instskip(NEXT) | instid1(VALU_DEP_4)
	v_add_f32_e32 v91, v91, v99
	v_add_f32_e32 v95, v95, v86
	s_delay_alu instid0(VALU_DEP_1) | instskip(NEXT) | instid1(VALU_DEP_1)
	v_dual_add_f32 v93, 0, v102 :: v_dual_add_f32 v88, v95, v88
	v_add_f32_e32 v93, v93, v104
	s_delay_alu instid0(VALU_DEP_1) | instskip(NEXT) | instid1(VALU_DEP_1)
	v_add_f32_e32 v93, v93, v106
	v_add_f32_e32 v86, v93, v108
	ds_store_2addr_b64 v83, v[89:90], v[91:92] offset1:16
	ds_store_2addr_b64 v83, v[85:86], v[87:88] offset0:32 offset1:48
	s_waitcnt lgkmcnt(0)
	s_barrier
	buffer_gl0_inv
	s_and_saveexec_b32 s25, s2
	s_cbranch_execz .LBB118_96
; %bb.100:                              ;   in Loop: Header=BB118_97 Depth=1
	ds_load_b64 v[96:97], v78
	ds_load_2addr_b64 v[85:88], v78 offset0:1 offset1:2
	ds_load_2addr_b64 v[89:92], v78 offset0:3 offset1:4
	s_waitcnt lgkmcnt(1)
	v_dual_add_f32 v0, v85, v96 :: v_dual_add_f32 v85, v86, v97
	ds_load_2addr_b64 v[93:96], v78 offset0:5 offset1:6
	v_dual_add_f32 v0, v0, v87 :: v_dual_add_f32 v97, v85, v88
	ds_load_2addr_b64 v[85:88], v78 offset0:7 offset1:8
	s_waitcnt lgkmcnt(2)
	v_dual_add_f32 v0, v0, v89 :: v_dual_add_f32 v89, v97, v90
	s_delay_alu instid0(VALU_DEP_1) | instskip(SKIP_3) | instid1(VALU_DEP_1)
	v_dual_add_f32 v0, v0, v91 :: v_dual_add_f32 v97, v89, v92
	ds_load_2addr_b64 v[89:92], v78 offset0:9 offset1:10
	s_waitcnt lgkmcnt(2)
	v_dual_add_f32 v0, v0, v93 :: v_dual_add_f32 v93, v97, v94
	v_dual_add_f32 v0, v0, v95 :: v_dual_add_f32 v97, v93, v96
	ds_load_2addr_b64 v[93:96], v78 offset0:11 offset1:12
	s_waitcnt lgkmcnt(2)
	v_dual_add_f32 v0, v0, v85 :: v_dual_add_f32 v85, v97, v86
	s_delay_alu instid0(VALU_DEP_1) | instskip(SKIP_3) | instid1(VALU_DEP_1)
	v_dual_add_f32 v0, v0, v87 :: v_dual_add_f32 v97, v85, v88
	ds_load_2addr_b64 v[85:88], v78 offset0:13 offset1:14
	s_waitcnt lgkmcnt(2)
	v_dual_add_f32 v0, v0, v89 :: v_dual_add_f32 v89, v97, v90
	v_dual_add_f32 v0, v0, v91 :: v_dual_add_f32 v91, v89, v92
	ds_load_b64 v[89:90], v79
	s_waitcnt lgkmcnt(2)
	v_dual_add_f32 v0, v0, v93 :: v_dual_add_f32 v91, v91, v94
	s_delay_alu instid0(VALU_DEP_1) | instskip(SKIP_1) | instid1(VALU_DEP_1)
	v_dual_add_f32 v0, v0, v95 :: v_dual_add_f32 v91, v91, v96
	s_waitcnt lgkmcnt(1)
	v_dual_add_f32 v85, v0, v85 :: v_dual_add_f32 v86, v91, v86
	s_delay_alu instid0(VALU_DEP_1) | instskip(NEXT) | instid1(VALU_DEP_2)
	v_dual_add_f32 v87, v85, v87 :: v_dual_add_nc_u32 v0, s24, v84
	v_add_f32_e32 v88, v86, v88
	s_delay_alu instid0(VALU_DEP_2) | instskip(SKIP_1) | instid1(VALU_DEP_2)
	v_lshlrev_b64 v[85:86], 3, v[0:1]
	s_waitcnt lgkmcnt(0)
	v_dual_add_f32 v87, v87, v89 :: v_dual_add_f32 v88, v88, v90
	s_delay_alu instid0(VALU_DEP_2) | instskip(NEXT) | instid1(VALU_DEP_1)
	v_add_co_u32 v85, s3, s15, v85
	v_add_co_ci_u32_e64 v86, s3, s20, v86, s3
	global_store_b64 v[85:86], v[87:88], off
	s_branch .LBB118_96
.LBB118_101:
	v_mad_u32_u24 v0, 0x218, v72, v73
	s_or_b32 s0, s0, vcc_lo
	s_delay_alu instid0(SALU_CYCLE_1)
	s_xor_b32 s0, s0, -1
	ds_store_b64 v0, v[18:19]
	s_waitcnt lgkmcnt(0)
	s_barrier
	buffer_gl0_inv
	s_and_saveexec_b32 s1, s0
	s_cbranch_execz .LBB118_103
; %bb.102:
	ds_load_2addr_b64 v[0:3], v73 offset1:67
	ds_load_2addr_b64 v[4:7], v73 offset0:134 offset1:201
	s_waitcnt lgkmcnt(1)
	v_dual_add_f32 v0, v2, v0 :: v_dual_add_f32 v1, v3, v1
	s_waitcnt lgkmcnt(0)
	s_delay_alu instid0(VALU_DEP_1) | instskip(SKIP_1) | instid1(VALU_DEP_2)
	v_dual_add_f32 v2, v0, v4 :: v_dual_add_f32 v3, v1, v5
	v_lshlrev_b64 v[0:1], 3, v[16:17]
	v_dual_add_f32 v2, v2, v6 :: v_dual_add_f32 v3, v3, v7
	s_delay_alu instid0(VALU_DEP_2) | instskip(NEXT) | instid1(VALU_DEP_3)
	v_add_co_u32 v0, vcc_lo, s15, v0
	v_add_co_ci_u32_e32 v1, vcc_lo, s20, v1, vcc_lo
	global_store_b64 v[0:1], v[2:3], off
.LBB118_103:
	s_nop 0
	s_sendmsg sendmsg(MSG_DEALLOC_VGPRS)
	s_endpgm
	.section	.rodata,"a",@progbits
	.p2align	6, 0x0
	.amdhsa_kernel _ZL26rocblas_hemvn_kernel_lowerILb0ELi64ELi4ELi33ELi32ELi16ElPK19rocblas_complex_numIfES3_PS1_EviT6_lT7_lT5_lS6_lS7_lS5_lT8_i
		.amdhsa_group_segment_fixed_size 9600
		.amdhsa_private_segment_fixed_size 0
		.amdhsa_kernarg_size 376
		.amdhsa_user_sgpr_count 14
		.amdhsa_user_sgpr_dispatch_ptr 0
		.amdhsa_user_sgpr_queue_ptr 0
		.amdhsa_user_sgpr_kernarg_segment_ptr 1
		.amdhsa_user_sgpr_dispatch_id 0
		.amdhsa_user_sgpr_private_segment_size 0
		.amdhsa_wavefront_size32 1
		.amdhsa_uses_dynamic_stack 0
		.amdhsa_enable_private_segment 0
		.amdhsa_system_sgpr_workgroup_id_x 1
		.amdhsa_system_sgpr_workgroup_id_y 0
		.amdhsa_system_sgpr_workgroup_id_z 1
		.amdhsa_system_sgpr_workgroup_info 0
		.amdhsa_system_vgpr_workitem_id 1
		.amdhsa_next_free_vgpr 114
		.amdhsa_next_free_sgpr 46
		.amdhsa_reserve_vcc 1
		.amdhsa_float_round_mode_32 0
		.amdhsa_float_round_mode_16_64 0
		.amdhsa_float_denorm_mode_32 3
		.amdhsa_float_denorm_mode_16_64 3
		.amdhsa_dx10_clamp 1
		.amdhsa_ieee_mode 1
		.amdhsa_fp16_overflow 0
		.amdhsa_workgroup_processor_mode 1
		.amdhsa_memory_ordered 1
		.amdhsa_forward_progress 0
		.amdhsa_shared_vgpr_count 0
		.amdhsa_exception_fp_ieee_invalid_op 0
		.amdhsa_exception_fp_denorm_src 0
		.amdhsa_exception_fp_ieee_div_zero 0
		.amdhsa_exception_fp_ieee_overflow 0
		.amdhsa_exception_fp_ieee_underflow 0
		.amdhsa_exception_fp_ieee_inexact 0
		.amdhsa_exception_int_div_zero 0
	.end_amdhsa_kernel
	.section	.text._ZL26rocblas_hemvn_kernel_lowerILb0ELi64ELi4ELi33ELi32ELi16ElPK19rocblas_complex_numIfES3_PS1_EviT6_lT7_lT5_lS6_lS7_lS5_lT8_i,"axG",@progbits,_ZL26rocblas_hemvn_kernel_lowerILb0ELi64ELi4ELi33ELi32ELi16ElPK19rocblas_complex_numIfES3_PS1_EviT6_lT7_lT5_lS6_lS7_lS5_lT8_i,comdat
.Lfunc_end118:
	.size	_ZL26rocblas_hemvn_kernel_lowerILb0ELi64ELi4ELi33ELi32ELi16ElPK19rocblas_complex_numIfES3_PS1_EviT6_lT7_lT5_lS6_lS7_lS5_lT8_i, .Lfunc_end118-_ZL26rocblas_hemvn_kernel_lowerILb0ELi64ELi4ELi33ELi32ELi16ElPK19rocblas_complex_numIfES3_PS1_EviT6_lT7_lT5_lS6_lS7_lS5_lT8_i
                                        ; -- End function
	.section	.AMDGPU.csdata,"",@progbits
; Kernel info:
; codeLenInByte = 8608
; NumSgprs: 48
; NumVgprs: 114
; ScratchSize: 0
; MemoryBound: 1
; FloatMode: 240
; IeeeMode: 1
; LDSByteSize: 9600 bytes/workgroup (compile time only)
; SGPRBlocks: 5
; VGPRBlocks: 14
; NumSGPRsForWavesPerEU: 48
; NumVGPRsForWavesPerEU: 114
; Occupancy: 12
; WaveLimiterHint : 0
; COMPUTE_PGM_RSRC2:SCRATCH_EN: 0
; COMPUTE_PGM_RSRC2:USER_SGPR: 14
; COMPUTE_PGM_RSRC2:TRAP_HANDLER: 0
; COMPUTE_PGM_RSRC2:TGID_X_EN: 1
; COMPUTE_PGM_RSRC2:TGID_Y_EN: 0
; COMPUTE_PGM_RSRC2:TGID_Z_EN: 1
; COMPUTE_PGM_RSRC2:TIDIG_COMP_CNT: 1
	.section	.text._ZL26rocblas_hemvn_kernel_lowerILb0ELi64ELi4ELi33ELi32ELi16EiPK19rocblas_complex_numIfES3_PS1_EviT6_lT7_lT5_lS6_lS7_lS5_lT8_i,"axG",@progbits,_ZL26rocblas_hemvn_kernel_lowerILb0ELi64ELi4ELi33ELi32ELi16EiPK19rocblas_complex_numIfES3_PS1_EviT6_lT7_lT5_lS6_lS7_lS5_lT8_i,comdat
	.globl	_ZL26rocblas_hemvn_kernel_lowerILb0ELi64ELi4ELi33ELi32ELi16EiPK19rocblas_complex_numIfES3_PS1_EviT6_lT7_lT5_lS6_lS7_lS5_lT8_i ; -- Begin function _ZL26rocblas_hemvn_kernel_lowerILb0ELi64ELi4ELi33ELi32ELi16EiPK19rocblas_complex_numIfES3_PS1_EviT6_lT7_lT5_lS6_lS7_lS5_lT8_i
	.p2align	8
	.type	_ZL26rocblas_hemvn_kernel_lowerILb0ELi64ELi4ELi33ELi32ELi16EiPK19rocblas_complex_numIfES3_PS1_EviT6_lT7_lT5_lS6_lS7_lS5_lT8_i,@function
_ZL26rocblas_hemvn_kernel_lowerILb0ELi64ELi4ELi33ELi32ELi16EiPK19rocblas_complex_numIfES3_PS1_EviT6_lT7_lT5_lS6_lS7_lS5_lT8_i: ; @_ZL26rocblas_hemvn_kernel_lowerILb0ELi64ELi4ELi33ELi32ELi16EiPK19rocblas_complex_numIfES3_PS1_EviT6_lT7_lT5_lS6_lS7_lS5_lT8_i
; %bb.0:
	s_load_b64 s[4:5], s[0:1], 0x84
	s_add_u32 s2, s0, 0x78
	s_addc_u32 s3, s1, 0
	s_waitcnt lgkmcnt(0)
	s_lshr_b32 s6, s4, 16
	s_and_b32 s4, s4, 0xffff
	s_and_b32 s5, s5, 0xffff
	s_mul_i32 s4, s6, s4
	s_delay_alu instid0(SALU_CYCLE_1) | instskip(NEXT) | instid1(SALU_CYCLE_1)
	s_mul_i32 s4, s4, s5
	s_cmpk_lg_i32 s4, 0x100
	s_cbranch_scc1 .LBB119_103
; %bb.1:
	s_load_b256 s[16:23], s[0:1], 0x8
	s_waitcnt lgkmcnt(0)
	s_mul_i32 s4, s15, s19
	s_mul_hi_u32 s5, s15, s18
	s_delay_alu instid0(SALU_CYCLE_1) | instskip(SKIP_1) | instid1(SALU_CYCLE_1)
	s_add_i32 s5, s5, s4
	s_mul_i32 s4, s15, s18
	s_lshl_b64 s[4:5], s[4:5], 3
	s_delay_alu instid0(SALU_CYCLE_1)
	s_add_u32 s4, s16, s4
	s_addc_u32 s5, s17, s5
	s_load_b64 s[12:13], s[4:5], 0x0
	s_load_b256 s[4:11], s[0:1], 0x50
	s_waitcnt lgkmcnt(0)
	s_or_b32 s12, s12, s13
	s_mov_b32 s13, -1
	s_bitset0_b32 s12, 31
	s_delay_alu instid0(SALU_CYCLE_1) | instskip(SKIP_1) | instid1(SALU_CYCLE_1)
	s_cmp_lg_u32 s12, 0
	s_cselect_b32 s12, -1, 0
	s_and_b32 vcc_lo, exec_lo, s12
	s_cbranch_vccnz .LBB119_3
; %bb.2:
	s_mul_i32 s9, s15, s9
	s_mul_hi_u32 s13, s15, s8
	s_mul_i32 s8, s15, s8
	s_add_i32 s9, s13, s9
	s_delay_alu instid0(SALU_CYCLE_1) | instskip(NEXT) | instid1(SALU_CYCLE_1)
	s_lshl_b64 s[8:9], s[8:9], 3
	s_add_u32 s6, s6, s8
	s_addc_u32 s7, s7, s9
	s_load_b64 s[6:7], s[6:7], 0x0
	s_waitcnt lgkmcnt(0)
	v_cmp_neq_f32_e64 s6, s6, 1.0
	v_cmp_neq_f32_e64 s7, s7, 0
	s_delay_alu instid0(VALU_DEP_1)
	s_or_b32 s13, s6, s7
.LBB119_3:
	s_delay_alu instid0(SALU_CYCLE_1)
	s_and_not1_b32 vcc_lo, exec_lo, s13
	s_cbranch_vccnz .LBB119_103
; %bb.4:
	s_and_not1_b32 vcc_lo, exec_lo, s12
	s_cbranch_vccnz .LBB119_103
; %bb.5:
	s_clause 0x2
	s_load_b128 s[16:19], s[0:1], 0x30
	s_load_b64 s[6:7], s[0:1], 0x40
	s_load_b32 s24, s[0:1], 0x48
	s_mul_i32 s5, s15, s5
	s_mul_hi_u32 s8, s15, s4
	s_mul_i32 s4, s15, s4
	s_add_i32 s5, s8, s5
	v_and_b32_e32 v25, 0x3ff, v0
	s_lshl_b64 s[4:5], s[4:5], 3
	s_load_b32 s25, s[0:1], 0x0
	s_load_b32 s26, s[2:3], 0x0
	v_bfe_u32 v71, v0, 10, 10
	s_waitcnt lgkmcnt(0)
	s_add_u32 s8, s18, s4
	s_addc_u32 s9, s19, s5
	s_lshl_b64 s[4:5], s[6:7], 3
	s_delay_alu instid0(SALU_CYCLE_1) | instskip(SKIP_2) | instid1(SALU_CYCLE_1)
	s_add_u32 s4, s8, s4
	s_addc_u32 s5, s9, s5
	s_lshl_b32 s12, s14, 6
	v_add_nc_u32_e32 v16, s12, v25
	s_ashr_i32 s27, s25, 31
	s_add_i32 s6, s26, -1
	s_lshr_b32 s2, s27, 26
	s_delay_alu instid0(VALU_DEP_1) | instskip(SKIP_3) | instid1(SALU_CYCLE_1)
	v_mul_lo_u32 v1, v16, s24
	s_add_i32 s3, s25, s2
	v_cmp_ne_u32_e64 s2, 0, v71
	s_and_not1_b32 s3, s3, 63
	s_sub_i32 s7, s25, s3
	v_cmp_eq_u32_e64 s3, 0, v71
	s_cmp_eq_u32 s14, s6
	s_delay_alu instid0(VALU_DEP_3) | instskip(SKIP_1) | instid1(VALU_DEP_1)
	v_ashrrev_i32_e32 v2, 31, v1
	s_cselect_b32 s18, s7, 0
	v_lshlrev_b64 v[0:1], 3, v[1:2]
	s_delay_alu instid0(VALU_DEP_1) | instskip(NEXT) | instid1(VALU_DEP_2)
	v_add_co_u32 v19, vcc_lo, s4, v0
	v_add_co_ci_u32_e32 v20, vcc_lo, s5, v1, vcc_lo
	s_mov_b32 s4, -1
	s_and_saveexec_b32 s5, s3
	s_cbranch_execz .LBB119_10
; %bb.6:
	v_cmp_le_i32_e32 vcc_lo, s18, v25
	s_cmp_lg_u32 s18, 0
	v_lshl_add_u32 v0, v25, 3, 0x2380
	s_cselect_b32 s6, -1, 0
	s_delay_alu instid0(SALU_CYCLE_1) | instskip(NEXT) | instid1(SALU_CYCLE_1)
	s_and_b32 s6, s6, vcc_lo
	s_and_saveexec_b32 s7, s6
	s_delay_alu instid0(SALU_CYCLE_1)
	s_xor_b32 s6, exec_lo, s7
	s_cbranch_execz .LBB119_8
; %bb.7:
	v_mov_b32_e32 v1, 0
	s_delay_alu instid0(VALU_DEP_1)
	v_mov_b32_e32 v2, v1
	ds_store_b64 v0, v[1:2]
                                        ; implicit-def: $vgpr0
.LBB119_8:
	s_and_not1_saveexec_b32 s6, s6
	s_cbranch_execz .LBB119_10
; %bb.9:
	global_load_b64 v[1:2], v[19:20], off
	s_waitcnt vmcnt(0)
	ds_store_b64 v0, v[1:2]
.LBB119_10:
	s_or_b32 exec_lo, exec_lo, s5
	s_load_b32 s8, s[0:1], 0x28
	v_lshl_add_u32 v26, v71, 6, v25
	v_and_b32_e32 v0, 31, v25
	s_mul_i32 s1, s15, s17
	s_mul_hi_u32 s5, s15, s16
	s_mul_i32 s0, s15, s16
	v_lshrrev_b32_e32 v5, 5, v26
	s_add_i32 s1, s5, s1
	s_delay_alu instid0(SALU_CYCLE_1) | instskip(NEXT) | instid1(SALU_CYCLE_1)
	s_lshl_b64 s[0:1], s[0:1], 3
	s_add_u32 s5, s20, s0
	s_addc_u32 s6, s21, s1
	s_lshl_b64 s[0:1], s[22:23], 3
	s_delay_alu instid0(SALU_CYCLE_1) | instskip(SKIP_2) | instid1(SALU_CYCLE_1)
	s_add_u32 s5, s5, s0
	s_addc_u32 s6, s6, s1
	s_ashr_i32 s13, s12, 31
	s_lshl_b64 s[0:1], s[12:13], 3
	s_waitcnt lgkmcnt(0)
	v_mad_u64_u32 v[1:2], null, v5, s8, v[0:1]
	s_add_u32 s5, s5, s0
	s_mul_i32 s0, s12, s8
	s_addc_u32 s6, s6, s1
	s_ashr_i32 s1, s0, 31
	s_delay_alu instid0(SALU_CYCLE_1) | instskip(NEXT) | instid1(VALU_DEP_1)
	s_lshl_b64 s[16:17], s[0:1], 3
	v_ashrrev_i32_e32 v2, 31, v1
	s_add_u32 s0, s16, s5
	s_addc_u32 s1, s17, s6
	s_cmp_lg_u32 s18, 0
	s_cselect_b32 s13, -1, 0
	v_lshlrev_b64 v[21:22], 3, v[1:2]
	s_cmp_eq_u32 s18, 0
	s_cselect_b32 s7, -1, 0
	s_delay_alu instid0(VALU_DEP_1) | instskip(NEXT) | instid1(VALU_DEP_2)
	v_add_co_u32 v1, vcc_lo, s0, v21
	v_add_co_ci_u32_e32 v2, vcc_lo, s1, v22, vcc_lo
	s_and_b32 vcc_lo, exec_lo, s13
	s_cbranch_vccnz .LBB119_12
; %bb.11:
	s_lshl_b32 s0, s8, 3
	s_ashr_i32 s9, s8, 31
	s_ashr_i32 s1, s0, 31
	v_mul_u32_u24_e32 v12, 33, v5
	s_lshl_b64 s[0:1], s[0:1], 3
	s_mov_b32 s4, 0
	v_add_co_u32 v3, vcc_lo, v1, s0
	v_add_co_ci_u32_e32 v4, vcc_lo, s1, v2, vcc_lo
	s_lshl_b64 s[0:1], s[8:9], 6
	v_add_lshl_u32 v12, v12, v0, 3
	s_delay_alu instid0(VALU_DEP_3) | instskip(NEXT) | instid1(VALU_DEP_3)
	v_add_co_u32 v6, vcc_lo, v3, s0
	v_add_co_ci_u32_e32 v7, vcc_lo, s1, v4, vcc_lo
	s_delay_alu instid0(VALU_DEP_2) | instskip(NEXT) | instid1(VALU_DEP_2)
	v_add_co_u32 v8, vcc_lo, v6, s0
	v_add_co_ci_u32_e32 v9, vcc_lo, s1, v7, vcc_lo
	s_clause 0x1
	global_load_b64 v[10:11], v[1:2], off
	global_load_b64 v[3:4], v[3:4], off
	;; [unrolled: 1-line block ×4, first 2 shown]
	s_waitcnt vmcnt(3)
	ds_store_b64 v12, v[10:11]
	s_waitcnt vmcnt(2)
	ds_store_b64 v12, v[3:4] offset:2112
	s_waitcnt vmcnt(1)
	ds_store_b64 v12, v[6:7] offset:4224
	;; [unrolled: 2-line block ×3, first 2 shown]
.LBB119_12:
	s_and_not1_b32 vcc_lo, exec_lo, s4
	s_cbranch_vccnz .LBB119_30
; %bb.13:
	v_lshlrev_b32_e32 v6, 3, v0
	s_ashr_i32 s19, s18, 31
	v_mul_u32_u24_e32 v7, 33, v5
	s_lshl_b64 s[4:5], s[18:19], 3
	v_cmp_le_i32_e64 s0, s18, v5
	v_sub_co_u32 v3, vcc_lo, v1, v6
	v_subrev_co_ci_u32_e32 v4, vcc_lo, 0, v2, vcc_lo
	v_add_lshl_u32 v7, v7, v0, 3
	s_delay_alu instid0(VALU_DEP_3) | instskip(NEXT) | instid1(VALU_DEP_3)
	v_add_co_u32 v3, vcc_lo, v3, s4
	v_add_co_ci_u32_e32 v4, vcc_lo, s5, v4, vcc_lo
	s_delay_alu instid0(VALU_DEP_2) | instskip(NEXT) | instid1(VALU_DEP_2)
	v_add_co_u32 v3, vcc_lo, v3, -8
	v_add_co_ci_u32_e32 v4, vcc_lo, -1, v4, vcc_lo
	v_cmp_gt_i32_e32 vcc_lo, s18, v0
	s_delay_alu instid0(VALU_DEP_2) | instskip(SKIP_1) | instid1(SALU_CYCLE_1)
	v_dual_cndmask_b32 v3, v3, v1 :: v_dual_cndmask_b32 v4, v4, v2
	s_and_saveexec_b32 s1, s0
	s_xor_b32 s0, exec_lo, s1
	s_cbranch_execz .LBB119_15
; %bb.14:
	v_mov_b32_e32 v8, 0
	s_delay_alu instid0(VALU_DEP_1)
	v_mov_b32_e32 v9, v8
	ds_store_b64 v7, v[8:9]
.LBB119_15:
	s_and_not1_saveexec_b32 s0, s0
	s_cbranch_execz .LBB119_17
; %bb.16:
	global_load_b64 v[8:9], v[3:4], off
	s_waitcnt vmcnt(0)
	ds_store_b64 v7, v[8:9]
.LBB119_17:
	s_or_b32 exec_lo, exec_lo, s0
	v_add_nc_u32_e32 v8, 8, v5
	s_delay_alu instid0(VALU_DEP_1) | instskip(NEXT) | instid1(VALU_DEP_1)
	v_cmp_le_i32_e64 s0, s18, v8
	s_and_saveexec_b32 s1, s0
	s_delay_alu instid0(SALU_CYCLE_1)
	s_xor_b32 s0, exec_lo, s1
	s_cbranch_execz .LBB119_19
; %bb.18:
	v_mul_u32_u24_e32 v9, 33, v8
	v_mov_b32_e32 v8, 0
	s_delay_alu instid0(VALU_DEP_2) | instskip(NEXT) | instid1(VALU_DEP_2)
	v_add_lshl_u32 v10, v9, v0, 3
	v_mov_b32_e32 v9, v8
	ds_store_b64 v10, v[8:9]
.LBB119_19:
	s_and_not1_saveexec_b32 s1, s0
	s_cbranch_execz .LBB119_21
; %bb.20:
	s_lshl_b32 s20, s8, 3
	s_delay_alu instid0(SALU_CYCLE_1) | instskip(NEXT) | instid1(SALU_CYCLE_1)
	s_ashr_i32 s21, s20, 31
	s_lshl_b64 s[20:21], s[20:21], 3
	s_delay_alu instid0(SALU_CYCLE_1) | instskip(NEXT) | instid1(VALU_DEP_1)
	v_add_co_u32 v8, s0, v3, s20
	v_add_co_ci_u32_e64 v9, s0, s21, v4, s0
	global_load_b64 v[8:9], v[8:9], off
	s_waitcnt vmcnt(0)
	ds_store_b64 v7, v[8:9] offset:2112
.LBB119_21:
	s_or_b32 exec_lo, exec_lo, s1
	v_add_nc_u32_e32 v8, 16, v5
	s_delay_alu instid0(VALU_DEP_1) | instskip(NEXT) | instid1(VALU_DEP_1)
	v_cmp_le_i32_e64 s0, s18, v8
	s_and_saveexec_b32 s1, s0
	s_delay_alu instid0(SALU_CYCLE_1)
	s_xor_b32 s0, exec_lo, s1
	s_cbranch_execz .LBB119_23
; %bb.22:
	v_mul_u32_u24_e32 v9, 33, v8
	v_mov_b32_e32 v8, 0
	s_delay_alu instid0(VALU_DEP_2) | instskip(NEXT) | instid1(VALU_DEP_2)
	v_add_lshl_u32 v10, v9, v0, 3
	v_mov_b32_e32 v9, v8
	ds_store_b64 v10, v[8:9]
.LBB119_23:
	s_and_not1_saveexec_b32 s1, s0
	s_cbranch_execz .LBB119_25
; %bb.24:
	s_lshl_b32 s20, s8, 4
	s_delay_alu instid0(SALU_CYCLE_1) | instskip(NEXT) | instid1(SALU_CYCLE_1)
	s_ashr_i32 s21, s20, 31
	s_lshl_b64 s[20:21], s[20:21], 3
	s_delay_alu instid0(SALU_CYCLE_1) | instskip(NEXT) | instid1(VALU_DEP_1)
	v_add_co_u32 v8, s0, v3, s20
	v_add_co_ci_u32_e64 v9, s0, s21, v4, s0
	global_load_b64 v[8:9], v[8:9], off
	s_waitcnt vmcnt(0)
	ds_store_b64 v7, v[8:9] offset:4224
.LBB119_25:
	s_or_b32 exec_lo, exec_lo, s1
	v_add_nc_u32_e32 v8, 24, v5
	s_delay_alu instid0(VALU_DEP_1) | instskip(NEXT) | instid1(VALU_DEP_1)
	v_cmp_le_i32_e64 s0, s18, v8
	s_and_saveexec_b32 s1, s0
	s_delay_alu instid0(SALU_CYCLE_1)
	s_xor_b32 s0, exec_lo, s1
	s_cbranch_execz .LBB119_27
; %bb.26:
	v_mov_b32_e32 v8, 0
	s_delay_alu instid0(VALU_DEP_1)
	v_mov_b32_e32 v9, v8
	ds_store_b64 v7, v[8:9] offset:6336
                                        ; implicit-def: $vgpr7
.LBB119_27:
	s_and_not1_saveexec_b32 s1, s0
	s_cbranch_execz .LBB119_29
; %bb.28:
	s_mul_i32 s20, s8, 24
	s_delay_alu instid0(SALU_CYCLE_1) | instskip(NEXT) | instid1(SALU_CYCLE_1)
	s_ashr_i32 s21, s20, 31
	s_lshl_b64 s[20:21], s[20:21], 3
	s_delay_alu instid0(SALU_CYCLE_1) | instskip(NEXT) | instid1(VALU_DEP_1)
	v_add_co_u32 v8, s0, v3, s20
	v_add_co_ci_u32_e64 v9, s0, s21, v4, s0
	global_load_b64 v[8:9], v[8:9], off
	s_waitcnt vmcnt(0)
	ds_store_b64 v7, v[8:9] offset:6336
.LBB119_29:
	s_or_b32 exec_lo, exec_lo, s1
	v_add_co_u32 v3, s0, v3, v6
	s_delay_alu instid0(VALU_DEP_1) | instskip(NEXT) | instid1(VALU_DEP_2)
	v_add_co_ci_u32_e64 v4, s0, 0, v4, s0
	v_sub_co_u32 v3, s0, v3, s4
	s_delay_alu instid0(VALU_DEP_1) | instskip(NEXT) | instid1(VALU_DEP_2)
	v_subrev_co_ci_u32_e64 v4, s0, s5, v4, s0
	v_add_co_u32 v3, s0, v3, 8
	s_delay_alu instid0(VALU_DEP_1) | instskip(NEXT) | instid1(VALU_DEP_1)
	v_add_co_ci_u32_e64 v4, s0, 0, v4, s0
	v_dual_cndmask_b32 v1, v3, v1 :: v_dual_cndmask_b32 v2, v4, v2
.LBB119_30:
	v_lshlrev_b32_e32 v3, 2, v5
	v_mul_u32_u24_e32 v27, 33, v0
	v_mul_u32_u24_e32 v7, 0x84, v5
	s_waitcnt lgkmcnt(0)
	s_barrier
	v_cmp_lt_u32_e64 s1, v3, v0
	v_add_lshl_u32 v4, v3, v27, 3
	buffer_gl0_inv
	s_and_saveexec_b32 s0, s1
	s_cbranch_execz .LBB119_32
; %bb.31:
	v_add_lshl_u32 v6, v7, v0, 3
	ds_load_b64 v[8:9], v6
	s_waitcnt lgkmcnt(0)
	ds_store_b64 v4, v[8:9]
.LBB119_32:
	s_or_b32 exec_lo, exec_lo, s0
	v_or_b32_e32 v6, 1, v3
	s_delay_alu instid0(VALU_DEP_1) | instskip(NEXT) | instid1(VALU_DEP_1)
	v_cmp_lt_u32_e64 s4, v6, v0
	s_and_saveexec_b32 s0, s4
	s_cbranch_execz .LBB119_34
; %bb.33:
	v_mul_u32_u24_e32 v6, 33, v6
	s_delay_alu instid0(VALU_DEP_1)
	v_add_lshl_u32 v6, v6, v0, 3
	ds_load_b64 v[8:9], v6
	s_waitcnt lgkmcnt(0)
	ds_store_b64 v4, v[8:9] offset:8
.LBB119_34:
	s_or_b32 exec_lo, exec_lo, s0
	v_or_b32_e32 v6, 2, v3
	s_delay_alu instid0(VALU_DEP_1) | instskip(NEXT) | instid1(VALU_DEP_1)
	v_cmp_lt_u32_e64 s5, v6, v0
	s_and_saveexec_b32 s0, s5
	s_cbranch_execz .LBB119_36
; %bb.35:
	v_mul_u32_u24_e32 v6, 33, v6
	s_delay_alu instid0(VALU_DEP_1)
	v_add_lshl_u32 v6, v6, v0, 3
	ds_load_b64 v[8:9], v6
	s_waitcnt lgkmcnt(0)
	ds_store_b64 v4, v[8:9] offset:16
.LBB119_36:
	s_or_b32 exec_lo, exec_lo, s0
	v_or_b32_e32 v6, 3, v3
	s_delay_alu instid0(VALU_DEP_1) | instskip(SKIP_1) | instid1(VALU_DEP_2)
	v_mad_u32_u24 v8, v6, 33, v0
	v_cmp_lt_u32_e64 s6, v6, v0
	v_lshlrev_b32_e32 v6, 3, v8
	s_delay_alu instid0(VALU_DEP_2)
	s_and_saveexec_b32 s0, s6
	s_cbranch_execz .LBB119_38
; %bb.37:
	ds_load_b64 v[8:9], v6
	s_waitcnt lgkmcnt(0)
	ds_store_b64 v4, v[8:9] offset:24
.LBB119_38:
	s_or_b32 exec_lo, exec_lo, s0
	v_add_lshl_u32 v7, v7, v0, 3
	v_lshlrev_b32_e32 v3, 3, v3
	v_add_nc_u32_e32 v8, 0xfffffdf0, v6
	s_waitcnt lgkmcnt(0)
	s_barrier
	buffer_gl0_inv
	ds_load_b64 v[13:14], v7
	ds_load_b128 v[9:12], v3 offset:9088
	ds_load_2addr_b64 v[28:31], v8 offset1:33
	ds_load_b128 v[32:35], v3 offset:9104
	ds_load_b64 v[17:18], v6
	v_cmp_gt_u32_e64 s0, 32, v26
	s_waitcnt lgkmcnt(0)
	s_barrier
	buffer_gl0_inv
	v_dual_mul_f32 v15, v10, v14 :: v_dual_mul_f32 v24, v11, v29
	v_dual_mul_f32 v14, v9, v14 :: v_dual_mul_f32 v23, v12, v29
	v_mul_f32_e32 v29, v33, v31
	s_delay_alu instid0(VALU_DEP_3) | instskip(NEXT) | instid1(VALU_DEP_3)
	v_fma_f32 v9, v9, v13, -v15
	v_dual_mul_f32 v31, v32, v31 :: v_dual_fmac_f32 v14, v10, v13
	v_mul_f32_e32 v10, v35, v18
	v_fma_f32 v11, v11, v28, -v23
	s_delay_alu instid0(VALU_DEP_4) | instskip(NEXT) | instid1(VALU_DEP_4)
	v_dual_fmac_f32 v24, v12, v28 :: v_dual_add_f32 v9, 0, v9
	v_add_f32_e32 v12, 0, v14
	v_dual_mul_f32 v13, v34, v18 :: v_dual_mov_b32 v18, 0
	v_fma_f32 v14, v32, v30, -v29
	s_delay_alu instid0(VALU_DEP_4) | instskip(NEXT) | instid1(VALU_DEP_4)
	v_add_f32_e32 v9, v9, v11
	v_add_f32_e32 v11, v12, v24
	s_delay_alu instid0(VALU_DEP_4)
	v_fmac_f32_e32 v13, v35, v17
	v_fmac_f32_e32 v31, v33, v30
	v_fma_f32 v10, v34, v17, -v10
	v_add_f32_e32 v9, v9, v14
	v_add_lshl_u32 v28, v5, v27, 3
	v_mov_b32_e32 v17, 0
	v_add_f32_e32 v11, v11, v31
	s_delay_alu instid0(VALU_DEP_1)
	v_dual_add_f32 v9, v9, v10 :: v_dual_add_f32 v10, v11, v13
	ds_store_b64 v28, v[9:10]
	s_waitcnt lgkmcnt(0)
	s_barrier
	buffer_gl0_inv
	s_and_saveexec_b32 s9, s0
	s_cbranch_execz .LBB119_40
; %bb.39:
	v_lshlrev_b32_e32 v13, 3, v27
	ds_load_2addr_b64 v[9:12], v13 offset1:7
	ds_load_2addr_b64 v[29:32], v13 offset0:1 offset1:2
	ds_load_2addr_b64 v[33:36], v13 offset0:3 offset1:4
	;; [unrolled: 1-line block ×3, first 2 shown]
	s_waitcnt lgkmcnt(2)
	v_dual_add_f32 v10, v30, v10 :: v_dual_add_f32 v9, v29, v9
	s_delay_alu instid0(VALU_DEP_1) | instskip(SKIP_1) | instid1(VALU_DEP_1)
	v_dual_add_f32 v10, v10, v32 :: v_dual_add_f32 v9, v9, v31
	s_waitcnt lgkmcnt(1)
	v_dual_add_f32 v10, v10, v34 :: v_dual_add_f32 v9, v9, v33
	s_delay_alu instid0(VALU_DEP_1) | instskip(SKIP_1) | instid1(VALU_DEP_1)
	v_dual_add_f32 v10, v10, v36 :: v_dual_add_f32 v9, v9, v35
	s_waitcnt lgkmcnt(0)
	v_dual_add_f32 v10, v10, v38 :: v_dual_add_f32 v9, v9, v37
	s_delay_alu instid0(VALU_DEP_1) | instskip(NEXT) | instid1(VALU_DEP_1)
	v_dual_add_f32 v10, v10, v40 :: v_dual_add_f32 v9, v9, v39
	v_dual_add_f32 v18, v10, v12 :: v_dual_add_f32 v17, v9, v11
.LBB119_40:
	s_or_b32 exec_lo, exec_lo, s9
	s_lshl_b32 s20, s8, 5
	v_cndmask_b32_e64 v9, 0, 1, s7
	s_ashr_i32 s21, s20, 31
	s_delay_alu instid0(SALU_CYCLE_1)
	s_lshl_b64 s[20:21], s[20:21], 3
	s_barrier
	v_add_co_u32 v1, vcc_lo, v1, s20
	v_add_co_ci_u32_e32 v2, vcc_lo, s21, v2, vcc_lo
	buffer_gl0_inv
	v_add_co_u32 v10, vcc_lo, 0x100, v1
	v_add_co_ci_u32_e32 v11, vcc_lo, 0, v2, vcc_lo
	s_and_not1_b32 vcc_lo, exec_lo, s7
	s_cbranch_vccnz .LBB119_42
; %bb.41:
	s_lshl_b32 s22, s8, 3
	s_ashr_i32 s9, s8, 31
	s_ashr_i32 s23, s22, 31
	v_mul_u32_u24_e32 v29, 33, v5
	s_lshl_b64 s[22:23], s[22:23], 3
	s_delay_alu instid0(SALU_CYCLE_1) | instskip(SKIP_3) | instid1(VALU_DEP_3)
	v_add_co_u32 v12, vcc_lo, v1, s22
	v_add_co_ci_u32_e32 v13, vcc_lo, s23, v2, vcc_lo
	s_lshl_b64 s[22:23], s[8:9], 6
	v_add_lshl_u32 v29, v29, v0, 3
	v_add_co_u32 v14, vcc_lo, v12, s22
	s_delay_alu instid0(VALU_DEP_3) | instskip(NEXT) | instid1(VALU_DEP_2)
	v_add_co_ci_u32_e32 v15, vcc_lo, s23, v13, vcc_lo
	v_add_co_u32 v23, vcc_lo, v14, s22
	s_delay_alu instid0(VALU_DEP_2)
	v_add_co_ci_u32_e32 v24, vcc_lo, s23, v15, vcc_lo
	s_clause 0x3
	global_load_b64 v[1:2], v[1:2], off offset:256
	global_load_b64 v[12:13], v[12:13], off offset:256
	;; [unrolled: 1-line block ×4, first 2 shown]
	s_waitcnt vmcnt(3)
	ds_store_b64 v29, v[1:2]
	s_waitcnt vmcnt(2)
	ds_store_b64 v29, v[12:13] offset:2112
	s_waitcnt vmcnt(1)
	ds_store_b64 v29, v[14:15] offset:4224
	;; [unrolled: 2-line block ×3, first 2 shown]
	s_cbranch_execz .LBB119_43
	s_branch .LBB119_60
.LBB119_42:
.LBB119_43:
	v_lshlrev_b32_e32 v12, 3, v0
	s_ashr_i32 s19, s18, 31
	v_or_b32_e32 v13, 32, v0
	s_lshl_b64 s[22:23], s[18:19], 3
	s_sub_i32 s9, s18, 32
	v_sub_co_u32 v1, vcc_lo, v10, v12
	v_subrev_co_ci_u32_e32 v2, vcc_lo, 0, v11, vcc_lo
	v_cmp_le_i32_e64 s7, s9, v5
	s_delay_alu instid0(VALU_DEP_3) | instskip(NEXT) | instid1(VALU_DEP_3)
	v_add_co_u32 v1, vcc_lo, v1, s22
	v_add_co_ci_u32_e32 v2, vcc_lo, s23, v2, vcc_lo
	s_delay_alu instid0(VALU_DEP_2) | instskip(NEXT) | instid1(VALU_DEP_2)
	v_add_co_u32 v1, vcc_lo, 0xfffffef8, v1
	v_add_co_ci_u32_e32 v2, vcc_lo, -1, v2, vcc_lo
	v_cmp_gt_i32_e32 vcc_lo, s18, v13
	v_mul_u32_u24_e32 v13, 33, v5
	s_delay_alu instid0(VALU_DEP_3) | instskip(NEXT) | instid1(VALU_DEP_2)
	v_dual_cndmask_b32 v1, v1, v10 :: v_dual_cndmask_b32 v2, v2, v11
	v_add_lshl_u32 v13, v13, v0, 3
	s_and_saveexec_b32 s19, s7
	s_delay_alu instid0(SALU_CYCLE_1)
	s_xor_b32 s7, exec_lo, s19
	s_cbranch_execz .LBB119_45
; %bb.44:
	v_mov_b32_e32 v14, 0
	s_delay_alu instid0(VALU_DEP_1)
	v_mov_b32_e32 v15, v14
	ds_store_b64 v13, v[14:15]
.LBB119_45:
	s_and_not1_saveexec_b32 s7, s7
	s_cbranch_execz .LBB119_47
; %bb.46:
	global_load_b64 v[14:15], v[1:2], off
	s_waitcnt vmcnt(0)
	ds_store_b64 v13, v[14:15]
.LBB119_47:
	s_or_b32 exec_lo, exec_lo, s7
	v_add_nc_u32_e32 v14, 8, v5
	s_delay_alu instid0(VALU_DEP_1) | instskip(NEXT) | instid1(VALU_DEP_1)
	v_cmp_le_i32_e64 s7, s9, v14
	s_and_saveexec_b32 s19, s7
	s_delay_alu instid0(SALU_CYCLE_1)
	s_xor_b32 s7, exec_lo, s19
	s_cbranch_execz .LBB119_49
; %bb.48:
	v_mul_u32_u24_e32 v15, 33, v14
	v_mov_b32_e32 v14, 0
	s_delay_alu instid0(VALU_DEP_2) | instskip(NEXT) | instid1(VALU_DEP_2)
	v_add_lshl_u32 v23, v15, v0, 3
	v_mov_b32_e32 v15, v14
	ds_store_b64 v23, v[14:15]
.LBB119_49:
	s_and_not1_saveexec_b32 s19, s7
	s_cbranch_execz .LBB119_51
; %bb.50:
	s_lshl_b32 s28, s8, 3
	s_delay_alu instid0(SALU_CYCLE_1) | instskip(NEXT) | instid1(SALU_CYCLE_1)
	s_ashr_i32 s29, s28, 31
	s_lshl_b64 s[28:29], s[28:29], 3
	s_delay_alu instid0(SALU_CYCLE_1) | instskip(NEXT) | instid1(VALU_DEP_1)
	v_add_co_u32 v14, s7, v1, s28
	v_add_co_ci_u32_e64 v15, s7, s29, v2, s7
	global_load_b64 v[14:15], v[14:15], off
	s_waitcnt vmcnt(0)
	ds_store_b64 v13, v[14:15] offset:2112
.LBB119_51:
	s_or_b32 exec_lo, exec_lo, s19
	v_add_nc_u32_e32 v14, 16, v5
	s_delay_alu instid0(VALU_DEP_1) | instskip(NEXT) | instid1(VALU_DEP_1)
	v_cmp_le_i32_e64 s7, s9, v14
	s_and_saveexec_b32 s19, s7
	s_delay_alu instid0(SALU_CYCLE_1)
	s_xor_b32 s7, exec_lo, s19
	s_cbranch_execz .LBB119_53
; %bb.52:
	v_mul_u32_u24_e32 v15, 33, v14
	v_mov_b32_e32 v14, 0
	s_delay_alu instid0(VALU_DEP_2) | instskip(NEXT) | instid1(VALU_DEP_2)
	v_add_lshl_u32 v23, v15, v0, 3
	v_mov_b32_e32 v15, v14
	ds_store_b64 v23, v[14:15]
.LBB119_53:
	s_and_not1_saveexec_b32 s19, s7
	s_cbranch_execz .LBB119_55
; %bb.54:
	s_lshl_b32 s28, s8, 4
	s_delay_alu instid0(SALU_CYCLE_1) | instskip(NEXT) | instid1(SALU_CYCLE_1)
	s_ashr_i32 s29, s28, 31
	s_lshl_b64 s[28:29], s[28:29], 3
	s_delay_alu instid0(SALU_CYCLE_1) | instskip(NEXT) | instid1(VALU_DEP_1)
	v_add_co_u32 v14, s7, v1, s28
	v_add_co_ci_u32_e64 v15, s7, s29, v2, s7
	global_load_b64 v[14:15], v[14:15], off
	s_waitcnt vmcnt(0)
	ds_store_b64 v13, v[14:15] offset:4224
.LBB119_55:
	s_or_b32 exec_lo, exec_lo, s19
	v_add_nc_u32_e32 v14, 24, v5
	s_delay_alu instid0(VALU_DEP_1) | instskip(NEXT) | instid1(VALU_DEP_1)
	v_cmp_le_i32_e64 s7, s9, v14
	s_and_saveexec_b32 s9, s7
	s_delay_alu instid0(SALU_CYCLE_1)
	s_xor_b32 s7, exec_lo, s9
	s_cbranch_execz .LBB119_57
; %bb.56:
	v_mov_b32_e32 v14, 0
	s_delay_alu instid0(VALU_DEP_1)
	v_mov_b32_e32 v15, v14
	ds_store_b64 v13, v[14:15] offset:6336
                                        ; implicit-def: $vgpr13
.LBB119_57:
	s_and_not1_saveexec_b32 s9, s7
	s_cbranch_execz .LBB119_59
; %bb.58:
	s_mul_i32 s28, s8, 24
	s_delay_alu instid0(SALU_CYCLE_1) | instskip(NEXT) | instid1(SALU_CYCLE_1)
	s_ashr_i32 s29, s28, 31
	s_lshl_b64 s[28:29], s[28:29], 3
	s_delay_alu instid0(SALU_CYCLE_1) | instskip(NEXT) | instid1(VALU_DEP_1)
	v_add_co_u32 v14, s7, v1, s28
	v_add_co_ci_u32_e64 v15, s7, s29, v2, s7
	global_load_b64 v[14:15], v[14:15], off
	s_waitcnt vmcnt(0)
	ds_store_b64 v13, v[14:15] offset:6336
.LBB119_59:
	s_or_b32 exec_lo, exec_lo, s9
	v_add_co_u32 v1, s7, v1, v12
	s_delay_alu instid0(VALU_DEP_1) | instskip(NEXT) | instid1(VALU_DEP_2)
	v_add_co_ci_u32_e64 v2, s7, 0, v2, s7
	v_sub_co_u32 v1, s7, v1, s22
	s_delay_alu instid0(VALU_DEP_1) | instskip(NEXT) | instid1(VALU_DEP_2)
	v_subrev_co_ci_u32_e64 v2, s7, s23, v2, s7
	v_add_co_u32 v1, s7, 0x108, v1
	s_delay_alu instid0(VALU_DEP_1) | instskip(NEXT) | instid1(VALU_DEP_1)
	v_add_co_ci_u32_e64 v2, s7, 0, v2, s7
	v_dual_cndmask_b32 v10, v1, v10 :: v_dual_cndmask_b32 v11, v2, v11
.LBB119_60:
	v_add_nc_u32_e32 v3, 0x2380, v3
	s_waitcnt lgkmcnt(0)
	s_barrier
	buffer_gl0_inv
	s_and_saveexec_b32 s7, s1
	s_cbranch_execnz .LBB119_69
; %bb.61:
	s_or_b32 exec_lo, exec_lo, s7
	s_and_saveexec_b32 s1, s4
	s_cbranch_execnz .LBB119_70
.LBB119_62:
	s_or_b32 exec_lo, exec_lo, s1
	s_and_saveexec_b32 s1, s5
	s_cbranch_execnz .LBB119_71
.LBB119_63:
	s_or_b32 exec_lo, exec_lo, s1
	s_and_saveexec_b32 s1, s6
	s_cbranch_execz .LBB119_65
.LBB119_64:
	ds_load_b64 v[1:2], v6
	s_waitcnt lgkmcnt(0)
	ds_store_b64 v4, v[1:2] offset:24
.LBB119_65:
	s_or_b32 exec_lo, exec_lo, s1
	s_waitcnt lgkmcnt(0)
	s_barrier
	buffer_gl0_inv
	ds_load_b64 v[1:2], v7
	ds_load_b128 v[12:15], v3 offset:256
	ds_load_2addr_b64 v[29:32], v8 offset1:33
	ds_load_b128 v[33:36], v3 offset:272
	ds_load_b64 v[6:7], v6
	v_cmp_eq_u32_e64 s1, 1, v5
	s_waitcnt lgkmcnt(0)
	s_barrier
	buffer_gl0_inv
	v_mul_f32_e32 v8, v13, v2
	v_mul_f32_e32 v2, v12, v2
	;; [unrolled: 1-line block ×5, first 2 shown]
	v_fma_f32 v8, v12, v1, -v8
	v_dual_fmac_f32 v2, v13, v1 :: v_dual_mul_f32 v1, v36, v7
	v_fma_f32 v12, v14, v29, -v23
	v_fmac_f32_e32 v24, v15, v29
	v_dual_mul_f32 v7, v35, v7 :: v_dual_mul_f32 v32, v33, v32
	s_delay_alu instid0(VALU_DEP_4)
	v_add_f32_e32 v2, 0, v2
	v_fma_f32 v1, v35, v6, -v1
	v_add_f32_e32 v8, 0, v8
	v_fma_f32 v13, v33, v31, -v30
	v_dual_fmac_f32 v7, v36, v6 :: v_dual_fmac_f32 v32, v34, v31
	v_add_f32_e32 v2, v2, v24
	s_delay_alu instid0(VALU_DEP_4) | instskip(NEXT) | instid1(VALU_DEP_2)
	v_add_f32_e32 v8, v8, v12
	v_add_f32_e32 v2, v2, v32
	s_delay_alu instid0(VALU_DEP_2) | instskip(NEXT) | instid1(VALU_DEP_2)
	v_add_f32_e32 v6, v8, v13
	v_add_f32_e32 v2, v2, v7
	s_delay_alu instid0(VALU_DEP_2)
	v_add_f32_e32 v1, v6, v1
	ds_store_b64 v28, v[1:2]
	s_waitcnt lgkmcnt(0)
	s_barrier
	buffer_gl0_inv
	s_and_saveexec_b32 s4, s1
	s_cbranch_execz .LBB119_67
; %bb.66:
	v_lshlrev_b32_e32 v1, 3, v27
	ds_load_2addr_b64 v[12:15], v1 offset1:7
	ds_load_2addr_b64 v[29:32], v1 offset0:1 offset1:2
	ds_load_2addr_b64 v[33:36], v1 offset0:3 offset1:4
	;; [unrolled: 1-line block ×3, first 2 shown]
	s_waitcnt lgkmcnt(2)
	v_add_f32_e32 v2, v30, v13
	s_delay_alu instid0(VALU_DEP_1) | instskip(SKIP_1) | instid1(VALU_DEP_1)
	v_add_f32_e32 v2, v2, v32
	s_waitcnt lgkmcnt(1)
	v_dual_add_f32 v1, v29, v12 :: v_dual_add_f32 v2, v2, v34
	s_delay_alu instid0(VALU_DEP_1) | instskip(SKIP_1) | instid1(VALU_DEP_1)
	v_dual_add_f32 v1, v1, v31 :: v_dual_add_f32 v2, v2, v36
	s_waitcnt lgkmcnt(0)
	v_dual_add_f32 v1, v1, v33 :: v_dual_add_f32 v2, v2, v38
	s_delay_alu instid0(VALU_DEP_1) | instskip(NEXT) | instid1(VALU_DEP_1)
	v_dual_add_f32 v1, v1, v35 :: v_dual_add_f32 v2, v2, v40
	v_dual_add_f32 v1, v1, v37 :: v_dual_add_f32 v18, v2, v15
	s_delay_alu instid0(VALU_DEP_1) | instskip(NEXT) | instid1(VALU_DEP_1)
	v_add_f32_e32 v1, v1, v39
	v_add_f32_e32 v17, v1, v14
.LBB119_67:
	s_or_b32 exec_lo, exec_lo, s4
	v_cmp_ne_u32_e32 vcc_lo, 1, v9
	v_sub_co_u32 v23, s4, v10, s20
	s_delay_alu instid0(VALU_DEP_1)
	v_subrev_co_ci_u32_e64 v24, s4, s21, v11, s4
	s_barrier
	buffer_gl0_inv
	s_cbranch_vccnz .LBB119_72
; %bb.68:
	s_lshl_b32 s4, s8, 3
	s_ashr_i32 s9, s8, 31
	s_ashr_i32 s5, s4, 31
	v_add_nc_u32_e32 v10, 24, v5
	s_lshl_b64 s[4:5], s[4:5], 3
	s_delay_alu instid0(SALU_CYCLE_1)
	v_add_co_u32 v1, vcc_lo, v23, s4
	v_add_co_ci_u32_e32 v2, vcc_lo, s5, v24, vcc_lo
	s_lshl_b64 s[4:5], s[8:9], 6
	s_delay_alu instid0(VALU_DEP_2) | instid1(SALU_CYCLE_1)
	v_add_co_u32 v6, vcc_lo, v1, s4
	s_delay_alu instid0(VALU_DEP_2) | instskip(NEXT) | instid1(VALU_DEP_2)
	v_add_co_ci_u32_e32 v7, vcc_lo, s5, v2, vcc_lo
	v_add_co_u32 v8, vcc_lo, v6, s4
	s_delay_alu instid0(VALU_DEP_2)
	v_add_co_ci_u32_e32 v9, vcc_lo, s5, v7, vcc_lo
	s_clause 0x3
	global_load_b64 v[12:13], v[23:24], off
	global_load_b64 v[14:15], v[1:2], off
	;; [unrolled: 1-line block ×4, first 2 shown]
	v_mad_u32_u24 v6, v5, 33, v0
	v_add_nc_u32_e32 v7, 8, v5
	v_add_nc_u32_e32 v8, 16, v5
	s_delay_alu instid0(VALU_DEP_3)
	v_lshlrev_b32_e32 v9, 3, v6
	v_add_nc_u32_e32 v1, 0x108, v6
	v_add_nc_u32_e32 v2, 0x210, v6
	;; [unrolled: 1-line block ×3, first 2 shown]
	s_waitcnt vmcnt(3)
	ds_store_b64 v9, v[12:13]
	s_waitcnt vmcnt(2)
	ds_store_b64 v9, v[14:15] offset:2112
	s_waitcnt vmcnt(1)
	ds_store_b64 v9, v[29:30] offset:4224
	;; [unrolled: 2-line block ×3, first 2 shown]
	s_cbranch_execz .LBB119_73
	s_branch .LBB119_90
.LBB119_69:
	ds_load_b64 v[1:2], v7
	s_waitcnt lgkmcnt(0)
	ds_store_b64 v4, v[1:2]
	s_or_b32 exec_lo, exec_lo, s7
	s_and_saveexec_b32 s1, s4
	s_cbranch_execz .LBB119_62
.LBB119_70:
	ds_load_b64 v[1:2], v8
	s_waitcnt lgkmcnt(0)
	ds_store_b64 v4, v[1:2] offset:8
	s_or_b32 exec_lo, exec_lo, s1
	s_and_saveexec_b32 s1, s5
	s_cbranch_execz .LBB119_63
.LBB119_71:
	ds_load_b64 v[1:2], v8 offset:264
	s_waitcnt lgkmcnt(0)
	ds_store_b64 v4, v[1:2] offset:16
	s_or_b32 exec_lo, exec_lo, s1
	s_and_saveexec_b32 s1, s6
	s_cbranch_execnz .LBB119_64
	s_branch .LBB119_65
.LBB119_72:
                                        ; implicit-def: $vgpr6
                                        ; implicit-def: $vgpr7
                                        ; implicit-def: $vgpr1
                                        ; implicit-def: $vgpr8
                                        ; implicit-def: $vgpr2
                                        ; implicit-def: $vgpr10
                                        ; implicit-def: $vgpr11
.LBB119_73:
	v_lshlrev_b32_e32 v9, 3, v0
	s_ashr_i32 s19, s18, 31
	v_or_b32_e32 v6, 32, v0
	s_lshl_b64 s[6:7], s[18:19], 3
	v_cmp_le_i32_e64 s4, s18, v5
	v_sub_co_u32 v1, vcc_lo, v23, v9
	v_subrev_co_ci_u32_e32 v2, vcc_lo, 0, v24, vcc_lo
	s_delay_alu instid0(VALU_DEP_2) | instskip(NEXT) | instid1(VALU_DEP_2)
	v_add_co_u32 v1, vcc_lo, v1, s6
	v_add_co_ci_u32_e32 v2, vcc_lo, s7, v2, vcc_lo
	s_delay_alu instid0(VALU_DEP_2) | instskip(NEXT) | instid1(VALU_DEP_2)
	v_add_co_u32 v1, vcc_lo, 0xfffffef8, v1
	v_add_co_ci_u32_e32 v2, vcc_lo, -1, v2, vcc_lo
	v_cmp_gt_i32_e32 vcc_lo, s18, v6
	v_mad_u32_u24 v6, v5, 33, v0
	s_delay_alu instid0(VALU_DEP_3) | instskip(NEXT) | instid1(VALU_DEP_2)
	v_dual_cndmask_b32 v2, v2, v24 :: v_dual_cndmask_b32 v1, v1, v23
	v_lshlrev_b32_e32 v12, 3, v6
	s_and_saveexec_b32 s5, s4
	s_delay_alu instid0(SALU_CYCLE_1)
	s_xor_b32 s4, exec_lo, s5
	s_cbranch_execz .LBB119_75
; %bb.74:
	v_mov_b32_e32 v7, 0
	s_delay_alu instid0(VALU_DEP_1)
	v_mov_b32_e32 v8, v7
	ds_store_b64 v12, v[7:8]
.LBB119_75:
	s_and_not1_saveexec_b32 s4, s4
	s_cbranch_execz .LBB119_77
; %bb.76:
	global_load_b64 v[7:8], v[1:2], off
	s_waitcnt vmcnt(0)
	ds_store_b64 v12, v[7:8]
.LBB119_77:
	s_or_b32 exec_lo, exec_lo, s4
	v_add_nc_u32_e32 v7, 8, v5
	s_delay_alu instid0(VALU_DEP_1) | instskip(NEXT) | instid1(VALU_DEP_1)
	v_cmp_le_i32_e64 s4, s18, v7
	s_and_saveexec_b32 s5, s4
	s_delay_alu instid0(SALU_CYCLE_1)
	s_xor_b32 s4, exec_lo, s5
	s_cbranch_execz .LBB119_79
; %bb.78:
	v_mul_u32_u24_e32 v8, 33, v7
	v_mov_b32_e32 v10, 0
	s_delay_alu instid0(VALU_DEP_2) | instskip(NEXT) | instid1(VALU_DEP_2)
	v_add_lshl_u32 v8, v8, v0, 3
	v_mov_b32_e32 v11, v10
	ds_store_b64 v8, v[10:11]
.LBB119_79:
	s_and_not1_saveexec_b32 s5, s4
	s_cbranch_execz .LBB119_81
; %bb.80:
	s_lshl_b32 s20, s8, 3
	s_delay_alu instid0(SALU_CYCLE_1) | instskip(NEXT) | instid1(SALU_CYCLE_1)
	s_ashr_i32 s21, s20, 31
	s_lshl_b64 s[20:21], s[20:21], 3
	s_delay_alu instid0(SALU_CYCLE_1) | instskip(NEXT) | instid1(VALU_DEP_1)
	v_add_co_u32 v10, s4, v1, s20
	v_add_co_ci_u32_e64 v11, s4, s21, v2, s4
	global_load_b64 v[10:11], v[10:11], off
	s_waitcnt vmcnt(0)
	ds_store_b64 v12, v[10:11] offset:2112
.LBB119_81:
	s_or_b32 exec_lo, exec_lo, s5
	v_add_nc_u32_e32 v8, 16, v5
	s_delay_alu instid0(VALU_DEP_1) | instskip(NEXT) | instid1(VALU_DEP_1)
	v_cmp_le_i32_e64 s4, s18, v8
	s_and_saveexec_b32 s5, s4
	s_delay_alu instid0(SALU_CYCLE_1)
	s_xor_b32 s4, exec_lo, s5
	s_cbranch_execz .LBB119_83
; %bb.82:
	v_mul_u32_u24_e32 v11, 33, v8
	v_mov_b32_e32 v10, 0
	s_delay_alu instid0(VALU_DEP_2) | instskip(NEXT) | instid1(VALU_DEP_2)
	v_add_lshl_u32 v13, v11, v0, 3
	v_mov_b32_e32 v11, v10
	ds_store_b64 v13, v[10:11]
.LBB119_83:
	s_and_not1_saveexec_b32 s5, s4
	s_cbranch_execz .LBB119_85
; %bb.84:
	s_lshl_b32 s20, s8, 4
	s_delay_alu instid0(SALU_CYCLE_1) | instskip(NEXT) | instid1(SALU_CYCLE_1)
	s_ashr_i32 s21, s20, 31
	s_lshl_b64 s[20:21], s[20:21], 3
	s_delay_alu instid0(SALU_CYCLE_1) | instskip(NEXT) | instid1(VALU_DEP_1)
	v_add_co_u32 v10, s4, v1, s20
	v_add_co_ci_u32_e64 v11, s4, s21, v2, s4
	global_load_b64 v[10:11], v[10:11], off
	s_waitcnt vmcnt(0)
	ds_store_b64 v12, v[10:11] offset:4224
.LBB119_85:
	s_or_b32 exec_lo, exec_lo, s5
	v_add_nc_u32_e32 v10, 24, v5
                                        ; implicit-def: $vgpr11
	s_delay_alu instid0(VALU_DEP_1) | instskip(NEXT) | instid1(VALU_DEP_1)
	v_cmp_le_i32_e64 s4, s18, v10
	s_and_saveexec_b32 s5, s4
	s_delay_alu instid0(SALU_CYCLE_1)
	s_xor_b32 s4, exec_lo, s5
	s_cbranch_execz .LBB119_87
; %bb.86:
	v_mad_u32_u24 v11, v10, 33, v0
	v_mov_b32_e32 v12, 0
	s_delay_alu instid0(VALU_DEP_1)
	v_dual_mov_b32 v13, v12 :: v_dual_lshlrev_b32 v0, 3, v11
	ds_store_b64 v0, v[12:13]
                                        ; implicit-def: $vgpr12
.LBB119_87:
	s_and_not1_saveexec_b32 s5, s4
	s_cbranch_execz .LBB119_89
; %bb.88:
	s_mul_i32 s20, s8, 24
	v_add_nc_u32_e32 v11, 0x318, v6
	s_ashr_i32 s21, s20, 31
	s_delay_alu instid0(SALU_CYCLE_1) | instskip(NEXT) | instid1(SALU_CYCLE_1)
	s_lshl_b64 s[20:21], s[20:21], 3
	v_add_co_u32 v13, s4, v1, s20
	s_delay_alu instid0(VALU_DEP_1)
	v_add_co_ci_u32_e64 v14, s4, s21, v2, s4
	global_load_b64 v[13:14], v[13:14], off
	s_waitcnt vmcnt(0)
	ds_store_b64 v12, v[13:14] offset:6336
.LBB119_89:
	s_or_b32 exec_lo, exec_lo, s5
	v_add_co_u32 v0, s4, v1, v9
	s_delay_alu instid0(VALU_DEP_1) | instskip(NEXT) | instid1(VALU_DEP_2)
	v_add_co_ci_u32_e64 v1, s4, 0, v2, s4
	v_sub_co_u32 v0, s4, v0, s6
	s_delay_alu instid0(VALU_DEP_1) | instskip(NEXT) | instid1(VALU_DEP_2)
	v_subrev_co_ci_u32_e64 v1, s4, s7, v1, s4
	v_add_co_u32 v0, s4, 0x108, v0
	s_delay_alu instid0(VALU_DEP_1) | instskip(SKIP_1) | instid1(VALU_DEP_2)
	v_add_co_ci_u32_e64 v2, s4, 0, v1, s4
	v_add_nc_u32_e32 v1, 0x108, v6
	v_dual_cndmask_b32 v23, v0, v23 :: v_dual_cndmask_b32 v24, v2, v24
	v_add_nc_u32_e32 v2, 0x210, v6
.LBB119_90:
	v_lshlrev_b32_e32 v0, 3, v6
	v_lshlrev_b32_e32 v5, 3, v5
	;; [unrolled: 1-line block ×8, first 2 shown]
	s_waitcnt lgkmcnt(0)
	s_barrier
	buffer_gl0_inv
	ds_load_b64 v[29:30], v0
	ds_load_b64 v[31:32], v5 offset:9088
	ds_load_b64 v[33:34], v1
	ds_load_b64 v[35:36], v6 offset:9088
	;; [unrolled: 2-line block ×4, first 2 shown]
	ds_load_b128 v[8:11], v3 offset:256
	ds_load_b128 v[0:3], v3 offset:272
	ds_load_2addr_b64 v[12:15], v4 offset1:1
	ds_load_2addr_b64 v[4:7], v4 offset0:2 offset1:3
	s_waitcnt lgkmcnt(0)
	s_barrier
	buffer_gl0_inv
	v_mul_f32_e32 v45, v32, v30
	v_mul_f32_e32 v30, v31, v30
	;; [unrolled: 1-line block ×5, first 2 shown]
	v_fma_f32 v31, v31, v29, -v45
	v_fmac_f32_e32 v30, v32, v29
	v_fma_f32 v32, v35, v33, -v46
	v_dual_mul_f32 v29, v39, v38 :: v_dual_fmac_f32 v34, v36, v33
	s_delay_alu instid0(VALU_DEP_3) | instskip(SKIP_2) | instid1(VALU_DEP_4)
	v_dual_add_f32 v31, 0, v31 :: v_dual_add_f32 v30, 0, v30
	v_fma_f32 v35, v39, v37, -v47
	v_mul_f32_e32 v48, v44, v42
	v_fmac_f32_e32 v29, v40, v37
	s_delay_alu instid0(VALU_DEP_4) | instskip(NEXT) | instid1(VALU_DEP_3)
	v_dual_add_f32 v31, v31, v32 :: v_dual_add_f32 v30, v30, v34
	v_fma_f32 v32, v43, v41, -v48
	s_delay_alu instid0(VALU_DEP_2) | instskip(NEXT) | instid1(VALU_DEP_3)
	v_add_f32_e32 v31, v31, v35
	v_dual_mul_f32 v33, v43, v42 :: v_dual_add_f32 v30, v30, v29
	s_delay_alu instid0(VALU_DEP_1) | instskip(NEXT) | instid1(VALU_DEP_1)
	v_fmac_f32_e32 v33, v44, v41
	v_dual_add_f32 v29, v31, v32 :: v_dual_add_f32 v30, v30, v33
	ds_store_b64 v28, v[29:30]
	s_waitcnt lgkmcnt(0)
	s_barrier
	buffer_gl0_inv
	s_and_saveexec_b32 s4, s1
	s_cbranch_execz .LBB119_92
; %bb.91:
	v_lshlrev_b32_e32 v41, 3, v27
	ds_load_2addr_b64 v[29:32], v41 offset1:1
	ds_load_2addr_b64 v[33:36], v41 offset0:2 offset1:3
	s_waitcnt lgkmcnt(1)
	v_dual_add_f32 v18, v18, v30 :: v_dual_add_f32 v17, v17, v29
	ds_load_2addr_b64 v[37:40], v41 offset0:4 offset1:5
	v_dual_add_f32 v18, v18, v32 :: v_dual_add_f32 v17, v17, v31
	ds_load_2addr_b64 v[29:32], v41 offset0:6 offset1:7
	s_waitcnt lgkmcnt(2)
	v_dual_add_f32 v18, v18, v34 :: v_dual_add_f32 v17, v17, v33
	s_delay_alu instid0(VALU_DEP_1) | instskip(SKIP_1) | instid1(VALU_DEP_1)
	v_dual_add_f32 v18, v18, v36 :: v_dual_add_f32 v17, v17, v35
	s_waitcnt lgkmcnt(1)
	v_dual_add_f32 v18, v18, v38 :: v_dual_add_f32 v17, v17, v37
	s_delay_alu instid0(VALU_DEP_1) | instskip(SKIP_1) | instid1(VALU_DEP_1)
	v_dual_add_f32 v18, v18, v40 :: v_dual_add_f32 v17, v17, v39
	s_waitcnt lgkmcnt(0)
	v_dual_add_f32 v18, v18, v30 :: v_dual_add_f32 v17, v17, v29
	s_delay_alu instid0(VALU_DEP_1)
	v_dual_add_f32 v18, v18, v32 :: v_dual_add_f32 v17, v17, v31
.LBB119_92:
	s_or_b32 exec_lo, exec_lo, s4
	v_dual_mul_f32 v29, v9, v13 :: v_dual_mul_f32 v30, v11, v15
	v_mul_f32_e32 v13, v8, v13
	s_barrier
	s_delay_alu instid0(VALU_DEP_2) | instskip(SKIP_3) | instid1(VALU_DEP_1)
	v_fma_f32 v8, v8, v12, -v29
	buffer_gl0_inv
	v_dual_add_f32 v8, 0, v8 :: v_dual_mul_f32 v15, v10, v15
	v_fma_f32 v10, v10, v14, -v30
	v_dual_add_f32 v8, v8, v10 :: v_dual_mul_f32 v31, v1, v5
	v_mul_f32_e32 v5, v0, v5
	s_delay_alu instid0(VALU_DEP_4) | instskip(NEXT) | instid1(VALU_DEP_3)
	v_fmac_f32_e32 v15, v11, v14
	v_fma_f32 v0, v0, v4, -v31
	s_delay_alu instid0(VALU_DEP_3) | instskip(NEXT) | instid1(VALU_DEP_2)
	v_fmac_f32_e32 v5, v1, v4
	v_add_f32_e32 v0, v8, v0
	v_fmac_f32_e32 v13, v9, v12
	v_mul_f32_e32 v9, v3, v7
	v_mul_f32_e32 v7, v2, v7
	s_delay_alu instid0(VALU_DEP_2) | instskip(NEXT) | instid1(VALU_DEP_2)
	v_fma_f32 v2, v2, v6, -v9
	v_fmac_f32_e32 v7, v3, v6
	s_delay_alu instid0(VALU_DEP_2) | instskip(NEXT) | instid1(VALU_DEP_1)
	v_dual_add_f32 v0, v0, v2 :: v_dual_add_f32 v11, 0, v13
	v_add_f32_e32 v1, v11, v15
	s_delay_alu instid0(VALU_DEP_1) | instskip(NEXT) | instid1(VALU_DEP_1)
	v_add_f32_e32 v1, v1, v5
	v_add_f32_e32 v1, v1, v7
	ds_store_b64 v28, v[0:1]
	s_waitcnt lgkmcnt(0)
	s_barrier
	buffer_gl0_inv
	s_and_saveexec_b32 s1, s0
	s_cbranch_execz .LBB119_94
; %bb.93:
	v_lshlrev_b32_e32 v12, 3, v27
	ds_load_2addr_b64 v[0:3], v12 offset1:1
	ds_load_2addr_b64 v[4:7], v12 offset0:2 offset1:3
	s_waitcnt lgkmcnt(1)
	v_add_f32_e32 v1, v18, v1
	ds_load_2addr_b64 v[8:11], v12 offset0:4 offset1:5
	v_add_f32_e32 v14, v1, v3
	s_waitcnt lgkmcnt(1)
	s_delay_alu instid0(VALU_DEP_1) | instskip(NEXT) | instid1(VALU_DEP_1)
	v_dual_add_f32 v0, v17, v0 :: v_dual_add_f32 v5, v14, v5
	v_add_f32_e32 v13, v0, v2
	ds_load_2addr_b64 v[0:3], v12 offset0:6 offset1:7
	v_add_f32_e32 v5, v5, v7
	s_waitcnt lgkmcnt(1)
	s_delay_alu instid0(VALU_DEP_1) | instskip(NEXT) | instid1(VALU_DEP_1)
	v_add_f32_e32 v5, v5, v9
	v_add_f32_e32 v5, v5, v11
	s_waitcnt lgkmcnt(0)
	s_delay_alu instid0(VALU_DEP_1) | instskip(NEXT) | instid1(VALU_DEP_1)
	v_add_f32_e32 v1, v5, v1
	v_add_f32_e32 v18, v1, v3
	;; [unrolled: 1-line block ×3, first 2 shown]
	s_delay_alu instid0(VALU_DEP_1) | instskip(NEXT) | instid1(VALU_DEP_1)
	v_add_f32_e32 v4, v4, v6
	v_add_f32_e32 v4, v4, v8
	s_delay_alu instid0(VALU_DEP_1) | instskip(NEXT) | instid1(VALU_DEP_1)
	v_add_f32_e32 v4, v4, v10
	v_add_f32_e32 v0, v4, v0
	s_delay_alu instid0(VALU_DEP_1)
	v_add_f32_e32 v17, v0, v2
.LBB119_94:
	s_or_b32 exec_lo, exec_lo, s1
	s_mul_hi_u32 s0, s25, s15
	s_mul_i32 s27, s27, s15
	s_mul_i32 s1, s25, s15
	s_add_i32 s0, s0, s27
	s_mul_hi_u32 s5, s1, s26
	s_mul_i32 s4, s0, s26
	s_mul_i32 s0, s1, s26
	s_add_i32 s1, s5, s4
	s_mul_i32 s4, s14, s25
	s_lshl_b64 s[0:1], s[0:1], 3
	v_cmp_le_i32_e32 vcc_lo, s18, v25
	s_add_u32 s6, s10, s0
	s_addc_u32 s7, s11, s1
	s_ashr_i32 s5, s4, 31
	v_lshlrev_b32_e32 v72, 3, v25
	s_lshl_b64 s[0:1], s[4:5], 3
	s_delay_alu instid0(SALU_CYCLE_1)
	s_add_u32 s15, s6, s0
	s_addc_u32 s20, s7, s1
	s_and_b32 vcc_lo, s13, vcc_lo
	s_cmp_lt_i32 s14, 1
	s_barrier
	buffer_gl0_inv
	s_cbranch_scc1 .LBB119_101
; %bb.95:
	v_mul_lo_u32 v0, v71, s8
	v_sub_co_u32 v2, s0, v23, s16
	s_delay_alu instid0(VALU_DEP_1) | instskip(SKIP_1) | instid1(VALU_DEP_2)
	v_subrev_co_ci_u32_e64 v3, s0, s17, v24, s0
	s_mul_i32 s4, s12, s24
	v_sub_co_u32 v2, s0, v2, v21
	s_delay_alu instid0(VALU_DEP_4) | instskip(NEXT) | instid1(VALU_DEP_3)
	v_lshl_add_u32 v0, v0, 2, v25
	v_sub_co_ci_u32_e64 v3, s0, v3, v22, s0
	s_ashr_i32 s5, s4, 31
	s_ashr_i32 s19, s18, 31
	s_delay_alu instid0(VALU_DEP_2)
	v_ashrrev_i32_e32 v1, 31, v0
	s_lshl_b64 s[4:5], s[4:5], 3
	s_lshl_b64 s[6:7], s[18:19], 3
	v_and_b32_e32 v7, 48, v25
	v_lshrrev_b32_e32 v6, 4, v26
	v_lshlrev_b64 v[0:1], 3, v[0:1]
	v_add_nc_u32_e32 v75, 0x2180, v72
	v_lshl_add_u32 v80, v71, 5, 0x2180
	v_mad_u32_u24 v81, 0x860, v71, v72
	v_lshlrev_b32_e32 v8, 5, v6
	s_ashr_i32 s9, s8, 31
	v_add_co_u32 v0, s0, v2, v0
	s_delay_alu instid0(VALU_DEP_1) | instskip(SKIP_1) | instid1(VALU_DEP_2)
	v_add_co_ci_u32_e64 v1, s0, v3, v1, s0
	s_lshl_b32 s18, s24, 6
	v_sub_co_u32 v2, s0, v0, v72
	s_delay_alu instid0(VALU_DEP_1) | instskip(SKIP_1) | instid1(VALU_DEP_1)
	v_subrev_co_ci_u32_e64 v3, s0, 0, v1, s0
	v_sub_co_u32 v73, s0, v19, s4
	v_subrev_co_ci_u32_e64 v74, s0, s5, v20, s0
	s_delay_alu instid0(VALU_DEP_4) | instskip(NEXT) | instid1(VALU_DEP_1)
	v_add_co_u32 v2, s0, v2, s6
	v_add_co_ci_u32_e64 v3, s0, s7, v3, s0
	v_add_co_u32 v0, s0, 0xffffff00, v0
	s_delay_alu instid0(VALU_DEP_1) | instskip(NEXT) | instid1(VALU_DEP_4)
	v_add_co_ci_u32_e64 v4, s0, -1, v1, s0
	v_add_co_u32 v2, s0, 0xfffffef8, v2
	s_delay_alu instid0(VALU_DEP_1) | instskip(NEXT) | instid1(VALU_DEP_2)
	v_add_co_ci_u32_e64 v3, s0, -1, v3, s0
	v_dual_cndmask_b32 v2, v0, v2 :: v_dual_and_b32 v5, 15, v25
	v_dual_mov_b32 v1, 0 :: v_dual_lshlrev_b32 v0, 3, v7
	s_delay_alu instid0(VALU_DEP_3) | instskip(SKIP_2) | instid1(VALU_DEP_4)
	v_dual_cndmask_b32 v3, v4, v3 :: v_dual_add_nc_u32 v76, 0x2380, v72
	v_or_b32_e32 v4, 0x78, v72
	v_cmp_gt_u32_e64 s0, 64, v26
	v_mad_u32_u24 v77, 0x218, v5, v0
	v_lshlrev_b32_e32 v0, 3, v6
	v_mad_u32_u24 v79, 0x218, v5, v8
	v_mad_u32_u24 v78, 0x218, v5, v4
	s_lshl_b64 s[4:5], s[8:9], 3
	s_lshl_b64 s[6:7], s[8:9], 9
	v_mad_u32_u24 v82, 0x218, v5, v0
	v_or_b32_e32 v0, v7, v5
	s_lshl_b64 s[10:11], s[8:9], 4
	s_mul_hi_i32 s19, s8, 24
	s_mul_i32 s21, s8, 24
	s_mul_hi_i32 s22, s8, 0x90
	s_mul_i32 s23, s8, 0x90
	;; [unrolled: 2-line block ×10, first 2 shown]
	s_lshl_b64 s[12:13], s[8:9], 8
	s_mul_hi_i32 s41, s8, 0x88
	s_mul_i32 s42, s8, 0x88
	s_lshl_b64 s[8:9], s[8:9], 7
	s_mov_b32 s16, 0
	s_branch .LBB119_97
.LBB119_96:                             ;   in Loop: Header=BB119_97 Depth=1
	s_or_b32 exec_lo, exec_lo, s17
	v_dual_mul_f32 v83, v13, v5 :: v_dual_mul_f32 v84, v30, v11
	v_dual_mul_f32 v13, v13, v4 :: v_dual_mul_f32 v30, v30, v10
	v_mul_f32_e32 v85, v28, v9
	s_delay_alu instid0(VALU_DEP_3) | instskip(SKIP_3) | instid1(VALU_DEP_4)
	v_fma_f32 v4, v12, v4, -v83
	v_dual_mul_f32 v28, v28, v8 :: v_dual_mul_f32 v83, v26, v7
	v_mul_f32_e32 v26, v26, v6
	v_fma_f32 v10, v29, v10, -v84
	v_dual_add_f32 v4, v17, v4 :: v_dual_fmac_f32 v13, v12, v5
	v_mul_f32_e32 v17, v42, v24
	v_fma_f32 v5, v27, v8, -v85
	v_fmac_f32_e32 v30, v29, v11
	s_delay_alu instid0(VALU_DEP_4)
	v_add_f32_e32 v4, v4, v10
	v_fmac_f32_e32 v26, v25, v7
	v_add_f32_e32 v10, v18, v13
	v_fma_f32 v6, v25, v6, -v83
	v_mul_f32_e32 v8, v46, v22
	v_add_f32_e32 v4, v4, v5
	v_mul_f32_e32 v5, v46, v21
	v_dual_fmac_f32 v28, v27, v9 :: v_dual_add_f32 v9, v10, v30
	v_fma_f32 v10, v41, v23, -v17
	v_add_co_u32 v2, s1, v2, s6
	s_delay_alu instid0(VALU_DEP_4) | instskip(NEXT) | instid1(VALU_DEP_4)
	v_dual_fmac_f32 v5, v45, v22 :: v_dual_mul_f32 v42, v42, v23
	v_add_f32_e32 v7, v9, v28
	v_mul_f32_e32 v9, v40, v15
	v_fma_f32 v8, v45, v21, -v8
	v_add_co_ci_u32_e64 v3, s1, s7, v3, s1
	s_delay_alu instid0(VALU_DEP_4) | instskip(NEXT) | instid1(VALU_DEP_4)
	v_dual_fmac_f32 v42, v41, v24 :: v_dual_add_f32 v7, v7, v26
	v_fma_f32 v9, v39, v14, -v9
	v_add_nc_u32_e32 v0, 64, v0
	s_add_i32 s14, s14, -1
	s_add_i32 s16, s16, s18
	v_add_f32_e32 v7, v7, v42
	v_add_f32_e32 v4, v4, v6
	s_cmp_eq_u32 s14, 0
	s_waitcnt_vscnt null, 0x0
	s_barrier
	s_delay_alu instid0(VALU_DEP_1)
	v_dual_add_f32 v5, v7, v5 :: v_dual_add_f32 v4, v4, v10
	v_mul_f32_e32 v7, v40, v14
	v_mul_f32_e32 v6, v44, v20
	buffer_gl0_inv
	v_mul_f32_e32 v10, v66, v47
	v_dual_fmac_f32 v7, v39, v15 :: v_dual_add_f32 v4, v4, v8
	v_mul_f32_e32 v8, v44, v19
	v_fma_f32 v6, v43, v19, -v6
	s_delay_alu instid0(VALU_DEP_4) | instskip(NEXT) | instid1(VALU_DEP_3)
	v_fmac_f32_e32 v10, v65, v48
	v_fmac_f32_e32 v8, v43, v20
	s_delay_alu instid0(VALU_DEP_1) | instskip(NEXT) | instid1(VALU_DEP_1)
	v_dual_add_f32 v5, v5, v8 :: v_dual_mul_f32 v8, v56, v37
	v_dual_add_f32 v5, v5, v7 :: v_dual_add_f32 v4, v4, v6
	s_delay_alu instid0(VALU_DEP_2) | instskip(SKIP_1) | instid1(VALU_DEP_2)
	v_dual_mul_f32 v7, v62, v35 :: v_dual_fmac_f32 v8, v55, v38
	v_mul_f32_e32 v6, v56, v38
	v_dual_add_f32 v4, v4, v9 :: v_dual_fmac_f32 v7, v61, v36
	v_mul_f32_e32 v9, v62, v36
	s_delay_alu instid0(VALU_DEP_4) | instskip(NEXT) | instid1(VALU_DEP_4)
	v_add_f32_e32 v5, v5, v8
	v_fma_f32 v6, v55, v37, -v6
	s_delay_alu instid0(VALU_DEP_2) | instskip(NEXT) | instid1(VALU_DEP_2)
	v_dual_mul_f32 v8, v60, v33 :: v_dual_add_f32 v5, v5, v7
	v_add_f32_e32 v4, v4, v6
	v_fma_f32 v6, v61, v35, -v9
	v_mul_f32_e32 v9, v60, v34
	s_delay_alu instid0(VALU_DEP_4) | instskip(SKIP_1) | instid1(VALU_DEP_4)
	v_fmac_f32_e32 v8, v59, v34
	v_mul_f32_e32 v7, v64, v54
	v_add_f32_e32 v4, v4, v6
	s_delay_alu instid0(VALU_DEP_4) | instskip(NEXT) | instid1(VALU_DEP_4)
	v_fma_f32 v6, v59, v33, -v9
	v_add_f32_e32 v5, v5, v8
	s_delay_alu instid0(VALU_DEP_2) | instskip(NEXT) | instid1(VALU_DEP_1)
	v_dual_mul_f32 v9, v58, v32 :: v_dual_add_f32 v4, v4, v6
	v_fma_f32 v6, v57, v31, -v9
	v_mul_f32_e32 v9, v58, v31
	s_delay_alu instid0(VALU_DEP_1) | instskip(SKIP_2) | instid1(VALU_DEP_3)
	v_dual_fmac_f32 v9, v57, v32 :: v_dual_add_f32 v4, v4, v6
	v_fma_f32 v6, v63, v53, -v7
	v_mul_f32_e32 v7, v70, v52
	v_add_f32_e32 v5, v5, v9
	v_mul_f32_e32 v9, v68, v50
	s_delay_alu instid0(VALU_DEP_4) | instskip(NEXT) | instid1(VALU_DEP_4)
	v_add_f32_e32 v4, v4, v6
	v_fma_f32 v6, v69, v51, -v7
	v_dual_mul_f32 v7, v70, v51 :: v_dual_mul_f32 v8, v64, v53
	s_delay_alu instid0(VALU_DEP_1) | instskip(NEXT) | instid1(VALU_DEP_1)
	v_dual_fmac_f32 v7, v69, v52 :: v_dual_fmac_f32 v8, v63, v54
	v_dual_add_f32 v5, v5, v8 :: v_dual_add_f32 v4, v4, v6
	v_mul_f32_e32 v6, v68, v49
	v_fma_f32 v8, v67, v49, -v9
	v_mul_f32_e32 v9, v66, v48
	s_delay_alu instid0(VALU_DEP_2) | instskip(NEXT) | instid1(VALU_DEP_2)
	v_dual_add_f32 v5, v5, v7 :: v_dual_add_f32 v4, v4, v8
	v_fma_f32 v7, v65, v47, -v9
	s_delay_alu instid0(VALU_DEP_1) | instskip(NEXT) | instid1(VALU_DEP_1)
	v_dual_fmac_f32 v6, v67, v50 :: v_dual_add_f32 v17, v4, v7
	v_add_f32_e32 v5, v5, v6
	s_delay_alu instid0(VALU_DEP_1)
	v_add_f32_e32 v18, v5, v10
	s_cbranch_scc1 .LBB119_101
.LBB119_97:                             ; =>This Inner Loop Header: Depth=1
	s_and_saveexec_b32 s43, s3
	s_cbranch_execz .LBB119_99
; %bb.98:                               ;   in Loop: Header=BB119_97 Depth=1
	s_ashr_i32 s17, s16, 31
	s_delay_alu instid0(SALU_CYCLE_1) | instskip(NEXT) | instid1(SALU_CYCLE_1)
	s_lshl_b64 s[44:45], s[16:17], 3
	v_add_co_u32 v4, s1, v73, s44
	s_delay_alu instid0(VALU_DEP_1)
	v_add_co_ci_u32_e64 v5, s1, s45, v74, s1
	global_load_b64 v[4:5], v[4:5], off
	s_waitcnt vmcnt(0)
	ds_store_b64 v75, v[4:5]
.LBB119_99:                             ;   in Loop: Header=BB119_97 Depth=1
	s_or_b32 exec_lo, exec_lo, s43
	v_add_co_u32 v6, s1, v2, s4
	s_delay_alu instid0(VALU_DEP_1) | instskip(SKIP_1) | instid1(VALU_DEP_1)
	v_add_co_ci_u32_e64 v7, s1, s5, v3, s1
	v_add_co_u32 v8, s1, v2, s10
	v_add_co_ci_u32_e64 v9, s1, s11, v3, s1
	v_add_co_u32 v12, s1, v2, s21
	s_delay_alu instid0(VALU_DEP_1)
	v_add_co_ci_u32_e64 v13, s1, s19, v3, s1
	s_waitcnt lgkmcnt(0)
	s_barrier
	buffer_gl0_inv
	s_clause 0x3
	global_load_b64 v[4:5], v[2:3], off
	global_load_b64 v[10:11], v[6:7], off
	;; [unrolled: 1-line block ×4, first 2 shown]
	ds_load_b64 v[14:15], v76
	ds_load_b64 v[12:13], v80
	v_add_co_u32 v19, s1, v2, s8
	s_delay_alu instid0(VALU_DEP_1) | instskip(SKIP_1) | instid1(VALU_DEP_1)
	v_add_co_ci_u32_e64 v20, s1, s9, v3, s1
	v_add_co_u32 v21, s1, v2, s42
	v_add_co_ci_u32_e64 v22, s1, s41, v3, s1
	v_add_co_u32 v31, s1, v2, s23
	s_delay_alu instid0(VALU_DEP_1)
	v_add_co_ci_u32_e64 v32, s1, s22, v3, s1
	s_waitcnt vmcnt(2) lgkmcnt(1)
	v_mul_f32_e32 v26, v15, v11
	s_waitcnt vmcnt(1)
	v_mul_f32_e32 v34, v15, v8
	s_waitcnt vmcnt(0)
	v_dual_mul_f32 v23, v15, v5 :: v_dual_mul_f32 v36, v14, v7
	v_mul_f32_e32 v25, v15, v10
	v_mul_f32_e32 v27, v15, v9
	v_fmac_f32_e32 v34, v14, v9
	v_mul_f32_e32 v24, v15, v4
	v_fma_f32 v23, v14, v4, -v23
	v_fmac_f32_e32 v25, v14, v11
	v_mul_f32_e32 v28, v15, v7
	v_fma_f32 v33, v14, v8, -v27
	v_fmac_f32_e32 v24, v14, v5
	v_fmac_f32_e32 v36, v15, v6
	s_delay_alu instid0(VALU_DEP_4) | instskip(SKIP_4) | instid1(VALU_DEP_1)
	v_fma_f32 v35, v14, v6, -v28
	ds_store_b64 v81, v[23:24]
	v_fma_f32 v24, v14, v10, -v26
	ds_load_b64 v[29:30], v80 offset:8
	v_add_co_u32 v14, s1, v2, s25
	v_add_co_ci_u32_e64 v15, s1, s24, v3, s1
	ds_store_b64 v81, v[24:25] offset:536
	ds_load_b64 v[27:28], v80 offset:16
	ds_store_b64 v81, v[33:34] offset:1072
	ds_load_b64 v[25:26], v80 offset:24
	ds_store_b64 v81, v[35:36] offset:1608
	s_waitcnt lgkmcnt(0)
	s_barrier
	buffer_gl0_inv
	ds_load_2addr_b64 v[83:86], v79 offset1:1
	ds_load_2addr_b64 v[87:90], v79 offset0:2 offset1:3
	s_waitcnt lgkmcnt(0)
	s_barrier
	buffer_gl0_inv
	s_clause 0x3
	global_load_b64 v[23:24], v[19:20], off
	global_load_b64 v[21:22], v[21:22], off
	;; [unrolled: 1-line block ×4, first 2 shown]
	ds_load_b64 v[31:32], v76
	ds_load_b64 v[41:42], v80 offset:128
	v_add_co_u32 v33, s1, v2, s12
	s_delay_alu instid0(VALU_DEP_1) | instskip(SKIP_1) | instid1(VALU_DEP_1)
	v_add_co_ci_u32_e64 v34, s1, s13, v3, s1
	v_add_co_u32 v35, s1, v2, s40
	v_add_co_ci_u32_e64 v36, s1, s39, v3, s1
	v_add_co_u32 v47, s1, v2, s27
	s_delay_alu instid0(VALU_DEP_1)
	v_add_co_ci_u32_e64 v48, s1, s26, v3, s1
	v_add_f32_e32 v111, 0, v83
	s_waitcnt vmcnt(2) lgkmcnt(1)
	v_mul_f32_e32 v39, v32, v22
	v_mul_f32_e32 v37, v32, v24
	v_mul_f32_e32 v38, v32, v23
	v_mul_f32_e32 v40, v32, v21
	s_waitcnt vmcnt(1)
	v_mul_f32_e32 v43, v32, v20
	v_mul_f32_e32 v50, v32, v19
	s_waitcnt vmcnt(0)
	v_mul_f32_e32 v44, v32, v15
	v_mul_f32_e32 v52, v31, v15
	v_fma_f32 v37, v31, v23, -v37
	v_fmac_f32_e32 v38, v31, v24
	v_fma_f32 v39, v31, v21, -v39
	v_fmac_f32_e32 v40, v31, v22
	;; [unrolled: 2-line block ×4, first 2 shown]
	ds_store_b64 v81, v[37:38]
	ds_load_b64 v[45:46], v80 offset:136
	ds_store_b64 v81, v[39:40] offset:536
	v_add_co_u32 v31, s1, v2, s29
	ds_load_b64 v[43:44], v80 offset:144
	ds_store_b64 v81, v[49:50] offset:1072
	ds_load_b64 v[39:40], v80 offset:152
	ds_store_b64 v81, v[51:52] offset:1608
	s_waitcnt lgkmcnt(0)
	s_barrier
	buffer_gl0_inv
	ds_load_2addr_b64 v[91:94], v79 offset1:1
	ds_load_2addr_b64 v[95:98], v79 offset0:2 offset1:3
	s_waitcnt lgkmcnt(0)
	s_barrier
	buffer_gl0_inv
	global_load_b64 v[37:38], v[33:34], off
	v_add_co_ci_u32_e64 v32, s1, s28, v3, s1
	s_clause 0x2
	global_load_b64 v[35:36], v[35:36], off
	global_load_b64 v[33:34], v[47:48], off
	;; [unrolled: 1-line block ×3, first 2 shown]
	ds_load_b64 v[47:48], v76
	ds_load_b64 v[55:56], v80 offset:256
	v_add_co_u32 v49, s1, v2, s38
	s_delay_alu instid0(VALU_DEP_1) | instskip(SKIP_1) | instid1(VALU_DEP_1)
	v_add_co_ci_u32_e64 v50, s1, s37, v3, s1
	v_add_co_u32 v51, s1, v2, s36
	v_add_co_ci_u32_e64 v52, s1, s35, v3, s1
	v_add_f32_e32 v91, 0, v91
	v_add_co_u32 v63, s1, v2, s31
	s_delay_alu instid0(VALU_DEP_1) | instskip(NEXT) | instid1(VALU_DEP_3)
	v_add_co_ci_u32_e64 v64, s1, s30, v3, s1
	v_dual_add_f32 v92, 0, v92 :: v_dual_add_f32 v91, v91, v93
	s_waitcnt vmcnt(3) lgkmcnt(1)
	v_mul_f32_e32 v53, v48, v38
	v_mul_f32_e32 v54, v48, v37
	s_waitcnt vmcnt(2)
	v_mul_f32_e32 v57, v48, v36
	v_mul_f32_e32 v58, v48, v35
	s_waitcnt vmcnt(1)
	;; [unrolled: 3-line block ×3, first 2 shown]
	v_mul_f32_e32 v60, v48, v32
	v_mul_f32_e32 v68, v47, v32
	v_fma_f32 v53, v47, v37, -v53
	v_fmac_f32_e32 v54, v47, v38
	v_fma_f32 v57, v47, v35, -v57
	v_fmac_f32_e32 v58, v47, v36
	;; [unrolled: 2-line block ×4, first 2 shown]
	ds_store_b64 v81, v[53:54]
	ds_load_b64 v[61:62], v80 offset:264
	ds_store_b64 v81, v[57:58] offset:536
	v_add_co_u32 v47, s1, v2, s34
	ds_load_b64 v[59:60], v80 offset:272
	ds_store_b64 v81, v[65:66] offset:1072
	ds_load_b64 v[57:58], v80 offset:280
	ds_store_b64 v81, v[67:68] offset:1608
	s_waitcnt lgkmcnt(0)
	s_barrier
	buffer_gl0_inv
	ds_load_2addr_b64 v[99:102], v79 offset1:1
	ds_load_2addr_b64 v[103:106], v79 offset0:2 offset1:3
	s_waitcnt lgkmcnt(0)
	s_barrier
	buffer_gl0_inv
	global_load_b64 v[53:54], v[49:50], off
	v_add_co_ci_u32_e64 v48, s1, s33, v3, s1
	s_clause 0x2
	global_load_b64 v[51:52], v[51:52], off
	global_load_b64 v[49:50], v[63:64], off
	;; [unrolled: 1-line block ×3, first 2 shown]
	ds_load_b64 v[65:66], v76
	ds_load_b64 v[63:64], v80 offset:384
	s_waitcnt vmcnt(3) lgkmcnt(1)
	v_dual_add_f32 v112, 0, v84 :: v_dual_mul_f32 v67, v66, v54
	v_mul_f32_e32 v68, v66, v53
	s_waitcnt vmcnt(2)
	v_mul_f32_e32 v69, v66, v52
	v_mul_f32_e32 v84, v66, v51
	s_waitcnt vmcnt(1)
	v_mul_f32_e32 v70, v66, v50
	v_mul_f32_e32 v108, v66, v49
	s_waitcnt vmcnt(0)
	v_mul_f32_e32 v109, v66, v48
	v_mul_f32_e32 v110, v65, v48
	v_fma_f32 v67, v65, v53, -v67
	v_fmac_f32_e32 v68, v65, v54
	v_fma_f32 v83, v65, v51, -v69
	v_fmac_f32_e32 v84, v65, v52
	;; [unrolled: 2-line block ×4, first 2 shown]
	ds_store_b64 v81, v[67:68]
	ds_load_b64 v[69:70], v80 offset:392
	ds_store_b64 v81, v[83:84] offset:536
	ds_load_b64 v[67:68], v80 offset:400
	ds_store_b64 v81, v[107:108] offset:1072
	;; [unrolled: 2-line block ×3, first 2 shown]
	s_waitcnt lgkmcnt(0)
	s_barrier
	buffer_gl0_inv
	ds_load_2addr_b64 v[107:110], v79 offset1:1
	v_dual_add_f32 v83, v111, v85 :: v_dual_add_f32 v84, v112, v86
	s_delay_alu instid0(VALU_DEP_1)
	v_dual_add_f32 v87, v83, v87 :: v_dual_add_f32 v88, v84, v88
	ds_load_2addr_b64 v[83:86], v79 offset0:2 offset1:3
	s_waitcnt lgkmcnt(0)
	s_barrier
	v_dual_add_f32 v87, v87, v89 :: v_dual_add_f32 v88, v88, v90
	v_dual_add_f32 v89, v92, v94 :: v_dual_add_f32 v90, v91, v95
	;; [unrolled: 1-line block ×3, first 2 shown]
	buffer_gl0_inv
	v_add_f32_e32 v95, v89, v96
	v_add_f32_e32 v89, v90, v97
	v_dual_add_f32 v93, 0, v107 :: v_dual_add_f32 v94, 0, v108
	v_dual_add_f32 v91, v91, v101 :: v_dual_add_f32 v92, v92, v102
	s_delay_alu instid0(VALU_DEP_2) | instskip(NEXT) | instid1(VALU_DEP_2)
	v_dual_add_f32 v90, v95, v98 :: v_dual_add_f32 v93, v93, v109
	v_dual_add_f32 v94, v94, v110 :: v_dual_add_f32 v91, v91, v103
	s_delay_alu instid0(VALU_DEP_2) | instskip(NEXT) | instid1(VALU_DEP_2)
	;; [unrolled: 3-line block ×3, first 2 shown]
	v_dual_add_f32 v84, v92, v106 :: v_dual_add_f32 v85, v93, v85
	v_add_f32_e32 v86, v94, v86
	ds_store_2addr_b64 v82, v[87:88], v[89:90] offset1:16
	ds_store_2addr_b64 v82, v[83:84], v[85:86] offset0:32 offset1:48
	s_waitcnt lgkmcnt(0)
	s_barrier
	buffer_gl0_inv
	s_and_saveexec_b32 s17, s0
	s_cbranch_execz .LBB119_96
; %bb.100:                              ;   in Loop: Header=BB119_97 Depth=1
	ds_load_b64 v[94:95], v77
	ds_load_2addr_b64 v[83:86], v77 offset0:1 offset1:2
	ds_load_2addr_b64 v[87:90], v77 offset0:3 offset1:4
	s_waitcnt lgkmcnt(1)
	v_dual_add_f32 v83, v83, v94 :: v_dual_add_f32 v84, v84, v95
	ds_load_2addr_b64 v[91:94], v77 offset0:5 offset1:6
	v_add_f32_e32 v83, v83, v85
	v_add_f32_e32 v95, v84, v86
	s_waitcnt lgkmcnt(1)
	s_delay_alu instid0(VALU_DEP_2) | instskip(SKIP_3) | instid1(VALU_DEP_2)
	v_add_f32_e32 v87, v83, v87
	ds_load_2addr_b64 v[83:86], v77 offset0:7 offset1:8
	v_add_f32_e32 v88, v95, v88
	v_add_f32_e32 v87, v87, v89
	;; [unrolled: 1-line block ×3, first 2 shown]
	s_waitcnt lgkmcnt(1)
	s_delay_alu instid0(VALU_DEP_2) | instskip(SKIP_3) | instid1(VALU_DEP_2)
	v_add_f32_e32 v91, v87, v91
	ds_load_2addr_b64 v[87:90], v77 offset0:9 offset1:10
	v_add_f32_e32 v92, v95, v92
	v_add_f32_e32 v91, v91, v93
	;; [unrolled: 1-line block ×3, first 2 shown]
	s_waitcnt lgkmcnt(1)
	s_delay_alu instid0(VALU_DEP_2) | instskip(SKIP_4) | instid1(VALU_DEP_1)
	v_add_f32_e32 v83, v91, v83
	ds_load_2addr_b64 v[91:94], v77 offset0:11 offset1:12
	v_add_f32_e32 v84, v95, v84
	v_add_f32_e32 v95, v83, v85
	s_waitcnt lgkmcnt(1)
	v_add_f32_e32 v87, v95, v87
	s_delay_alu instid0(VALU_DEP_1) | instskip(SKIP_1) | instid1(VALU_DEP_1)
	v_add_f32_e32 v89, v87, v89
	s_waitcnt lgkmcnt(0)
	v_add_f32_e32 v89, v89, v91
	s_delay_alu instid0(VALU_DEP_1) | instskip(SKIP_2) | instid1(VALU_DEP_1)
	v_dual_add_f32 v89, v89, v93 :: v_dual_add_f32 v96, v84, v86
	ds_load_2addr_b64 v[83:86], v77 offset0:13 offset1:14
	v_add_f32_e32 v88, v96, v88
	v_add_f32_e32 v90, v88, v90
	ds_load_b64 v[87:88], v78
	v_add_f32_e32 v90, v90, v92
	s_waitcnt lgkmcnt(1)
	s_delay_alu instid0(VALU_DEP_1) | instskip(NEXT) | instid1(VALU_DEP_1)
	v_dual_add_f32 v90, v90, v94 :: v_dual_add_f32 v83, v89, v83
	v_dual_add_f32 v84, v90, v84 :: v_dual_add_f32 v85, v83, v85
	s_delay_alu instid0(VALU_DEP_1) | instskip(SKIP_2) | instid1(VALU_DEP_2)
	v_add_f32_e32 v86, v84, v86
	v_lshlrev_b64 v[83:84], 3, v[0:1]
	s_waitcnt lgkmcnt(0)
	v_dual_add_f32 v85, v85, v87 :: v_dual_add_f32 v86, v86, v88
	s_delay_alu instid0(VALU_DEP_2) | instskip(NEXT) | instid1(VALU_DEP_1)
	v_add_co_u32 v83, s1, s15, v83
	v_add_co_ci_u32_e64 v84, s1, s20, v84, s1
	global_store_b64 v[83:84], v[85:86], off
	s_branch .LBB119_96
.LBB119_101:
	v_mad_u32_u24 v0, 0x218, v71, v72
	s_or_b32 s0, s2, vcc_lo
	s_delay_alu instid0(SALU_CYCLE_1)
	s_xor_b32 s0, s0, -1
	ds_store_b64 v0, v[17:18]
	s_waitcnt lgkmcnt(0)
	s_barrier
	buffer_gl0_inv
	s_and_saveexec_b32 s1, s0
	s_cbranch_execz .LBB119_103
; %bb.102:
	ds_load_2addr_b64 v[0:3], v72 offset1:67
	ds_load_2addr_b64 v[4:7], v72 offset0:134 offset1:201
	v_ashrrev_i32_e32 v17, 31, v16
	s_waitcnt lgkmcnt(1)
	v_dual_add_f32 v0, v2, v0 :: v_dual_add_f32 v1, v3, v1
	s_waitcnt lgkmcnt(0)
	s_delay_alu instid0(VALU_DEP_1) | instskip(SKIP_1) | instid1(VALU_DEP_2)
	v_dual_add_f32 v2, v0, v4 :: v_dual_add_f32 v3, v1, v5
	v_lshlrev_b64 v[0:1], 3, v[16:17]
	v_dual_add_f32 v2, v2, v6 :: v_dual_add_f32 v3, v3, v7
	s_delay_alu instid0(VALU_DEP_2) | instskip(NEXT) | instid1(VALU_DEP_3)
	v_add_co_u32 v0, vcc_lo, s15, v0
	v_add_co_ci_u32_e32 v1, vcc_lo, s20, v1, vcc_lo
	global_store_b64 v[0:1], v[2:3], off
.LBB119_103:
	s_nop 0
	s_sendmsg sendmsg(MSG_DEALLOC_VGPRS)
	s_endpgm
	.section	.rodata,"a",@progbits
	.p2align	6, 0x0
	.amdhsa_kernel _ZL26rocblas_hemvn_kernel_lowerILb0ELi64ELi4ELi33ELi32ELi16EiPK19rocblas_complex_numIfES3_PS1_EviT6_lT7_lT5_lS6_lS7_lS5_lT8_i
		.amdhsa_group_segment_fixed_size 9600
		.amdhsa_private_segment_fixed_size 0
		.amdhsa_kernarg_size 376
		.amdhsa_user_sgpr_count 14
		.amdhsa_user_sgpr_dispatch_ptr 0
		.amdhsa_user_sgpr_queue_ptr 0
		.amdhsa_user_sgpr_kernarg_segment_ptr 1
		.amdhsa_user_sgpr_dispatch_id 0
		.amdhsa_user_sgpr_private_segment_size 0
		.amdhsa_wavefront_size32 1
		.amdhsa_uses_dynamic_stack 0
		.amdhsa_enable_private_segment 0
		.amdhsa_system_sgpr_workgroup_id_x 1
		.amdhsa_system_sgpr_workgroup_id_y 0
		.amdhsa_system_sgpr_workgroup_id_z 1
		.amdhsa_system_sgpr_workgroup_info 0
		.amdhsa_system_vgpr_workitem_id 1
		.amdhsa_next_free_vgpr 113
		.amdhsa_next_free_sgpr 46
		.amdhsa_reserve_vcc 1
		.amdhsa_float_round_mode_32 0
		.amdhsa_float_round_mode_16_64 0
		.amdhsa_float_denorm_mode_32 3
		.amdhsa_float_denorm_mode_16_64 3
		.amdhsa_dx10_clamp 1
		.amdhsa_ieee_mode 1
		.amdhsa_fp16_overflow 0
		.amdhsa_workgroup_processor_mode 1
		.amdhsa_memory_ordered 1
		.amdhsa_forward_progress 0
		.amdhsa_shared_vgpr_count 0
		.amdhsa_exception_fp_ieee_invalid_op 0
		.amdhsa_exception_fp_denorm_src 0
		.amdhsa_exception_fp_ieee_div_zero 0
		.amdhsa_exception_fp_ieee_overflow 0
		.amdhsa_exception_fp_ieee_underflow 0
		.amdhsa_exception_fp_ieee_inexact 0
		.amdhsa_exception_int_div_zero 0
	.end_amdhsa_kernel
	.section	.text._ZL26rocblas_hemvn_kernel_lowerILb0ELi64ELi4ELi33ELi32ELi16EiPK19rocblas_complex_numIfES3_PS1_EviT6_lT7_lT5_lS6_lS7_lS5_lT8_i,"axG",@progbits,_ZL26rocblas_hemvn_kernel_lowerILb0ELi64ELi4ELi33ELi32ELi16EiPK19rocblas_complex_numIfES3_PS1_EviT6_lT7_lT5_lS6_lS7_lS5_lT8_i,comdat
.Lfunc_end119:
	.size	_ZL26rocblas_hemvn_kernel_lowerILb0ELi64ELi4ELi33ELi32ELi16EiPK19rocblas_complex_numIfES3_PS1_EviT6_lT7_lT5_lS6_lS7_lS5_lT8_i, .Lfunc_end119-_ZL26rocblas_hemvn_kernel_lowerILb0ELi64ELi4ELi33ELi32ELi16EiPK19rocblas_complex_numIfES3_PS1_EviT6_lT7_lT5_lS6_lS7_lS5_lT8_i
                                        ; -- End function
	.section	.AMDGPU.csdata,"",@progbits
; Kernel info:
; codeLenInByte = 8564
; NumSgprs: 48
; NumVgprs: 113
; ScratchSize: 0
; MemoryBound: 1
; FloatMode: 240
; IeeeMode: 1
; LDSByteSize: 9600 bytes/workgroup (compile time only)
; SGPRBlocks: 5
; VGPRBlocks: 14
; NumSGPRsForWavesPerEU: 48
; NumVGPRsForWavesPerEU: 113
; Occupancy: 12
; WaveLimiterHint : 1
; COMPUTE_PGM_RSRC2:SCRATCH_EN: 0
; COMPUTE_PGM_RSRC2:USER_SGPR: 14
; COMPUTE_PGM_RSRC2:TRAP_HANDLER: 0
; COMPUTE_PGM_RSRC2:TGID_X_EN: 1
; COMPUTE_PGM_RSRC2:TGID_Y_EN: 0
; COMPUTE_PGM_RSRC2:TGID_Z_EN: 1
; COMPUTE_PGM_RSRC2:TIDIG_COMP_CNT: 1
	.section	.text._ZL26rocblas_hemvn_kernel_lowerILb0ELi64ELi4ELi33ELi32ELi16El19rocblas_complex_numIfEPKS1_PS1_EviT6_lT7_lT5_lS6_lS7_lS5_lT8_i,"axG",@progbits,_ZL26rocblas_hemvn_kernel_lowerILb0ELi64ELi4ELi33ELi32ELi16El19rocblas_complex_numIfEPKS1_PS1_EviT6_lT7_lT5_lS6_lS7_lS5_lT8_i,comdat
	.globl	_ZL26rocblas_hemvn_kernel_lowerILb0ELi64ELi4ELi33ELi32ELi16El19rocblas_complex_numIfEPKS1_PS1_EviT6_lT7_lT5_lS6_lS7_lS5_lT8_i ; -- Begin function _ZL26rocblas_hemvn_kernel_lowerILb0ELi64ELi4ELi33ELi32ELi16El19rocblas_complex_numIfEPKS1_PS1_EviT6_lT7_lT5_lS6_lS7_lS5_lT8_i
	.p2align	8
	.type	_ZL26rocblas_hemvn_kernel_lowerILb0ELi64ELi4ELi33ELi32ELi16El19rocblas_complex_numIfEPKS1_PS1_EviT6_lT7_lT5_lS6_lS7_lS5_lT8_i,@function
_ZL26rocblas_hemvn_kernel_lowerILb0ELi64ELi4ELi33ELi32ELi16El19rocblas_complex_numIfEPKS1_PS1_EviT6_lT7_lT5_lS6_lS7_lS5_lT8_i: ; @_ZL26rocblas_hemvn_kernel_lowerILb0ELi64ELi4ELi33ELi32ELi16El19rocblas_complex_numIfEPKS1_PS1_EviT6_lT7_lT5_lS6_lS7_lS5_lT8_i
; %bb.0:
	s_load_b64 s[4:5], s[0:1], 0x84
	s_add_u32 s2, s0, 0x78
	s_addc_u32 s3, s1, 0
	s_waitcnt lgkmcnt(0)
	s_lshr_b32 s6, s4, 16
	s_and_b32 s4, s4, 0xffff
	s_and_b32 s5, s5, 0xffff
	s_mul_i32 s4, s6, s4
	s_delay_alu instid0(SALU_CYCLE_1) | instskip(NEXT) | instid1(SALU_CYCLE_1)
	s_mul_i32 s4, s4, s5
	s_cmpk_lg_i32 s4, 0x100
	s_cbranch_scc1 .LBB120_103
; %bb.1:
	s_load_b64 s[4:5], s[0:1], 0x4
	s_waitcnt lgkmcnt(0)
	s_or_b32 s4, s4, s5
	s_mov_b32 s5, -1
	s_bitset0_b32 s4, 31
	s_delay_alu instid0(SALU_CYCLE_1) | instskip(SKIP_1) | instid1(SALU_CYCLE_1)
	s_cmp_lg_u32 s4, 0
	s_cselect_b32 s4, -1, 0
	s_and_b32 vcc_lo, exec_lo, s4
	s_cbranch_vccnz .LBB120_3
; %bb.2:
	s_load_b64 s[6:7], s[0:1], 0x58
	s_waitcnt lgkmcnt(0)
	v_cmp_neq_f32_e64 s5, s6, 1.0
	v_cmp_neq_f32_e64 s6, s7, 0
	s_delay_alu instid0(VALU_DEP_1)
	s_or_b32 s5, s5, s6
.LBB120_3:
	s_delay_alu instid0(SALU_CYCLE_1)
	s_and_not1_b32 vcc_lo, exec_lo, s5
	s_cbranch_vccnz .LBB120_103
; %bb.4:
	s_and_not1_b32 vcc_lo, exec_lo, s4
	s_cbranch_vccnz .LBB120_103
; %bb.5:
	s_load_b512 s[16:31], s[0:1], 0x18
	v_and_b32_e32 v26, 0x3ff, v0
	v_bfe_u32 v72, v0, 10, 10
	s_waitcnt lgkmcnt(0)
	s_mul_i32 s5, s15, s31
	s_mul_hi_u32 s6, s15, s30
	s_mul_i32 s4, s15, s30
	s_add_i32 s5, s6, s5
	s_load_b32 s30, s[0:1], 0x0
	s_lshl_b64 s[4:5], s[4:5], 3
	s_delay_alu instid0(SALU_CYCLE_1)
	s_add_u32 s6, s24, s4
	s_addc_u32 s7, s25, s5
	s_lshl_b64 s[4:5], s[26:27], 3
	s_load_b32 s26, s[2:3], 0x0
	s_add_u32 s4, s6, s4
	s_addc_u32 s5, s7, s5
	s_lshl_b32 s12, s14, 6
	s_delay_alu instid0(SALU_CYCLE_1) | instskip(NEXT) | instid1(VALU_DEP_1)
	v_add_nc_u32_e32 v16, s12, v26
	v_ashrrev_i32_e32 v17, 31, v16
	v_mul_lo_u32 v3, v16, s29
	v_mad_u64_u32 v[1:2], null, v16, s28, 0
	s_waitcnt lgkmcnt(0)
	s_ashr_i32 s27, s30, 31
	v_mul_lo_u32 v4, v17, s28
	s_lshr_b32 s2, s27, 26
	s_delay_alu instid0(SALU_CYCLE_1) | instskip(SKIP_4) | instid1(VALU_DEP_2)
	s_add_i32 s3, s30, s2
	v_cmp_ne_u32_e64 s2, 0, v72
	s_and_not1_b32 s3, s3, 63
	s_add_i32 s6, s26, -1
	s_sub_i32 s7, s30, s3
	v_add3_u32 v2, v2, v3, v4
	v_cmp_eq_u32_e64 s3, 0, v72
	s_cmp_eq_u32 s14, s6
	s_cselect_b32 s24, s7, 0
	s_delay_alu instid0(VALU_DEP_2) | instskip(NEXT) | instid1(VALU_DEP_1)
	v_lshlrev_b64 v[0:1], 3, v[1:2]
	v_add_co_u32 v20, vcc_lo, s4, v0
	s_delay_alu instid0(VALU_DEP_2)
	v_add_co_ci_u32_e32 v21, vcc_lo, s5, v1, vcc_lo
	s_mov_b32 s4, -1
	s_and_saveexec_b32 s5, s3
	s_cbranch_execz .LBB120_10
; %bb.6:
	v_cmp_le_i32_e32 vcc_lo, s24, v26
	s_cmp_lg_u32 s24, 0
	v_lshl_add_u32 v0, v26, 3, 0x2380
	s_cselect_b32 s6, -1, 0
	s_delay_alu instid0(SALU_CYCLE_1) | instskip(NEXT) | instid1(SALU_CYCLE_1)
	s_and_b32 s6, s6, vcc_lo
	s_and_saveexec_b32 s7, s6
	s_delay_alu instid0(SALU_CYCLE_1)
	s_xor_b32 s6, exec_lo, s7
	s_cbranch_execz .LBB120_8
; %bb.7:
	v_mov_b32_e32 v1, 0
	s_delay_alu instid0(VALU_DEP_1)
	v_mov_b32_e32 v2, v1
	ds_store_b64 v0, v[1:2]
                                        ; implicit-def: $vgpr0
.LBB120_8:
	s_and_not1_saveexec_b32 s6, s6
	s_cbranch_execz .LBB120_10
; %bb.9:
	global_load_b64 v[1:2], v[20:21], off
	s_waitcnt vmcnt(0)
	ds_store_b64 v0, v[1:2]
.LBB120_10:
	s_or_b32 exec_lo, exec_lo, s5
	v_lshl_add_u32 v27, v72, 6, v26
	v_dual_mov_b32 v1, 0 :: v_dual_and_b32 v0, 31, v26
	s_mul_i32 s5, s15, s23
	s_mul_hi_u32 s7, s15, s22
	s_delay_alu instid0(VALU_DEP_2)
	v_lshrrev_b32_e32 v5, 5, v27
	s_mul_i32 s6, s15, s22
	s_add_i32 s7, s7, s5
	s_mul_i32 s9, s12, s21
	s_lshl_b64 s[6:7], s[6:7], 3
	v_mad_u64_u32 v[2:3], null, v5, s20, v[0:1]
	s_add_u32 s5, s16, s6
	s_addc_u32 s8, s17, s7
	s_lshl_b64 s[6:7], s[18:19], 3
	s_mul_hi_u32 s10, s12, s20
	s_add_u32 s5, s5, s6
	s_addc_u32 s8, s8, s7
	s_delay_alu instid0(VALU_DEP_1) | instskip(SKIP_1) | instid1(SALU_CYCLE_1)
	v_mov_b32_e32 v1, v3
	s_ashr_i32 s13, s12, 31
	s_lshl_b64 s[6:7], s[12:13], 3
	s_mul_i32 s11, s13, s20
	s_delay_alu instid0(VALU_DEP_1)
	v_mad_u64_u32 v[3:4], null, v5, s21, v[1:2]
	s_add_u32 s5, s5, s6
	s_addc_u32 s8, s8, s7
	s_add_i32 s7, s10, s9
	s_mul_i32 s6, s12, s20
	s_add_i32 s7, s7, s11
	s_delay_alu instid0(SALU_CYCLE_1) | instskip(NEXT) | instid1(VALU_DEP_1)
	s_lshl_b64 s[16:17], s[6:7], 3
	v_lshlrev_b64 v[22:23], 3, v[2:3]
	s_add_u32 s5, s16, s5
	s_addc_u32 s6, s17, s8
	s_cmp_lg_u32 s24, 0
	s_cselect_b32 s22, -1, 0
	s_delay_alu instid0(VALU_DEP_1)
	v_add_co_u32 v1, vcc_lo, s5, v22
	v_add_co_ci_u32_e32 v2, vcc_lo, s6, v23, vcc_lo
	s_cmp_eq_u32 s24, 0
	s_cselect_b32 s9, -1, 0
	s_and_b32 vcc_lo, exec_lo, s22
	s_cbranch_vccnz .LBB120_12
; %bb.11:
	v_mad_u64_u32 v[3:4], null, 0xc0, s20, v[1:2]
	s_lshl_b64 s[4:5], s[20:21], 6
	s_delay_alu instid0(VALU_DEP_1) | instskip(SKIP_2) | instid1(VALU_DEP_2)
	v_mad_u64_u32 v[6:7], null, 0xc0, s21, v[4:5]
	v_add_co_u32 v7, vcc_lo, v1, s4
	v_add_co_ci_u32_e32 v8, vcc_lo, s5, v2, vcc_lo
	v_add_co_u32 v9, vcc_lo, v7, s4
	s_delay_alu instid0(VALU_DEP_2)
	v_add_co_ci_u32_e32 v10, vcc_lo, s5, v8, vcc_lo
	v_mov_b32_e32 v4, v6
	s_clause 0x1
	global_load_b64 v[11:12], v[1:2], off
	global_load_b64 v[6:7], v[7:8], off
	;; [unrolled: 1-line block ×4, first 2 shown]
	v_mul_u32_u24_e32 v10, 33, v5
	s_mov_b32 s4, 0
	s_delay_alu instid0(VALU_DEP_1)
	v_add_lshl_u32 v10, v10, v0, 3
	s_waitcnt vmcnt(3)
	ds_store_b64 v10, v[11:12]
	s_waitcnt vmcnt(2)
	ds_store_b64 v10, v[6:7] offset:2112
	s_waitcnt vmcnt(1)
	ds_store_b64 v10, v[8:9] offset:4224
	;; [unrolled: 2-line block ×3, first 2 shown]
.LBB120_12:
	s_and_not1_b32 vcc_lo, exec_lo, s4
	s_cbranch_vccnz .LBB120_30
; %bb.13:
	v_lshlrev_b32_e32 v6, 3, v0
	s_ashr_i32 s25, s24, 31
	v_mul_u32_u24_e32 v7, 33, v5
	s_lshl_b64 s[6:7], s[24:25], 3
	v_cmp_le_i32_e64 s4, s24, v5
	v_sub_co_u32 v3, vcc_lo, v1, v6
	v_subrev_co_ci_u32_e32 v4, vcc_lo, 0, v2, vcc_lo
	v_add_lshl_u32 v7, v7, v0, 3
	s_delay_alu instid0(VALU_DEP_3) | instskip(NEXT) | instid1(VALU_DEP_3)
	v_add_co_u32 v3, vcc_lo, v3, s6
	v_add_co_ci_u32_e32 v4, vcc_lo, s7, v4, vcc_lo
	s_delay_alu instid0(VALU_DEP_2) | instskip(NEXT) | instid1(VALU_DEP_2)
	v_add_co_u32 v3, vcc_lo, v3, -8
	v_add_co_ci_u32_e32 v4, vcc_lo, -1, v4, vcc_lo
	v_cmp_gt_i32_e32 vcc_lo, s24, v0
	s_delay_alu instid0(VALU_DEP_2) | instskip(SKIP_1) | instid1(SALU_CYCLE_1)
	v_dual_cndmask_b32 v3, v3, v1 :: v_dual_cndmask_b32 v4, v4, v2
	s_and_saveexec_b32 s5, s4
	s_xor_b32 s4, exec_lo, s5
	s_cbranch_execz .LBB120_15
; %bb.14:
	v_mov_b32_e32 v8, 0
	s_delay_alu instid0(VALU_DEP_1)
	v_mov_b32_e32 v9, v8
	ds_store_b64 v7, v[8:9]
.LBB120_15:
	s_and_not1_saveexec_b32 s4, s4
	s_cbranch_execz .LBB120_17
; %bb.16:
	global_load_b64 v[8:9], v[3:4], off
	s_waitcnt vmcnt(0)
	ds_store_b64 v7, v[8:9]
.LBB120_17:
	s_or_b32 exec_lo, exec_lo, s4
	v_add_nc_u32_e32 v8, 8, v5
	s_delay_alu instid0(VALU_DEP_1) | instskip(NEXT) | instid1(VALU_DEP_1)
	v_cmp_le_i32_e64 s4, s24, v8
	s_and_saveexec_b32 s5, s4
	s_delay_alu instid0(SALU_CYCLE_1)
	s_xor_b32 s4, exec_lo, s5
	s_cbranch_execz .LBB120_19
; %bb.18:
	v_mul_u32_u24_e32 v9, 33, v8
	v_mov_b32_e32 v8, 0
	s_delay_alu instid0(VALU_DEP_2) | instskip(NEXT) | instid1(VALU_DEP_2)
	v_add_lshl_u32 v10, v9, v0, 3
	v_mov_b32_e32 v9, v8
	ds_store_b64 v10, v[8:9]
.LBB120_19:
	s_and_not1_saveexec_b32 s5, s4
	s_cbranch_execz .LBB120_21
; %bb.20:
	s_lshl_b64 s[10:11], s[20:21], 6
	s_delay_alu instid0(SALU_CYCLE_1) | instskip(NEXT) | instid1(VALU_DEP_1)
	v_add_co_u32 v8, s4, v3, s10
	v_add_co_ci_u32_e64 v9, s4, s11, v4, s4
	global_load_b64 v[8:9], v[8:9], off
	s_waitcnt vmcnt(0)
	ds_store_b64 v7, v[8:9] offset:2112
.LBB120_21:
	s_or_b32 exec_lo, exec_lo, s5
	v_add_nc_u32_e32 v8, 16, v5
	s_delay_alu instid0(VALU_DEP_1) | instskip(NEXT) | instid1(VALU_DEP_1)
	v_cmp_le_i32_e64 s4, s24, v8
	s_and_saveexec_b32 s5, s4
	s_delay_alu instid0(SALU_CYCLE_1)
	s_xor_b32 s4, exec_lo, s5
	s_cbranch_execz .LBB120_23
; %bb.22:
	v_mov_b32_e32 v8, 0
	s_delay_alu instid0(VALU_DEP_1)
	v_mov_b32_e32 v9, v8
	ds_store_b64 v7, v[8:9] offset:4224
.LBB120_23:
	s_and_not1_saveexec_b32 s5, s4
	s_cbranch_execz .LBB120_25
; %bb.24:
	s_lshl_b64 s[10:11], s[20:21], 7
	s_delay_alu instid0(SALU_CYCLE_1) | instskip(NEXT) | instid1(VALU_DEP_1)
	v_add_co_u32 v8, s4, v3, s10
	v_add_co_ci_u32_e64 v9, s4, s11, v4, s4
	global_load_b64 v[8:9], v[8:9], off
	s_waitcnt vmcnt(0)
	ds_store_b64 v7, v[8:9] offset:4224
.LBB120_25:
	s_or_b32 exec_lo, exec_lo, s5
	v_add_nc_u32_e32 v8, 24, v5
	s_delay_alu instid0(VALU_DEP_1) | instskip(NEXT) | instid1(VALU_DEP_1)
	v_cmp_le_i32_e64 s4, s24, v8
	s_and_saveexec_b32 s5, s4
	s_delay_alu instid0(SALU_CYCLE_1)
	s_xor_b32 s4, exec_lo, s5
	s_cbranch_execz .LBB120_27
; %bb.26:
	v_mov_b32_e32 v8, 0
	s_delay_alu instid0(VALU_DEP_1)
	v_mov_b32_e32 v9, v8
	ds_store_b64 v7, v[8:9] offset:6336
                                        ; implicit-def: $vgpr7
.LBB120_27:
	s_and_not1_saveexec_b32 s4, s4
	s_cbranch_execz .LBB120_29
; %bb.28:
	v_mad_u64_u32 v[8:9], null, 0xc0, s20, v[3:4]
	s_delay_alu instid0(VALU_DEP_1) | instskip(NEXT) | instid1(VALU_DEP_1)
	v_mad_u64_u32 v[10:11], null, 0xc0, s21, v[9:10]
	v_mov_b32_e32 v9, v10
	global_load_b64 v[8:9], v[8:9], off
	s_waitcnt vmcnt(0)
	ds_store_b64 v7, v[8:9] offset:6336
.LBB120_29:
	s_or_b32 exec_lo, exec_lo, s4
	v_add_co_u32 v3, s4, v3, v6
	s_delay_alu instid0(VALU_DEP_1) | instskip(NEXT) | instid1(VALU_DEP_2)
	v_add_co_ci_u32_e64 v4, s4, 0, v4, s4
	v_sub_co_u32 v3, s4, v3, s6
	s_delay_alu instid0(VALU_DEP_1) | instskip(NEXT) | instid1(VALU_DEP_2)
	v_subrev_co_ci_u32_e64 v4, s4, s7, v4, s4
	v_add_co_u32 v3, s4, v3, 8
	s_delay_alu instid0(VALU_DEP_1) | instskip(NEXT) | instid1(VALU_DEP_1)
	v_add_co_ci_u32_e64 v4, s4, 0, v4, s4
	v_dual_cndmask_b32 v1, v3, v1 :: v_dual_cndmask_b32 v2, v4, v2
.LBB120_30:
	v_lshlrev_b32_e32 v3, 2, v5
	v_mul_u32_u24_e32 v28, 33, v0
	v_mul_u32_u24_e32 v7, 0x84, v5
	s_waitcnt lgkmcnt(0)
	s_barrier
	v_cmp_lt_u32_e64 s5, v3, v0
	v_add_lshl_u32 v4, v3, v28, 3
	buffer_gl0_inv
	s_and_saveexec_b32 s4, s5
	s_cbranch_execz .LBB120_32
; %bb.31:
	v_add_lshl_u32 v6, v7, v0, 3
	ds_load_b64 v[8:9], v6
	s_waitcnt lgkmcnt(0)
	ds_store_b64 v4, v[8:9]
.LBB120_32:
	s_or_b32 exec_lo, exec_lo, s4
	v_or_b32_e32 v6, 1, v3
	s_delay_alu instid0(VALU_DEP_1) | instskip(NEXT) | instid1(VALU_DEP_1)
	v_cmp_lt_u32_e64 s6, v6, v0
	s_and_saveexec_b32 s4, s6
	s_cbranch_execz .LBB120_34
; %bb.33:
	v_mul_u32_u24_e32 v6, 33, v6
	s_delay_alu instid0(VALU_DEP_1)
	v_add_lshl_u32 v6, v6, v0, 3
	ds_load_b64 v[8:9], v6
	s_waitcnt lgkmcnt(0)
	ds_store_b64 v4, v[8:9] offset:8
.LBB120_34:
	s_or_b32 exec_lo, exec_lo, s4
	v_or_b32_e32 v6, 2, v3
	s_delay_alu instid0(VALU_DEP_1) | instskip(NEXT) | instid1(VALU_DEP_1)
	v_cmp_lt_u32_e64 s7, v6, v0
	s_and_saveexec_b32 s4, s7
	s_cbranch_execz .LBB120_36
; %bb.35:
	v_mul_u32_u24_e32 v6, 33, v6
	s_delay_alu instid0(VALU_DEP_1)
	v_add_lshl_u32 v6, v6, v0, 3
	ds_load_b64 v[8:9], v6
	s_waitcnt lgkmcnt(0)
	ds_store_b64 v4, v[8:9] offset:16
.LBB120_36:
	s_or_b32 exec_lo, exec_lo, s4
	v_or_b32_e32 v6, 3, v3
	s_delay_alu instid0(VALU_DEP_1) | instskip(SKIP_1) | instid1(VALU_DEP_2)
	v_mad_u32_u24 v8, v6, 33, v0
	v_cmp_lt_u32_e64 s8, v6, v0
	v_lshlrev_b32_e32 v6, 3, v8
	s_delay_alu instid0(VALU_DEP_2)
	s_and_saveexec_b32 s4, s8
	s_cbranch_execz .LBB120_38
; %bb.37:
	ds_load_b64 v[8:9], v6
	s_waitcnt lgkmcnt(0)
	ds_store_b64 v4, v[8:9] offset:24
.LBB120_38:
	s_or_b32 exec_lo, exec_lo, s4
	v_add_lshl_u32 v7, v7, v0, 3
	v_lshlrev_b32_e32 v3, 3, v3
	v_add_nc_u32_e32 v8, 0xfffffdf0, v6
	s_waitcnt lgkmcnt(0)
	s_barrier
	buffer_gl0_inv
	ds_load_b64 v[13:14], v7
	ds_load_b128 v[9:12], v3 offset:9088
	ds_load_2addr_b64 v[29:32], v8 offset1:33
	ds_load_b128 v[33:36], v3 offset:9104
	ds_load_b64 v[18:19], v6
	v_cmp_gt_u32_e64 s4, 32, v27
	s_waitcnt lgkmcnt(0)
	s_barrier
	buffer_gl0_inv
	v_mul_f32_e32 v15, v10, v14
	v_mul_f32_e32 v14, v9, v14
	;; [unrolled: 1-line block ×3, first 2 shown]
	v_dual_mul_f32 v25, v11, v30 :: v_dual_mul_f32 v30, v34, v32
	v_mul_f32_e32 v32, v33, v32
	v_fma_f32 v9, v9, v13, -v15
	v_dual_fmac_f32 v14, v10, v13 :: v_dual_mul_f32 v13, v35, v19
	s_delay_alu instid0(VALU_DEP_4) | instskip(NEXT) | instid1(VALU_DEP_3)
	v_fmac_f32_e32 v25, v12, v29
	v_add_f32_e32 v9, 0, v9
	v_fma_f32 v11, v11, v29, -v24
	s_delay_alu instid0(VALU_DEP_4) | instskip(SKIP_2) | instid1(VALU_DEP_4)
	v_add_f32_e32 v12, 0, v14
	v_fma_f32 v14, v33, v31, -v30
	v_dual_fmac_f32 v32, v34, v31 :: v_dual_fmac_f32 v13, v36, v18
	v_add_f32_e32 v9, v9, v11
	v_mul_f32_e32 v10, v36, v19
	v_add_f32_e32 v11, v12, v25
	v_add_lshl_u32 v29, v5, v28, 3
	v_mov_b32_e32 v19, 0
	v_add_f32_e32 v9, v9, v14
	v_fma_f32 v10, v35, v18, -v10
	v_dual_add_f32 v11, v11, v32 :: v_dual_mov_b32 v18, 0
	s_delay_alu instid0(VALU_DEP_1)
	v_dual_add_f32 v9, v9, v10 :: v_dual_add_f32 v10, v11, v13
	ds_store_b64 v29, v[9:10]
	s_waitcnt lgkmcnt(0)
	s_barrier
	buffer_gl0_inv
	s_and_saveexec_b32 s10, s4
	s_cbranch_execz .LBB120_40
; %bb.39:
	v_lshlrev_b32_e32 v13, 3, v28
	ds_load_2addr_b64 v[9:12], v13 offset1:7
	ds_load_2addr_b64 v[30:33], v13 offset0:1 offset1:2
	ds_load_2addr_b64 v[34:37], v13 offset0:3 offset1:4
	;; [unrolled: 1-line block ×3, first 2 shown]
	s_waitcnt lgkmcnt(2)
	v_dual_add_f32 v10, v31, v10 :: v_dual_add_f32 v9, v30, v9
	s_delay_alu instid0(VALU_DEP_1) | instskip(SKIP_1) | instid1(VALU_DEP_1)
	v_dual_add_f32 v10, v10, v33 :: v_dual_add_f32 v9, v9, v32
	s_waitcnt lgkmcnt(1)
	v_dual_add_f32 v10, v10, v35 :: v_dual_add_f32 v9, v9, v34
	s_delay_alu instid0(VALU_DEP_1) | instskip(SKIP_1) | instid1(VALU_DEP_1)
	v_dual_add_f32 v10, v10, v37 :: v_dual_add_f32 v9, v9, v36
	s_waitcnt lgkmcnt(0)
	v_dual_add_f32 v10, v10, v39 :: v_dual_add_f32 v9, v9, v38
	s_delay_alu instid0(VALU_DEP_1) | instskip(NEXT) | instid1(VALU_DEP_1)
	v_dual_add_f32 v10, v10, v41 :: v_dual_add_f32 v9, v9, v40
	v_dual_add_f32 v19, v10, v12 :: v_dual_add_f32 v18, v9, v11
.LBB120_40:
	s_or_b32 exec_lo, exec_lo, s10
	s_lshl_b64 s[10:11], s[20:21], 8
	v_cndmask_b32_e64 v9, 0, 1, s9
	v_add_co_u32 v1, vcc_lo, v1, s10
	v_add_co_ci_u32_e32 v2, vcc_lo, s11, v2, vcc_lo
	s_delay_alu instid0(VALU_DEP_2) | instskip(NEXT) | instid1(VALU_DEP_2)
	v_add_co_u32 v10, vcc_lo, 0x100, v1
	v_add_co_ci_u32_e32 v11, vcc_lo, 0, v2, vcc_lo
	s_and_not1_b32 vcc_lo, exec_lo, s9
	s_barrier
	buffer_gl0_inv
	s_cbranch_vccnz .LBB120_42
; %bb.41:
	v_mad_u64_u32 v[12:13], null, 0xc0, s20, v[1:2]
	s_lshl_b64 s[18:19], s[20:21], 6
	s_delay_alu instid0(SALU_CYCLE_1) | instskip(SKIP_1) | instid1(VALU_DEP_3)
	v_add_co_u32 v24, vcc_lo, v1, s18
	v_add_co_ci_u32_e32 v25, vcc_lo, s19, v2, vcc_lo
	v_mad_u64_u32 v[14:15], null, 0xc0, s21, v[13:14]
	s_delay_alu instid0(VALU_DEP_3) | instskip(NEXT) | instid1(VALU_DEP_3)
	v_add_co_u32 v30, vcc_lo, v24, s18
	v_add_co_ci_u32_e32 v31, vcc_lo, s19, v25, vcc_lo
	s_delay_alu instid0(VALU_DEP_3)
	v_mov_b32_e32 v13, v14
	s_clause 0x3
	global_load_b64 v[1:2], v[1:2], off offset:256
	global_load_b64 v[14:15], v[24:25], off offset:256
	;; [unrolled: 1-line block ×4, first 2 shown]
	v_mul_u32_u24_e32 v30, 33, v5
	s_delay_alu instid0(VALU_DEP_1)
	v_add_lshl_u32 v30, v30, v0, 3
	s_waitcnt vmcnt(3)
	ds_store_b64 v30, v[1:2]
	s_waitcnt vmcnt(2)
	ds_store_b64 v30, v[14:15] offset:2112
	s_waitcnt vmcnt(1)
	ds_store_b64 v30, v[24:25] offset:4224
	;; [unrolled: 2-line block ×3, first 2 shown]
	s_cbranch_execz .LBB120_43
	s_branch .LBB120_60
.LBB120_42:
.LBB120_43:
	v_lshlrev_b32_e32 v12, 3, v0
	s_ashr_i32 s25, s24, 31
	v_or_b32_e32 v13, 32, v0
	s_lshl_b64 s[18:19], s[24:25], 3
	s_sub_i32 s23, s24, 32
	v_sub_co_u32 v1, vcc_lo, v10, v12
	v_subrev_co_ci_u32_e32 v2, vcc_lo, 0, v11, vcc_lo
	v_cmp_le_i32_e64 s9, s23, v5
	s_delay_alu instid0(VALU_DEP_3) | instskip(NEXT) | instid1(VALU_DEP_3)
	v_add_co_u32 v1, vcc_lo, v1, s18
	v_add_co_ci_u32_e32 v2, vcc_lo, s19, v2, vcc_lo
	s_delay_alu instid0(VALU_DEP_2) | instskip(NEXT) | instid1(VALU_DEP_2)
	v_add_co_u32 v1, vcc_lo, 0xfffffef8, v1
	v_add_co_ci_u32_e32 v2, vcc_lo, -1, v2, vcc_lo
	v_cmp_gt_i32_e32 vcc_lo, s24, v13
	v_mul_u32_u24_e32 v13, 33, v5
	s_delay_alu instid0(VALU_DEP_3) | instskip(NEXT) | instid1(VALU_DEP_2)
	v_dual_cndmask_b32 v1, v1, v10 :: v_dual_cndmask_b32 v2, v2, v11
	v_add_lshl_u32 v13, v13, v0, 3
	s_and_saveexec_b32 s25, s9
	s_delay_alu instid0(SALU_CYCLE_1)
	s_xor_b32 s9, exec_lo, s25
	s_cbranch_execz .LBB120_45
; %bb.44:
	v_mov_b32_e32 v14, 0
	s_delay_alu instid0(VALU_DEP_1)
	v_mov_b32_e32 v15, v14
	ds_store_b64 v13, v[14:15]
.LBB120_45:
	s_and_not1_saveexec_b32 s9, s9
	s_cbranch_execz .LBB120_47
; %bb.46:
	global_load_b64 v[14:15], v[1:2], off
	s_waitcnt vmcnt(0)
	ds_store_b64 v13, v[14:15]
.LBB120_47:
	s_or_b32 exec_lo, exec_lo, s9
	v_add_nc_u32_e32 v14, 8, v5
	s_delay_alu instid0(VALU_DEP_1) | instskip(NEXT) | instid1(VALU_DEP_1)
	v_cmp_le_i32_e64 s9, s23, v14
	s_and_saveexec_b32 s25, s9
	s_delay_alu instid0(SALU_CYCLE_1)
	s_xor_b32 s9, exec_lo, s25
	s_cbranch_execz .LBB120_49
; %bb.48:
	v_mul_u32_u24_e32 v15, 33, v14
	v_mov_b32_e32 v14, 0
	s_delay_alu instid0(VALU_DEP_2) | instskip(NEXT) | instid1(VALU_DEP_2)
	v_add_lshl_u32 v24, v15, v0, 3
	v_mov_b32_e32 v15, v14
	ds_store_b64 v24, v[14:15]
.LBB120_49:
	s_and_not1_saveexec_b32 s25, s9
	s_cbranch_execz .LBB120_51
; %bb.50:
	s_lshl_b64 s[34:35], s[20:21], 6
	s_delay_alu instid0(SALU_CYCLE_1) | instskip(NEXT) | instid1(VALU_DEP_1)
	v_add_co_u32 v14, s9, v1, s34
	v_add_co_ci_u32_e64 v15, s9, s35, v2, s9
	global_load_b64 v[14:15], v[14:15], off
	s_waitcnt vmcnt(0)
	ds_store_b64 v13, v[14:15] offset:2112
.LBB120_51:
	s_or_b32 exec_lo, exec_lo, s25
	v_add_nc_u32_e32 v14, 16, v5
	s_delay_alu instid0(VALU_DEP_1) | instskip(NEXT) | instid1(VALU_DEP_1)
	v_cmp_le_i32_e64 s9, s23, v14
	s_and_saveexec_b32 s25, s9
	s_delay_alu instid0(SALU_CYCLE_1)
	s_xor_b32 s9, exec_lo, s25
	s_cbranch_execz .LBB120_53
; %bb.52:
	v_mov_b32_e32 v14, 0
	s_delay_alu instid0(VALU_DEP_1)
	v_mov_b32_e32 v15, v14
	ds_store_b64 v13, v[14:15] offset:4224
.LBB120_53:
	s_and_not1_saveexec_b32 s25, s9
	s_cbranch_execz .LBB120_55
; %bb.54:
	s_lshl_b64 s[34:35], s[20:21], 7
	s_delay_alu instid0(SALU_CYCLE_1) | instskip(NEXT) | instid1(VALU_DEP_1)
	v_add_co_u32 v14, s9, v1, s34
	v_add_co_ci_u32_e64 v15, s9, s35, v2, s9
	global_load_b64 v[14:15], v[14:15], off
	s_waitcnt vmcnt(0)
	ds_store_b64 v13, v[14:15] offset:4224
.LBB120_55:
	s_or_b32 exec_lo, exec_lo, s25
	v_add_nc_u32_e32 v14, 24, v5
	s_delay_alu instid0(VALU_DEP_1) | instskip(NEXT) | instid1(VALU_DEP_1)
	v_cmp_le_i32_e64 s9, s23, v14
	s_and_saveexec_b32 s23, s9
	s_delay_alu instid0(SALU_CYCLE_1)
	s_xor_b32 s9, exec_lo, s23
	s_cbranch_execz .LBB120_57
; %bb.56:
	v_mov_b32_e32 v14, 0
	s_delay_alu instid0(VALU_DEP_1)
	v_mov_b32_e32 v15, v14
	ds_store_b64 v13, v[14:15] offset:6336
                                        ; implicit-def: $vgpr13
.LBB120_57:
	s_and_not1_saveexec_b32 s9, s9
	s_cbranch_execz .LBB120_59
; %bb.58:
	v_mad_u64_u32 v[14:15], null, 0xc0, s20, v[1:2]
	s_delay_alu instid0(VALU_DEP_1) | instskip(NEXT) | instid1(VALU_DEP_1)
	v_mad_u64_u32 v[24:25], null, 0xc0, s21, v[15:16]
	v_mov_b32_e32 v15, v24
	global_load_b64 v[14:15], v[14:15], off
	s_waitcnt vmcnt(0)
	ds_store_b64 v13, v[14:15] offset:6336
.LBB120_59:
	s_or_b32 exec_lo, exec_lo, s9
	v_add_co_u32 v1, s9, v1, v12
	s_delay_alu instid0(VALU_DEP_1) | instskip(NEXT) | instid1(VALU_DEP_2)
	v_add_co_ci_u32_e64 v2, s9, 0, v2, s9
	v_sub_co_u32 v1, s9, v1, s18
	s_delay_alu instid0(VALU_DEP_1) | instskip(NEXT) | instid1(VALU_DEP_2)
	v_subrev_co_ci_u32_e64 v2, s9, s19, v2, s9
	v_add_co_u32 v1, s9, 0x108, v1
	s_delay_alu instid0(VALU_DEP_1) | instskip(NEXT) | instid1(VALU_DEP_1)
	v_add_co_ci_u32_e64 v2, s9, 0, v2, s9
	v_dual_cndmask_b32 v10, v1, v10 :: v_dual_cndmask_b32 v11, v2, v11
.LBB120_60:
	v_add_nc_u32_e32 v3, 0x2380, v3
	s_lshl_b64 s[18:19], s[20:21], 5
	s_waitcnt lgkmcnt(0)
	s_barrier
	buffer_gl0_inv
	s_and_saveexec_b32 s9, s5
	s_cbranch_execnz .LBB120_69
; %bb.61:
	s_or_b32 exec_lo, exec_lo, s9
	s_and_saveexec_b32 s5, s6
	s_cbranch_execnz .LBB120_70
.LBB120_62:
	s_or_b32 exec_lo, exec_lo, s5
	s_and_saveexec_b32 s5, s7
	s_cbranch_execnz .LBB120_71
.LBB120_63:
	s_or_b32 exec_lo, exec_lo, s5
	s_and_saveexec_b32 s5, s8
	s_cbranch_execz .LBB120_65
.LBB120_64:
	ds_load_b64 v[1:2], v6
	s_waitcnt lgkmcnt(0)
	ds_store_b64 v4, v[1:2] offset:24
.LBB120_65:
	s_or_b32 exec_lo, exec_lo, s5
	s_waitcnt lgkmcnt(0)
	s_barrier
	buffer_gl0_inv
	ds_load_b64 v[1:2], v7
	ds_load_b128 v[12:15], v3 offset:256
	ds_load_2addr_b64 v[30:33], v8 offset1:33
	ds_load_b128 v[34:37], v3 offset:272
	ds_load_b64 v[6:7], v6
	v_cmp_eq_u32_e64 s5, 1, v5
	s_waitcnt lgkmcnt(0)
	s_barrier
	buffer_gl0_inv
	v_dual_mul_f32 v8, v13, v2 :: v_dual_mul_f32 v25, v14, v31
	v_mul_f32_e32 v2, v12, v2
	v_mul_f32_e32 v24, v15, v31
	;; [unrolled: 1-line block ×4, first 2 shown]
	v_fma_f32 v8, v12, v1, -v8
	v_dual_fmac_f32 v2, v13, v1 :: v_dual_fmac_f32 v25, v15, v30
	v_mul_f32_e32 v1, v37, v7
	v_fma_f32 v12, v14, v30, -v24
	s_delay_alu instid0(VALU_DEP_4) | instskip(NEXT) | instid1(VALU_DEP_4)
	v_add_f32_e32 v8, 0, v8
	v_dual_add_f32 v2, 0, v2 :: v_dual_mul_f32 v7, v36, v7
	v_fma_f32 v13, v34, v32, -v31
	v_fmac_f32_e32 v33, v35, v32
	s_delay_alu instid0(VALU_DEP_4) | instskip(NEXT) | instid1(VALU_DEP_4)
	v_add_f32_e32 v8, v8, v12
	v_dual_add_f32 v2, v2, v25 :: v_dual_fmac_f32 v7, v37, v6
	v_fma_f32 v1, v36, v6, -v1
	s_delay_alu instid0(VALU_DEP_3) | instskip(NEXT) | instid1(VALU_DEP_3)
	v_add_f32_e32 v6, v8, v13
	v_add_f32_e32 v2, v2, v33
	s_delay_alu instid0(VALU_DEP_2) | instskip(NEXT) | instid1(VALU_DEP_2)
	v_add_f32_e32 v1, v6, v1
	v_add_f32_e32 v2, v2, v7
	ds_store_b64 v29, v[1:2]
	s_waitcnt lgkmcnt(0)
	s_barrier
	buffer_gl0_inv
	s_and_saveexec_b32 s6, s5
	s_cbranch_execz .LBB120_67
; %bb.66:
	v_lshlrev_b32_e32 v1, 3, v28
	ds_load_2addr_b64 v[12:15], v1 offset1:7
	ds_load_2addr_b64 v[30:33], v1 offset0:1 offset1:2
	ds_load_2addr_b64 v[34:37], v1 offset0:3 offset1:4
	;; [unrolled: 1-line block ×3, first 2 shown]
	s_waitcnt lgkmcnt(2)
	v_dual_add_f32 v2, v31, v13 :: v_dual_add_f32 v1, v30, v12
	s_delay_alu instid0(VALU_DEP_1) | instskip(SKIP_1) | instid1(VALU_DEP_1)
	v_dual_add_f32 v2, v2, v33 :: v_dual_add_f32 v1, v1, v32
	s_waitcnt lgkmcnt(1)
	v_dual_add_f32 v2, v2, v35 :: v_dual_add_f32 v1, v1, v34
	s_delay_alu instid0(VALU_DEP_1) | instskip(SKIP_1) | instid1(VALU_DEP_1)
	v_dual_add_f32 v2, v2, v37 :: v_dual_add_f32 v1, v1, v36
	s_waitcnt lgkmcnt(0)
	v_dual_add_f32 v2, v2, v39 :: v_dual_add_f32 v1, v1, v38
	s_delay_alu instid0(VALU_DEP_1) | instskip(NEXT) | instid1(VALU_DEP_1)
	v_dual_add_f32 v2, v2, v41 :: v_dual_add_f32 v1, v1, v40
	v_dual_add_f32 v19, v2, v15 :: v_dual_add_f32 v18, v1, v14
.LBB120_67:
	s_or_b32 exec_lo, exec_lo, s6
	s_lshl_b64 s[6:7], s[18:19], 3
	v_cmp_ne_u32_e32 vcc_lo, 1, v9
	v_sub_co_u32 v24, s6, v10, s6
	s_delay_alu instid0(VALU_DEP_1)
	v_subrev_co_ci_u32_e64 v25, s6, s7, v11, s6
	s_barrier
	buffer_gl0_inv
	s_cbranch_vccnz .LBB120_72
; %bb.68:
	v_mad_u64_u32 v[1:2], null, 0xc0, s20, v[24:25]
	s_lshl_b64 s[6:7], s[20:21], 6
	s_delay_alu instid0(VALU_DEP_1) | instskip(SKIP_2) | instid1(VALU_DEP_2)
	v_mad_u64_u32 v[6:7], null, 0xc0, s21, v[2:3]
	v_add_co_u32 v7, vcc_lo, v24, s6
	v_add_co_ci_u32_e32 v8, vcc_lo, s7, v25, vcc_lo
	v_add_co_u32 v9, vcc_lo, v7, s6
	s_delay_alu instid0(VALU_DEP_2)
	v_add_co_ci_u32_e32 v10, vcc_lo, s7, v8, vcc_lo
	v_mov_b32_e32 v2, v6
	s_clause 0x3
	global_load_b64 v[12:13], v[24:25], off
	global_load_b64 v[14:15], v[7:8], off
	;; [unrolled: 1-line block ×4, first 2 shown]
	v_mad_u32_u24 v6, v5, 33, v0
	v_add_nc_u32_e32 v7, 8, v5
	v_add_nc_u32_e32 v8, 16, v5
	;; [unrolled: 1-line block ×3, first 2 shown]
	s_delay_alu instid0(VALU_DEP_4)
	v_lshlrev_b32_e32 v9, 3, v6
	v_add_nc_u32_e32 v1, 0x108, v6
	v_add_nc_u32_e32 v2, 0x210, v6
	;; [unrolled: 1-line block ×3, first 2 shown]
	s_waitcnt vmcnt(3)
	ds_store_b64 v9, v[12:13]
	s_waitcnt vmcnt(2)
	ds_store_b64 v9, v[14:15] offset:2112
	s_waitcnt vmcnt(1)
	ds_store_b64 v9, v[30:31] offset:4224
	;; [unrolled: 2-line block ×3, first 2 shown]
	s_cbranch_execz .LBB120_73
	s_branch .LBB120_90
.LBB120_69:
	ds_load_b64 v[1:2], v7
	s_waitcnt lgkmcnt(0)
	ds_store_b64 v4, v[1:2]
	s_or_b32 exec_lo, exec_lo, s9
	s_and_saveexec_b32 s5, s6
	s_cbranch_execz .LBB120_62
.LBB120_70:
	ds_load_b64 v[1:2], v8
	s_waitcnt lgkmcnt(0)
	ds_store_b64 v4, v[1:2] offset:8
	s_or_b32 exec_lo, exec_lo, s5
	s_and_saveexec_b32 s5, s7
	s_cbranch_execz .LBB120_63
.LBB120_71:
	ds_load_b64 v[1:2], v8 offset:264
	s_waitcnt lgkmcnt(0)
	ds_store_b64 v4, v[1:2] offset:16
	s_or_b32 exec_lo, exec_lo, s5
	s_and_saveexec_b32 s5, s8
	s_cbranch_execnz .LBB120_64
	s_branch .LBB120_65
.LBB120_72:
                                        ; implicit-def: $vgpr6
                                        ; implicit-def: $vgpr7
                                        ; implicit-def: $vgpr1
                                        ; implicit-def: $vgpr8
                                        ; implicit-def: $vgpr2
                                        ; implicit-def: $vgpr10
                                        ; implicit-def: $vgpr11
.LBB120_73:
	v_lshlrev_b32_e32 v9, 3, v0
	s_ashr_i32 s25, s24, 31
	v_or_b32_e32 v6, 32, v0
	s_lshl_b64 s[8:9], s[24:25], 3
	v_cmp_le_i32_e64 s6, s24, v5
	v_sub_co_u32 v1, vcc_lo, v24, v9
	v_subrev_co_ci_u32_e32 v2, vcc_lo, 0, v25, vcc_lo
	s_delay_alu instid0(VALU_DEP_2) | instskip(NEXT) | instid1(VALU_DEP_2)
	v_add_co_u32 v1, vcc_lo, v1, s8
	v_add_co_ci_u32_e32 v2, vcc_lo, s9, v2, vcc_lo
	s_delay_alu instid0(VALU_DEP_2) | instskip(NEXT) | instid1(VALU_DEP_2)
	v_add_co_u32 v1, vcc_lo, 0xfffffef8, v1
	v_add_co_ci_u32_e32 v2, vcc_lo, -1, v2, vcc_lo
	v_cmp_gt_i32_e32 vcc_lo, s24, v6
	v_mad_u32_u24 v6, v5, 33, v0
	s_delay_alu instid0(VALU_DEP_3) | instskip(NEXT) | instid1(VALU_DEP_2)
	v_dual_cndmask_b32 v2, v2, v25 :: v_dual_cndmask_b32 v1, v1, v24
	v_lshlrev_b32_e32 v12, 3, v6
	s_and_saveexec_b32 s7, s6
	s_delay_alu instid0(SALU_CYCLE_1)
	s_xor_b32 s6, exec_lo, s7
	s_cbranch_execz .LBB120_75
; %bb.74:
	v_mov_b32_e32 v7, 0
	s_delay_alu instid0(VALU_DEP_1)
	v_mov_b32_e32 v8, v7
	ds_store_b64 v12, v[7:8]
.LBB120_75:
	s_and_not1_saveexec_b32 s6, s6
	s_cbranch_execz .LBB120_77
; %bb.76:
	global_load_b64 v[7:8], v[1:2], off
	s_waitcnt vmcnt(0)
	ds_store_b64 v12, v[7:8]
.LBB120_77:
	s_or_b32 exec_lo, exec_lo, s6
	v_add_nc_u32_e32 v7, 8, v5
	s_delay_alu instid0(VALU_DEP_1) | instskip(NEXT) | instid1(VALU_DEP_1)
	v_cmp_le_i32_e64 s6, s24, v7
	s_and_saveexec_b32 s7, s6
	s_delay_alu instid0(SALU_CYCLE_1)
	s_xor_b32 s6, exec_lo, s7
	s_cbranch_execz .LBB120_79
; %bb.78:
	v_mul_u32_u24_e32 v8, 33, v7
	v_mov_b32_e32 v10, 0
	s_delay_alu instid0(VALU_DEP_2) | instskip(NEXT) | instid1(VALU_DEP_2)
	v_add_lshl_u32 v8, v8, v0, 3
	v_mov_b32_e32 v11, v10
	ds_store_b64 v8, v[10:11]
.LBB120_79:
	s_and_not1_saveexec_b32 s7, s6
	s_cbranch_execz .LBB120_81
; %bb.80:
	s_lshl_b64 s[18:19], s[20:21], 6
	s_delay_alu instid0(SALU_CYCLE_1) | instskip(NEXT) | instid1(VALU_DEP_1)
	v_add_co_u32 v10, s6, v1, s18
	v_add_co_ci_u32_e64 v11, s6, s19, v2, s6
	global_load_b64 v[10:11], v[10:11], off
	s_waitcnt vmcnt(0)
	ds_store_b64 v12, v[10:11] offset:2112
.LBB120_81:
	s_or_b32 exec_lo, exec_lo, s7
	v_add_nc_u32_e32 v8, 16, v5
	s_delay_alu instid0(VALU_DEP_1) | instskip(NEXT) | instid1(VALU_DEP_1)
	v_cmp_le_i32_e64 s6, s24, v8
	s_and_saveexec_b32 s7, s6
	s_delay_alu instid0(SALU_CYCLE_1)
	s_xor_b32 s6, exec_lo, s7
	s_cbranch_execz .LBB120_83
; %bb.82:
	v_mul_u32_u24_e32 v11, 33, v8
	v_mov_b32_e32 v10, 0
	s_delay_alu instid0(VALU_DEP_2) | instskip(NEXT) | instid1(VALU_DEP_2)
	v_add_lshl_u32 v0, v11, v0, 3
	v_mov_b32_e32 v11, v10
	ds_store_b64 v0, v[10:11]
.LBB120_83:
	s_and_not1_saveexec_b32 s7, s6
	s_cbranch_execz .LBB120_85
; %bb.84:
	s_lshl_b64 s[18:19], s[20:21], 7
	s_delay_alu instid0(SALU_CYCLE_1) | instskip(NEXT) | instid1(VALU_DEP_1)
	v_add_co_u32 v10, s6, v1, s18
	v_add_co_ci_u32_e64 v11, s6, s19, v2, s6
	global_load_b64 v[10:11], v[10:11], off
	s_waitcnt vmcnt(0)
	ds_store_b64 v12, v[10:11] offset:4224
.LBB120_85:
	s_or_b32 exec_lo, exec_lo, s7
	v_add_nc_u32_e32 v10, 24, v5
                                        ; implicit-def: $vgpr11
	s_delay_alu instid0(VALU_DEP_1) | instskip(NEXT) | instid1(VALU_DEP_1)
	v_cmp_le_i32_e64 s6, s24, v10
	s_and_saveexec_b32 s7, s6
	s_delay_alu instid0(SALU_CYCLE_1)
	s_xor_b32 s6, exec_lo, s7
	s_cbranch_execz .LBB120_87
; %bb.86:
	v_mov_b32_e32 v13, 0
	s_delay_alu instid0(VALU_DEP_1)
	v_dual_mov_b32 v14, v13 :: v_dual_add_nc_u32 v11, 0x318, v6
	ds_store_b64 v12, v[13:14] offset:6336
                                        ; implicit-def: $vgpr12
.LBB120_87:
	s_and_not1_saveexec_b32 s6, s6
	s_cbranch_execz .LBB120_89
; %bb.88:
	v_mad_u64_u32 v[13:14], null, 0xc0, s20, v[1:2]
	s_delay_alu instid0(VALU_DEP_1) | instskip(NEXT) | instid1(VALU_DEP_1)
	v_dual_mov_b32 v0, v14 :: v_dual_add_nc_u32 v11, 0x318, v6
	v_mad_u64_u32 v[14:15], null, 0xc0, s21, v[0:1]
	global_load_b64 v[13:14], v[13:14], off
	s_waitcnt vmcnt(0)
	ds_store_b64 v12, v[13:14] offset:6336
.LBB120_89:
	s_or_b32 exec_lo, exec_lo, s6
	v_add_co_u32 v0, s6, v1, v9
	s_delay_alu instid0(VALU_DEP_1) | instskip(NEXT) | instid1(VALU_DEP_2)
	v_add_co_ci_u32_e64 v1, s6, 0, v2, s6
	v_sub_co_u32 v0, s6, v0, s8
	s_delay_alu instid0(VALU_DEP_1) | instskip(NEXT) | instid1(VALU_DEP_2)
	v_subrev_co_ci_u32_e64 v1, s6, s9, v1, s6
	v_add_co_u32 v0, s6, 0x108, v0
	s_delay_alu instid0(VALU_DEP_1) | instskip(NEXT) | instid1(VALU_DEP_2)
	v_add_co_ci_u32_e64 v2, s6, 0, v1, s6
	v_dual_cndmask_b32 v24, v0, v24 :: v_dual_add_nc_u32 v1, 0x108, v6
	s_delay_alu instid0(VALU_DEP_2)
	v_dual_cndmask_b32 v25, v2, v25 :: v_dual_add_nc_u32 v2, 0x210, v6
.LBB120_90:
	v_lshlrev_b32_e32 v0, 3, v6
	v_lshlrev_b32_e32 v5, 3, v5
	s_delay_alu instid0(VALU_DEP_4)
	v_lshlrev_b32_e32 v1, 3, v1
	v_lshlrev_b32_e32 v6, 3, v7
	;; [unrolled: 1-line block ×6, first 2 shown]
	s_waitcnt lgkmcnt(0)
	s_barrier
	buffer_gl0_inv
	ds_load_b64 v[30:31], v0
	ds_load_b64 v[32:33], v5 offset:9088
	ds_load_b64 v[34:35], v1
	ds_load_b64 v[36:37], v6 offset:9088
	;; [unrolled: 2-line block ×4, first 2 shown]
	ds_load_b128 v[8:11], v3 offset:256
	ds_load_b128 v[0:3], v3 offset:272
	ds_load_2addr_b64 v[12:15], v4 offset1:1
	ds_load_2addr_b64 v[4:7], v4 offset0:2 offset1:3
	s_waitcnt lgkmcnt(0)
	s_barrier
	buffer_gl0_inv
	v_mul_f32_e32 v46, v33, v31
	v_mul_f32_e32 v31, v32, v31
	;; [unrolled: 1-line block ×4, first 2 shown]
	s_delay_alu instid0(VALU_DEP_4) | instskip(NEXT) | instid1(VALU_DEP_4)
	v_fma_f32 v32, v32, v30, -v46
	v_dual_fmac_f32 v31, v33, v30 :: v_dual_mul_f32 v30, v40, v39
	v_mul_f32_e32 v35, v36, v35
	v_fma_f32 v33, v36, v34, -v47
	s_delay_alu instid0(VALU_DEP_4) | instskip(NEXT) | instid1(VALU_DEP_4)
	v_dual_add_f32 v32, 0, v32 :: v_dual_mul_f32 v49, v45, v43
	v_fmac_f32_e32 v30, v41, v38
	s_delay_alu instid0(VALU_DEP_4) | instskip(SKIP_4) | instid1(VALU_DEP_4)
	v_dual_fmac_f32 v35, v37, v34 :: v_dual_mul_f32 v34, v44, v43
	v_add_f32_e32 v31, 0, v31
	v_fma_f32 v36, v40, v38, -v48
	v_add_f32_e32 v32, v32, v33
	v_fma_f32 v33, v44, v42, -v49
	v_dual_fmac_f32 v34, v45, v42 :: v_dual_add_f32 v31, v31, v35
	s_delay_alu instid0(VALU_DEP_1) | instskip(NEXT) | instid1(VALU_DEP_1)
	v_dual_add_f32 v32, v32, v36 :: v_dual_add_f32 v31, v31, v30
	v_dual_add_f32 v30, v32, v33 :: v_dual_add_f32 v31, v31, v34
	ds_store_b64 v29, v[30:31]
	s_waitcnt lgkmcnt(0)
	s_barrier
	buffer_gl0_inv
	s_and_saveexec_b32 s6, s5
	s_cbranch_execz .LBB120_92
; %bb.91:
	v_lshlrev_b32_e32 v42, 3, v28
	ds_load_2addr_b64 v[30:33], v42 offset1:1
	ds_load_2addr_b64 v[34:37], v42 offset0:2 offset1:3
	s_waitcnt lgkmcnt(1)
	v_dual_add_f32 v19, v19, v31 :: v_dual_add_f32 v18, v18, v30
	ds_load_2addr_b64 v[38:41], v42 offset0:4 offset1:5
	v_dual_add_f32 v19, v19, v33 :: v_dual_add_f32 v18, v18, v32
	ds_load_2addr_b64 v[30:33], v42 offset0:6 offset1:7
	s_waitcnt lgkmcnt(2)
	v_dual_add_f32 v19, v19, v35 :: v_dual_add_f32 v18, v18, v34
	s_delay_alu instid0(VALU_DEP_1) | instskip(SKIP_1) | instid1(VALU_DEP_1)
	v_dual_add_f32 v19, v19, v37 :: v_dual_add_f32 v18, v18, v36
	s_waitcnt lgkmcnt(1)
	v_dual_add_f32 v19, v19, v39 :: v_dual_add_f32 v18, v18, v38
	s_delay_alu instid0(VALU_DEP_1) | instskip(SKIP_1) | instid1(VALU_DEP_1)
	v_dual_add_f32 v19, v19, v41 :: v_dual_add_f32 v18, v18, v40
	s_waitcnt lgkmcnt(0)
	v_dual_add_f32 v19, v19, v31 :: v_dual_add_f32 v18, v18, v30
	s_delay_alu instid0(VALU_DEP_1)
	v_dual_add_f32 v19, v19, v33 :: v_dual_add_f32 v18, v18, v32
.LBB120_92:
	s_or_b32 exec_lo, exec_lo, s6
	v_dual_mul_f32 v30, v9, v13 :: v_dual_mul_f32 v31, v11, v15
	v_mul_f32_e32 v13, v8, v13
	v_dual_mul_f32 v15, v10, v15 :: v_dual_mul_f32 v32, v1, v5
	s_delay_alu instid0(VALU_DEP_3) | instskip(NEXT) | instid1(VALU_DEP_4)
	v_fma_f32 v8, v8, v12, -v30
	v_fma_f32 v10, v10, v14, -v31
	v_mul_f32_e32 v5, v0, v5
	s_delay_alu instid0(VALU_DEP_4)
	v_fmac_f32_e32 v15, v11, v14
	v_fma_f32 v0, v0, v4, -v32
	v_add_f32_e32 v8, 0, v8
	v_fmac_f32_e32 v13, v9, v12
	v_fmac_f32_e32 v5, v1, v4
	s_barrier
	s_delay_alu instid0(VALU_DEP_3)
	v_dual_add_f32 v8, v8, v10 :: v_dual_mul_f32 v9, v3, v7
	v_mul_f32_e32 v7, v2, v7
	buffer_gl0_inv
	v_add_f32_e32 v0, v8, v0
	v_fma_f32 v2, v2, v6, -v9
	v_add_f32_e32 v11, 0, v13
	v_fmac_f32_e32 v7, v3, v6
	s_delay_alu instid0(VALU_DEP_2) | instskip(NEXT) | instid1(VALU_DEP_1)
	v_dual_add_f32 v0, v0, v2 :: v_dual_add_f32 v1, v11, v15
	v_add_f32_e32 v1, v1, v5
	s_delay_alu instid0(VALU_DEP_1)
	v_add_f32_e32 v1, v1, v7
	ds_store_b64 v29, v[0:1]
	s_waitcnt lgkmcnt(0)
	s_barrier
	buffer_gl0_inv
	s_and_saveexec_b32 s5, s4
	s_cbranch_execz .LBB120_94
; %bb.93:
	v_lshlrev_b32_e32 v12, 3, v28
	ds_load_2addr_b64 v[0:3], v12 offset1:1
	ds_load_2addr_b64 v[4:7], v12 offset0:2 offset1:3
	s_waitcnt lgkmcnt(1)
	v_add_f32_e32 v1, v19, v1
	ds_load_2addr_b64 v[8:11], v12 offset0:4 offset1:5
	v_add_f32_e32 v14, v1, v3
	s_waitcnt lgkmcnt(1)
	s_delay_alu instid0(VALU_DEP_1) | instskip(NEXT) | instid1(VALU_DEP_1)
	v_add_f32_e32 v5, v14, v5
	v_dual_add_f32 v0, v18, v0 :: v_dual_add_f32 v5, v5, v7
	s_delay_alu instid0(VALU_DEP_1) | instskip(SKIP_3) | instid1(VALU_DEP_1)
	v_add_f32_e32 v13, v0, v2
	ds_load_2addr_b64 v[0:3], v12 offset0:6 offset1:7
	v_add_f32_e32 v4, v13, v4
	s_waitcnt lgkmcnt(1)
	v_dual_add_f32 v5, v5, v9 :: v_dual_add_f32 v4, v4, v6
	s_delay_alu instid0(VALU_DEP_1) | instskip(SKIP_1) | instid1(VALU_DEP_1)
	v_dual_add_f32 v5, v5, v11 :: v_dual_add_f32 v4, v4, v8
	s_waitcnt lgkmcnt(0)
	v_dual_add_f32 v4, v4, v10 :: v_dual_add_f32 v1, v5, v1
	s_delay_alu instid0(VALU_DEP_1) | instskip(NEXT) | instid1(VALU_DEP_1)
	v_dual_add_f32 v0, v4, v0 :: v_dual_add_f32 v19, v1, v3
	v_add_f32_e32 v18, v0, v2
.LBB120_94:
	s_or_b32 exec_lo, exec_lo, s5
	s_load_b64 s[0:1], s[0:1], 0x68
	s_mul_hi_u32 s4, s30, s15
	s_mul_i32 s27, s27, s15
	s_mul_i32 s5, s30, s15
	s_add_i32 s4, s4, s27
	s_mul_hi_u32 s6, s5, s26
	s_mul_i32 s7, s4, s26
	s_mul_i32 s4, s5, s26
	s_add_i32 s5, s6, s7
	s_mul_i32 s6, s14, s30
	s_lshl_b64 s[4:5], s[4:5], 3
	v_cmp_le_i32_e32 vcc_lo, s24, v26
	v_lshlrev_b32_e32 v73, 3, v26
	s_waitcnt lgkmcnt(0)
	s_barrier
	buffer_gl0_inv
	s_add_u32 s4, s0, s4
	s_addc_u32 s5, s1, s5
	s_ashr_i32 s7, s6, 31
	s_delay_alu instid0(SALU_CYCLE_1) | instskip(NEXT) | instid1(SALU_CYCLE_1)
	s_lshl_b64 s[0:1], s[6:7], 3
	s_add_u32 s15, s4, s0
	s_addc_u32 s18, s5, s1
	s_and_b32 vcc_lo, s22, vcc_lo
	s_cmp_lt_i32 s14, 1
	s_cbranch_scc1 .LBB120_101
; %bb.95:
	v_lshlrev_b32_e32 v4, 2, v72
	s_mul_i32 s1, s12, s29
	s_mul_hi_u32 s5, s12, s28
	s_mul_i32 s8, s13, s28
	s_mul_i32 s4, s12, s28
	v_mad_u64_u32 v[0:1], null, v4, s20, 0
	s_ashr_i32 s25, s24, 31
	s_mul_hi_u32 s12, s20, 24
	s_lshl_b64 s[6:7], s[24:25], 3
	v_and_b32_e32 v7, 48, v26
	v_and_b32_e32 v5, 15, v26
	v_lshrrev_b32_e32 v6, 4, v27
	s_delay_alu instid0(VALU_DEP_4) | instskip(SKIP_1) | instid1(VALU_DEP_1)
	v_mad_u64_u32 v[2:3], null, v4, s21, v[1:2]
	v_sub_co_u32 v3, s0, v24, s16
	v_subrev_co_ci_u32_e64 v4, s0, s17, v25, s0
	s_add_i32 s0, s5, s1
	s_mul_i32 s1, s21, 24
	s_delay_alu instid0(VALU_DEP_3) | instskip(SKIP_2) | instid1(VALU_DEP_1)
	v_mov_b32_e32 v1, v2
	s_add_i32 s5, s0, s8
	v_sub_co_u32 v2, s0, v3, v22
	v_sub_co_ci_u32_e64 v3, s0, v4, v23, s0
	s_delay_alu instid0(VALU_DEP_3)
	v_lshlrev_b64 v[0:1], 3, v[0:1]
	s_lshl_b64 s[4:5], s[4:5], 3
	s_add_i32 s16, s12, s1
	s_mul_i32 s1, s21, 0x90
	s_mul_hi_u32 s12, s20, 0x90
	v_lshlrev_b32_e32 v8, 5, v6
	v_add_co_u32 v0, s0, v2, v0
	s_delay_alu instid0(VALU_DEP_1) | instskip(SKIP_1) | instid1(VALU_DEP_1)
	v_add_co_ci_u32_e64 v1, s0, v3, v1, s0
	v_sub_co_u32 v74, s0, v20, s4
	v_subrev_co_ci_u32_e64 v75, s0, s5, v21, s0
	s_delay_alu instid0(VALU_DEP_4) | instskip(NEXT) | instid1(VALU_DEP_1)
	v_add_co_u32 v2, s0, v0, s6
	v_add_co_ci_u32_e64 v3, s0, s7, v1, s0
	v_add_co_u32 v0, s0, v0, v73
	s_delay_alu instid0(VALU_DEP_1) | instskip(NEXT) | instid1(VALU_DEP_4)
	v_add_co_ci_u32_e64 v1, s0, 0, v1, s0
	v_add_co_u32 v2, s0, 0xfffffef8, v2
	s_delay_alu instid0(VALU_DEP_1) | instskip(NEXT) | instid1(VALU_DEP_4)
	v_add_co_ci_u32_e64 v3, s0, -1, v3, s0
	v_add_co_u32 v0, s0, 0xffffff00, v0
	s_add_i32 s19, s12, s1
	s_mul_i32 s1, s21, 0x98
	s_mul_hi_u32 s12, s20, 0x98
	v_add_co_ci_u32_e64 v4, s0, -1, v1, s0
	s_add_i32 s23, s12, s1
	s_mul_i32 s1, s21, 0x110
	s_mul_hi_u32 s12, s20, 0x110
	v_dual_mov_b32 v1, 0 :: v_dual_cndmask_b32 v2, v0, v2
	s_add_i32 s25, s12, s1
	s_mul_i32 s1, s21, 0x118
	s_mul_hi_u32 s12, s20, 0x118
	v_lshlrev_b32_e32 v0, 3, v7
	s_add_i32 s27, s12, s1
	s_mul_i32 s1, s21, 0x190
	s_mul_hi_u32 s12, s20, 0x190
	v_dual_cndmask_b32 v3, v4, v3 :: v_dual_add_nc_u32 v76, 0x2180, v73
	s_add_i32 s31, s12, s1
	s_mul_i32 s1, s21, 0x198
	s_mul_hi_u32 s12, s20, 0x198
	v_or_b32_e32 v4, 0x78, v73
	v_mad_u32_u24 v78, 0x218, v5, v0
	v_lshlrev_b32_e32 v0, 3, v6
	s_add_i32 s34, s12, s1
	s_mul_i32 s1, s21, 0x188
	s_mul_hi_u32 s12, s20, 0x188
	v_add_nc_u32_e32 v77, 0x2380, v73
	s_add_i32 s36, s12, s1
	s_mul_i32 s1, s21, 0x180
	s_mul_hi_u32 s12, s20, 0x180
	v_cmp_gt_u32_e64 s0, 64, v27
	s_add_i32 s38, s12, s1
	s_mul_i32 s1, s21, 0x108
	s_mul_hi_u32 s12, s20, 0x108
	v_mad_u32_u24 v79, 0x218, v5, v4
	v_mad_u32_u24 v80, 0x218, v5, v8
	v_lshl_add_u32 v81, v72, 5, 0x2180
	v_mad_u32_u24 v82, 0x860, v72, v73
	v_mad_u32_u24 v83, 0x218, v5, v0
	v_or_b32_e32 v84, v7, v5
	s_add_i32 s40, s12, s1
	s_mul_i32 s1, s21, 0x88
	s_mul_hi_u32 s12, s20, 0x88
	s_lshl_b64 s[4:5], s[20:21], 3
	s_lshl_b64 s[6:7], s[20:21], 9
	;; [unrolled: 1-line block ×3, first 2 shown]
	s_mul_i32 s17, s20, 24
	s_mul_i32 s22, s20, 0x90
	;; [unrolled: 1-line block ×10, first 2 shown]
	s_add_i32 s42, s12, s1
	s_mul_i32 s43, s20, 0x88
	s_lshl_b64 s[12:13], s[20:21], 7
	s_mov_b32 s20, 0
	s_branch .LBB120_97
.LBB120_96:                             ;   in Loop: Header=BB120_97 Depth=1
	s_or_b32 exec_lo, exec_lo, s21
	v_dual_mul_f32 v0, v13, v5 :: v_dual_mul_f32 v85, v31, v11
	v_mul_f32_e32 v13, v13, v4
	v_dual_mul_f32 v31, v31, v10 :: v_dual_mul_f32 v86, v29, v9
	s_delay_alu instid0(VALU_DEP_3) | instskip(SKIP_3) | instid1(VALU_DEP_4)
	v_fma_f32 v0, v12, v4, -v0
	v_dual_mul_f32 v4, v29, v8 :: v_dual_mul_f32 v29, v27, v7
	v_mul_f32_e32 v27, v27, v6
	v_fma_f32 v10, v30, v10, -v85
	v_add_f32_e32 v0, v18, v0
	v_mul_f32_e32 v18, v43, v25
	v_fmac_f32_e32 v13, v12, v5
	v_mul_f32_e32 v43, v43, v24
	v_fma_f32 v5, v28, v8, -v86
	v_add_f32_e32 v0, v0, v10
	v_mul_f32_e32 v8, v47, v23
	v_dual_fmac_f32 v31, v30, v11 :: v_dual_add_f32 v10, v19, v13
	v_fma_f32 v6, v26, v6, -v29
	s_delay_alu instid0(VALU_DEP_4) | instskip(NEXT) | instid1(VALU_DEP_3)
	v_dual_add_f32 v0, v0, v5 :: v_dual_mul_f32 v5, v47, v22
	v_dual_fmac_f32 v4, v28, v9 :: v_dual_add_f32 v9, v10, v31
	v_fma_f32 v10, v42, v24, -v18
	s_delay_alu instid0(VALU_DEP_3) | instskip(SKIP_1) | instid1(VALU_DEP_4)
	v_dual_add_f32 v0, v0, v6 :: v_dual_fmac_f32 v27, v26, v7
	v_fma_f32 v7, v46, v22, -v8
	v_dual_add_f32 v4, v9, v4 :: v_dual_fmac_f32 v43, v42, v25
	s_delay_alu instid0(VALU_DEP_3) | instskip(SKIP_1) | instid1(VALU_DEP_3)
	v_add_f32_e32 v0, v0, v10
	v_dual_mul_f32 v6, v45, v21 :: v_dual_fmac_f32 v5, v46, v23
	v_add_f32_e32 v4, v4, v27
	v_add_co_u32 v2, s1, v2, s6
	s_delay_alu instid0(VALU_DEP_4) | instskip(NEXT) | instid1(VALU_DEP_3)
	v_dual_add_f32 v0, v0, v7 :: v_dual_mul_f32 v7, v45, v20
	v_add_f32_e32 v4, v4, v43
	v_mul_f32_e32 v8, v41, v15
	v_fma_f32 v6, v44, v20, -v6
	v_add_co_ci_u32_e64 v3, s1, s7, v3, s1
	v_fmac_f32_e32 v7, v44, v21
	v_dual_add_f32 v4, v4, v5 :: v_dual_mul_f32 v5, v41, v14
	v_fma_f32 v8, v40, v14, -v8
	s_add_i32 s14, s14, -1
	s_add_i32 s20, s20, 64
	s_delay_alu instid0(VALU_DEP_2)
	v_add_f32_e32 v4, v4, v7
	v_fmac_f32_e32 v5, v40, v15
	v_mul_f32_e32 v7, v57, v38
	v_mul_f32_e32 v9, v67, v48
	s_cmp_eq_u32 s14, 0
	s_waitcnt_vscnt null, 0x0
	v_dual_add_f32 v4, v4, v5 :: v_dual_mul_f32 v5, v63, v36
	v_add_f32_e32 v0, v0, v6
	v_mul_f32_e32 v6, v57, v39
	v_fmac_f32_e32 v7, v56, v39
	s_barrier
	s_delay_alu instid0(VALU_DEP_3)
	v_dual_fmac_f32 v5, v62, v37 :: v_dual_add_f32 v0, v0, v8
	v_mul_f32_e32 v8, v63, v37
	v_fma_f32 v6, v56, v38, -v6
	v_dual_add_f32 v4, v4, v7 :: v_dual_fmac_f32 v9, v66, v49
	v_mul_f32_e32 v7, v61, v34
	buffer_gl0_inv
	v_dual_add_f32 v4, v4, v5 :: v_dual_mul_f32 v5, v65, v55
	v_add_f32_e32 v0, v0, v6
	v_fma_f32 v6, v62, v36, -v8
	v_mul_f32_e32 v8, v61, v35
	v_fmac_f32_e32 v7, v60, v35
	v_fma_f32 v5, v64, v54, -v5
	s_delay_alu instid0(VALU_DEP_4) | instskip(NEXT) | instid1(VALU_DEP_4)
	v_add_f32_e32 v0, v0, v6
	v_fma_f32 v6, v60, v34, -v8
	v_mul_f32_e32 v8, v59, v33
	s_delay_alu instid0(VALU_DEP_2) | instskip(NEXT) | instid1(VALU_DEP_2)
	v_add_f32_e32 v0, v0, v6
	v_fma_f32 v6, v58, v32, -v8
	v_mul_f32_e32 v8, v59, v32
	v_dual_add_f32 v4, v4, v7 :: v_dual_mul_f32 v7, v65, v54
	s_delay_alu instid0(VALU_DEP_3) | instskip(NEXT) | instid1(VALU_DEP_2)
	v_add_f32_e32 v0, v0, v6
	v_dual_mul_f32 v6, v71, v53 :: v_dual_fmac_f32 v7, v64, v55
	s_delay_alu instid0(VALU_DEP_2) | instskip(NEXT) | instid1(VALU_DEP_2)
	v_add_f32_e32 v0, v0, v5
	v_fma_f32 v5, v70, v52, -v6
	v_mul_f32_e32 v6, v71, v52
	s_delay_alu instid0(VALU_DEP_2) | instskip(SKIP_1) | instid1(VALU_DEP_2)
	v_dual_add_f32 v0, v0, v5 :: v_dual_mul_f32 v5, v69, v50
	v_fmac_f32_e32 v8, v58, v33
	v_dual_fmac_f32 v6, v70, v53 :: v_dual_fmac_f32 v5, v68, v51
	s_delay_alu instid0(VALU_DEP_2) | instskip(SKIP_1) | instid1(VALU_DEP_2)
	v_add_f32_e32 v4, v4, v8
	v_mul_f32_e32 v8, v69, v51
	v_add_f32_e32 v4, v4, v7
	s_delay_alu instid0(VALU_DEP_2) | instskip(SKIP_1) | instid1(VALU_DEP_3)
	v_fma_f32 v7, v68, v50, -v8
	v_mul_f32_e32 v8, v67, v49
	v_add_f32_e32 v4, v4, v6
	s_delay_alu instid0(VALU_DEP_3) | instskip(NEXT) | instid1(VALU_DEP_3)
	v_add_f32_e32 v0, v0, v7
	v_fma_f32 v6, v66, v48, -v8
	s_delay_alu instid0(VALU_DEP_3) | instskip(NEXT) | instid1(VALU_DEP_2)
	v_add_f32_e32 v4, v4, v5
	v_add_f32_e32 v18, v0, v6
	s_delay_alu instid0(VALU_DEP_2)
	v_add_f32_e32 v19, v4, v9
	s_cbranch_scc1 .LBB120_101
.LBB120_97:                             ; =>This Inner Loop Header: Depth=1
	s_and_saveexec_b32 s21, s3
	s_cbranch_execz .LBB120_99
; %bb.98:                               ;   in Loop: Header=BB120_97 Depth=1
	s_mul_i32 s1, s20, s29
	s_mul_hi_u32 s45, s20, s28
	s_mul_i32 s44, s20, s28
	s_add_i32 s45, s45, s1
	s_delay_alu instid0(SALU_CYCLE_1) | instskip(NEXT) | instid1(SALU_CYCLE_1)
	s_lshl_b64 s[44:45], s[44:45], 3
	v_add_co_u32 v4, s1, v74, s44
	s_delay_alu instid0(VALU_DEP_1)
	v_add_co_ci_u32_e64 v5, s1, s45, v75, s1
	global_load_b64 v[4:5], v[4:5], off
	s_waitcnt vmcnt(0)
	ds_store_b64 v76, v[4:5]
.LBB120_99:                             ;   in Loop: Header=BB120_97 Depth=1
	s_or_b32 exec_lo, exec_lo, s21
	v_add_co_u32 v6, s1, v2, s4
	s_delay_alu instid0(VALU_DEP_1) | instskip(SKIP_1) | instid1(VALU_DEP_1)
	v_add_co_ci_u32_e64 v7, s1, s5, v3, s1
	v_add_co_u32 v8, s1, v2, s8
	v_add_co_ci_u32_e64 v9, s1, s9, v3, s1
	v_add_co_u32 v12, s1, v2, s17
	s_delay_alu instid0(VALU_DEP_1)
	v_add_co_ci_u32_e64 v13, s1, s16, v3, s1
	s_waitcnt lgkmcnt(0)
	s_barrier
	buffer_gl0_inv
	s_clause 0x3
	global_load_b64 v[4:5], v[2:3], off
	global_load_b64 v[10:11], v[6:7], off
	global_load_b64 v[8:9], v[8:9], off
	global_load_b64 v[6:7], v[12:13], off
	ds_load_b64 v[14:15], v77
	ds_load_b64 v[12:13], v81
	v_add_co_u32 v20, s1, v2, s12
	s_delay_alu instid0(VALU_DEP_1) | instskip(SKIP_1) | instid1(VALU_DEP_1)
	v_add_co_ci_u32_e64 v21, s1, s13, v3, s1
	v_add_co_u32 v22, s1, v2, s43
	v_add_co_ci_u32_e64 v23, s1, s42, v3, s1
	v_add_co_u32 v32, s1, v2, s22
	s_delay_alu instid0(VALU_DEP_1)
	v_add_co_ci_u32_e64 v33, s1, s19, v3, s1
	s_waitcnt vmcnt(0) lgkmcnt(1)
	v_dual_mul_f32 v0, v15, v5 :: v_dual_mul_f32 v37, v14, v7
	v_mul_f32_e32 v35, v15, v8
	v_mul_f32_e32 v26, v15, v10
	;; [unrolled: 1-line block ×3, first 2 shown]
	s_delay_alu instid0(VALU_DEP_4) | instskip(NEXT) | instid1(VALU_DEP_4)
	v_fma_f32 v24, v14, v4, -v0
	v_dual_mul_f32 v0, v15, v11 :: v_dual_fmac_f32 v35, v14, v9
	s_delay_alu instid0(VALU_DEP_4) | instskip(SKIP_3) | instid1(VALU_DEP_4)
	v_dual_mul_f32 v25, v15, v4 :: v_dual_fmac_f32 v26, v14, v11
	v_mul_f32_e32 v28, v15, v7
	v_fma_f32 v34, v14, v8, -v27
	v_fmac_f32_e32 v37, v15, v6
	v_fmac_f32_e32 v25, v14, v5
	s_delay_alu instid0(VALU_DEP_4) | instskip(SKIP_4) | instid1(VALU_DEP_1)
	v_fma_f32 v36, v14, v6, -v28
	ds_store_b64 v82, v[24:25]
	v_fma_f32 v25, v14, v10, -v0
	ds_load_b64 v[30:31], v81 offset:8
	v_add_co_u32 v14, s1, v2, s24
	v_add_co_ci_u32_e64 v15, s1, s23, v3, s1
	ds_store_b64 v82, v[25:26] offset:536
	ds_load_b64 v[28:29], v81 offset:16
	ds_store_b64 v82, v[34:35] offset:1072
	ds_load_b64 v[26:27], v81 offset:24
	ds_store_b64 v82, v[36:37] offset:1608
	s_waitcnt lgkmcnt(0)
	s_barrier
	buffer_gl0_inv
	ds_load_2addr_b64 v[85:88], v80 offset1:1
	ds_load_2addr_b64 v[89:92], v80 offset0:2 offset1:3
	s_waitcnt lgkmcnt(0)
	s_barrier
	buffer_gl0_inv
	s_clause 0x3
	global_load_b64 v[24:25], v[20:21], off
	global_load_b64 v[22:23], v[22:23], off
	global_load_b64 v[20:21], v[32:33], off
	global_load_b64 v[14:15], v[14:15], off
	ds_load_b64 v[32:33], v77
	ds_load_b64 v[42:43], v81 offset:128
	v_add_co_u32 v34, s1, v2, s10
	s_delay_alu instid0(VALU_DEP_1) | instskip(SKIP_1) | instid1(VALU_DEP_1)
	v_add_co_ci_u32_e64 v35, s1, s11, v3, s1
	v_add_co_u32 v36, s1, v2, s41
	v_add_co_ci_u32_e64 v37, s1, s40, v3, s1
	v_add_co_u32 v48, s1, v2, s26
	s_delay_alu instid0(VALU_DEP_1)
	v_add_co_ci_u32_e64 v49, s1, s25, v3, s1
	s_waitcnt vmcnt(2) lgkmcnt(1)
	v_mul_f32_e32 v40, v33, v23
	v_mul_f32_e32 v0, v33, v25
	;; [unrolled: 1-line block ×4, first 2 shown]
	s_waitcnt vmcnt(1)
	v_mul_f32_e32 v44, v33, v21
	v_mul_f32_e32 v51, v33, v20
	s_waitcnt vmcnt(0)
	v_mul_f32_e32 v45, v33, v15
	v_mul_f32_e32 v53, v32, v15
	v_fma_f32 v38, v32, v24, -v0
	v_fmac_f32_e32 v39, v32, v25
	v_fma_f32 v40, v32, v22, -v40
	v_fmac_f32_e32 v41, v32, v23
	;; [unrolled: 2-line block ×4, first 2 shown]
	ds_store_b64 v82, v[38:39]
	ds_load_b64 v[46:47], v81 offset:136
	ds_store_b64 v82, v[40:41] offset:536
	ds_load_b64 v[44:45], v81 offset:144
	ds_store_b64 v82, v[50:51] offset:1072
	;; [unrolled: 2-line block ×3, first 2 shown]
	s_waitcnt lgkmcnt(0)
	s_barrier
	buffer_gl0_inv
	ds_load_2addr_b64 v[93:96], v80 offset1:1
	ds_load_2addr_b64 v[97:100], v80 offset0:2 offset1:3
	s_waitcnt lgkmcnt(0)
	s_barrier
	buffer_gl0_inv
	global_load_b64 v[38:39], v[34:35], off
	v_add_co_u32 v32, s1, v2, s30
	s_delay_alu instid0(VALU_DEP_1)
	v_add_co_ci_u32_e64 v33, s1, s27, v3, s1
	s_clause 0x2
	global_load_b64 v[36:37], v[36:37], off
	global_load_b64 v[34:35], v[48:49], off
	global_load_b64 v[32:33], v[32:33], off
	ds_load_b64 v[48:49], v77
	ds_load_b64 v[56:57], v81 offset:256
	v_add_co_u32 v50, s1, v2, s39
	s_delay_alu instid0(VALU_DEP_1) | instskip(SKIP_1) | instid1(VALU_DEP_1)
	v_add_co_ci_u32_e64 v51, s1, s38, v3, s1
	v_add_co_u32 v52, s1, v2, s37
	v_add_co_ci_u32_e64 v53, s1, s36, v3, s1
	v_add_co_u32 v64, s1, v2, s33
	s_delay_alu instid0(VALU_DEP_1)
	v_add_co_ci_u32_e64 v65, s1, s31, v3, s1
	v_add_f32_e32 v94, 0, v94
	s_waitcnt vmcnt(3) lgkmcnt(1)
	v_mul_f32_e32 v0, v49, v39
	v_mul_f32_e32 v55, v49, v38
	s_waitcnt vmcnt(2)
	v_mul_f32_e32 v58, v49, v37
	s_delay_alu instid0(VALU_DEP_3)
	v_fma_f32 v54, v48, v38, -v0
	s_waitcnt vmcnt(0)
	v_mul_f32_e32 v69, v48, v33
	v_dual_add_f32 v0, 0, v85 :: v_dual_mul_f32 v59, v49, v36
	v_mul_f32_e32 v60, v49, v35
	v_mul_f32_e32 v67, v49, v34
	s_delay_alu instid0(VALU_DEP_3)
	v_dual_fmac_f32 v69, v49, v32 :: v_dual_add_f32 v0, v0, v87
	v_mul_f32_e32 v61, v49, v33
	v_fmac_f32_e32 v55, v48, v39
	v_fma_f32 v58, v48, v36, -v58
	v_fmac_f32_e32 v59, v48, v37
	v_fma_f32 v66, v48, v34, -v60
	v_fmac_f32_e32 v67, v48, v35
	v_dual_add_f32 v113, 0, v86 :: v_dual_add_f32 v0, v0, v89
	v_fma_f32 v68, v48, v32, -v61
	ds_store_b64 v82, v[54:55]
	ds_load_b64 v[62:63], v81 offset:264
	ds_store_b64 v82, v[58:59] offset:536
	v_add_co_u32 v48, s1, v2, s35
	ds_load_b64 v[60:61], v81 offset:272
	v_dual_add_f32 v89, v0, v91 :: v_dual_add_f32 v0, v94, v96
	ds_store_b64 v82, v[66:67] offset:1072
	ds_load_b64 v[58:59], v81 offset:280
	ds_store_b64 v82, v[68:69] offset:1608
	s_waitcnt lgkmcnt(0)
	s_barrier
	buffer_gl0_inv
	ds_load_2addr_b64 v[101:104], v80 offset1:1
	ds_load_2addr_b64 v[105:108], v80 offset0:2 offset1:3
	s_waitcnt lgkmcnt(0)
	s_barrier
	buffer_gl0_inv
	global_load_b64 v[54:55], v[50:51], off
	v_add_co_ci_u32_e64 v49, s1, s34, v3, s1
	s_clause 0x2
	global_load_b64 v[52:53], v[52:53], off
	global_load_b64 v[50:51], v[64:65], off
	;; [unrolled: 1-line block ×3, first 2 shown]
	ds_load_b64 v[66:67], v77
	ds_load_b64 v[64:65], v81 offset:384
	v_add_f32_e32 v0, v0, v98
	s_waitcnt vmcnt(3) lgkmcnt(1)
	v_mul_f32_e32 v68, v67, v55
	v_mul_f32_e32 v69, v67, v54
	s_waitcnt vmcnt(2)
	v_mul_f32_e32 v70, v67, v53
	v_mul_f32_e32 v86, v67, v52
	s_waitcnt vmcnt(1)
	;; [unrolled: 3-line block ×3, first 2 shown]
	v_mul_f32_e32 v111, v67, v49
	v_mul_f32_e32 v112, v66, v49
	v_fma_f32 v68, v66, v54, -v68
	v_fmac_f32_e32 v69, v66, v55
	v_fma_f32 v85, v66, v52, -v70
	v_fmac_f32_e32 v86, v66, v53
	;; [unrolled: 2-line block ×4, first 2 shown]
	ds_store_b64 v82, v[68:69]
	ds_load_b64 v[70:71], v81 offset:392
	ds_store_b64 v82, v[85:86] offset:536
	ds_load_b64 v[68:69], v81 offset:400
	ds_store_b64 v82, v[109:110] offset:1072
	;; [unrolled: 2-line block ×3, first 2 shown]
	s_waitcnt lgkmcnt(0)
	s_barrier
	buffer_gl0_inv
	ds_load_2addr_b64 v[109:112], v80 offset1:1
	v_add_f32_e32 v85, v113, v88
	s_delay_alu instid0(VALU_DEP_1)
	v_add_f32_e32 v90, v85, v90
	ds_load_2addr_b64 v[85:88], v80 offset0:2 offset1:3
	s_waitcnt lgkmcnt(0)
	s_barrier
	buffer_gl0_inv
	v_add_f32_e32 v90, v90, v92
	v_add_f32_e32 v92, 0, v101
	s_delay_alu instid0(VALU_DEP_1) | instskip(SKIP_2) | instid1(VALU_DEP_3)
	v_add_f32_e32 v92, v92, v103
	v_add_f32_e32 v94, 0, v109
	;; [unrolled: 1-line block ×5, first 2 shown]
	s_delay_alu instid0(VALU_DEP_4) | instskip(NEXT) | instid1(VALU_DEP_4)
	v_add_f32_e32 v94, v94, v111
	v_add_f32_e32 v93, v93, v95
	s_delay_alu instid0(VALU_DEP_2) | instskip(NEXT) | instid1(VALU_DEP_2)
	v_dual_add_f32 v95, 0, v110 :: v_dual_add_f32 v94, v94, v85
	v_add_f32_e32 v91, v93, v97
	s_delay_alu instid0(VALU_DEP_2) | instskip(SKIP_1) | instid1(VALU_DEP_4)
	v_add_f32_e32 v95, v95, v112
	v_add_f32_e32 v85, v96, v107
	;; [unrolled: 1-line block ×3, first 2 shown]
	s_delay_alu instid0(VALU_DEP_4) | instskip(NEXT) | instid1(VALU_DEP_4)
	v_add_f32_e32 v91, v91, v99
	v_add_f32_e32 v95, v95, v86
	s_delay_alu instid0(VALU_DEP_1) | instskip(NEXT) | instid1(VALU_DEP_1)
	v_dual_add_f32 v93, 0, v102 :: v_dual_add_f32 v88, v95, v88
	v_add_f32_e32 v93, v93, v104
	s_delay_alu instid0(VALU_DEP_1) | instskip(NEXT) | instid1(VALU_DEP_1)
	v_add_f32_e32 v93, v93, v106
	v_add_f32_e32 v86, v93, v108
	ds_store_2addr_b64 v83, v[89:90], v[91:92] offset1:16
	ds_store_2addr_b64 v83, v[85:86], v[87:88] offset0:32 offset1:48
	s_waitcnt lgkmcnt(0)
	s_barrier
	buffer_gl0_inv
	s_and_saveexec_b32 s21, s0
	s_cbranch_execz .LBB120_96
; %bb.100:                              ;   in Loop: Header=BB120_97 Depth=1
	ds_load_b64 v[96:97], v78
	ds_load_2addr_b64 v[85:88], v78 offset0:1 offset1:2
	ds_load_2addr_b64 v[89:92], v78 offset0:3 offset1:4
	s_waitcnt lgkmcnt(1)
	v_dual_add_f32 v0, v85, v96 :: v_dual_add_f32 v85, v86, v97
	ds_load_2addr_b64 v[93:96], v78 offset0:5 offset1:6
	v_dual_add_f32 v0, v0, v87 :: v_dual_add_f32 v97, v85, v88
	ds_load_2addr_b64 v[85:88], v78 offset0:7 offset1:8
	s_waitcnt lgkmcnt(2)
	v_dual_add_f32 v0, v0, v89 :: v_dual_add_f32 v89, v97, v90
	s_delay_alu instid0(VALU_DEP_1) | instskip(SKIP_3) | instid1(VALU_DEP_1)
	v_dual_add_f32 v0, v0, v91 :: v_dual_add_f32 v97, v89, v92
	ds_load_2addr_b64 v[89:92], v78 offset0:9 offset1:10
	s_waitcnt lgkmcnt(2)
	v_dual_add_f32 v0, v0, v93 :: v_dual_add_f32 v93, v97, v94
	v_dual_add_f32 v0, v0, v95 :: v_dual_add_f32 v97, v93, v96
	ds_load_2addr_b64 v[93:96], v78 offset0:11 offset1:12
	s_waitcnt lgkmcnt(2)
	v_dual_add_f32 v0, v0, v85 :: v_dual_add_f32 v85, v97, v86
	s_delay_alu instid0(VALU_DEP_1) | instskip(SKIP_3) | instid1(VALU_DEP_1)
	v_dual_add_f32 v0, v0, v87 :: v_dual_add_f32 v97, v85, v88
	ds_load_2addr_b64 v[85:88], v78 offset0:13 offset1:14
	s_waitcnt lgkmcnt(2)
	v_dual_add_f32 v0, v0, v89 :: v_dual_add_f32 v89, v97, v90
	v_dual_add_f32 v0, v0, v91 :: v_dual_add_f32 v91, v89, v92
	ds_load_b64 v[89:90], v79
	s_waitcnt lgkmcnt(2)
	v_dual_add_f32 v0, v0, v93 :: v_dual_add_f32 v91, v91, v94
	s_delay_alu instid0(VALU_DEP_1) | instskip(SKIP_1) | instid1(VALU_DEP_1)
	v_dual_add_f32 v0, v0, v95 :: v_dual_add_f32 v91, v91, v96
	s_waitcnt lgkmcnt(1)
	v_dual_add_f32 v85, v0, v85 :: v_dual_add_f32 v86, v91, v86
	s_delay_alu instid0(VALU_DEP_1) | instskip(NEXT) | instid1(VALU_DEP_2)
	v_dual_add_f32 v87, v85, v87 :: v_dual_add_nc_u32 v0, s20, v84
	v_add_f32_e32 v88, v86, v88
	s_delay_alu instid0(VALU_DEP_2) | instskip(SKIP_1) | instid1(VALU_DEP_2)
	v_lshlrev_b64 v[85:86], 3, v[0:1]
	s_waitcnt lgkmcnt(0)
	v_dual_add_f32 v87, v87, v89 :: v_dual_add_f32 v88, v88, v90
	s_delay_alu instid0(VALU_DEP_2) | instskip(NEXT) | instid1(VALU_DEP_1)
	v_add_co_u32 v85, s1, s15, v85
	v_add_co_ci_u32_e64 v86, s1, s18, v86, s1
	global_store_b64 v[85:86], v[87:88], off
	s_branch .LBB120_96
.LBB120_101:
	v_mad_u32_u24 v0, 0x218, v72, v73
	s_or_b32 s0, s2, vcc_lo
	s_delay_alu instid0(SALU_CYCLE_1)
	s_xor_b32 s0, s0, -1
	ds_store_b64 v0, v[18:19]
	s_waitcnt lgkmcnt(0)
	s_barrier
	buffer_gl0_inv
	s_and_saveexec_b32 s1, s0
	s_cbranch_execz .LBB120_103
; %bb.102:
	ds_load_2addr_b64 v[0:3], v73 offset1:67
	ds_load_2addr_b64 v[4:7], v73 offset0:134 offset1:201
	s_waitcnt lgkmcnt(1)
	v_dual_add_f32 v0, v2, v0 :: v_dual_add_f32 v1, v3, v1
	s_waitcnt lgkmcnt(0)
	s_delay_alu instid0(VALU_DEP_1) | instskip(SKIP_1) | instid1(VALU_DEP_2)
	v_dual_add_f32 v2, v0, v4 :: v_dual_add_f32 v3, v1, v5
	v_lshlrev_b64 v[0:1], 3, v[16:17]
	v_dual_add_f32 v2, v2, v6 :: v_dual_add_f32 v3, v3, v7
	s_delay_alu instid0(VALU_DEP_2) | instskip(NEXT) | instid1(VALU_DEP_3)
	v_add_co_u32 v0, vcc_lo, s15, v0
	v_add_co_ci_u32_e32 v1, vcc_lo, s18, v1, vcc_lo
	global_store_b64 v[0:1], v[2:3], off
.LBB120_103:
	s_nop 0
	s_sendmsg sendmsg(MSG_DEALLOC_VGPRS)
	s_endpgm
	.section	.rodata,"a",@progbits
	.p2align	6, 0x0
	.amdhsa_kernel _ZL26rocblas_hemvn_kernel_lowerILb0ELi64ELi4ELi33ELi32ELi16El19rocblas_complex_numIfEPKS1_PS1_EviT6_lT7_lT5_lS6_lS7_lS5_lT8_i
		.amdhsa_group_segment_fixed_size 9600
		.amdhsa_private_segment_fixed_size 0
		.amdhsa_kernarg_size 376
		.amdhsa_user_sgpr_count 14
		.amdhsa_user_sgpr_dispatch_ptr 0
		.amdhsa_user_sgpr_queue_ptr 0
		.amdhsa_user_sgpr_kernarg_segment_ptr 1
		.amdhsa_user_sgpr_dispatch_id 0
		.amdhsa_user_sgpr_private_segment_size 0
		.amdhsa_wavefront_size32 1
		.amdhsa_uses_dynamic_stack 0
		.amdhsa_enable_private_segment 0
		.amdhsa_system_sgpr_workgroup_id_x 1
		.amdhsa_system_sgpr_workgroup_id_y 0
		.amdhsa_system_sgpr_workgroup_id_z 1
		.amdhsa_system_sgpr_workgroup_info 0
		.amdhsa_system_vgpr_workitem_id 1
		.amdhsa_next_free_vgpr 114
		.amdhsa_next_free_sgpr 46
		.amdhsa_reserve_vcc 1
		.amdhsa_float_round_mode_32 0
		.amdhsa_float_round_mode_16_64 0
		.amdhsa_float_denorm_mode_32 3
		.amdhsa_float_denorm_mode_16_64 3
		.amdhsa_dx10_clamp 1
		.amdhsa_ieee_mode 1
		.amdhsa_fp16_overflow 0
		.amdhsa_workgroup_processor_mode 1
		.amdhsa_memory_ordered 1
		.amdhsa_forward_progress 0
		.amdhsa_shared_vgpr_count 0
		.amdhsa_exception_fp_ieee_invalid_op 0
		.amdhsa_exception_fp_denorm_src 0
		.amdhsa_exception_fp_ieee_div_zero 0
		.amdhsa_exception_fp_ieee_overflow 0
		.amdhsa_exception_fp_ieee_underflow 0
		.amdhsa_exception_fp_ieee_inexact 0
		.amdhsa_exception_int_div_zero 0
	.end_amdhsa_kernel
	.section	.text._ZL26rocblas_hemvn_kernel_lowerILb0ELi64ELi4ELi33ELi32ELi16El19rocblas_complex_numIfEPKS1_PS1_EviT6_lT7_lT5_lS6_lS7_lS5_lT8_i,"axG",@progbits,_ZL26rocblas_hemvn_kernel_lowerILb0ELi64ELi4ELi33ELi32ELi16El19rocblas_complex_numIfEPKS1_PS1_EviT6_lT7_lT5_lS6_lS7_lS5_lT8_i,comdat
.Lfunc_end120:
	.size	_ZL26rocblas_hemvn_kernel_lowerILb0ELi64ELi4ELi33ELi32ELi16El19rocblas_complex_numIfEPKS1_PS1_EviT6_lT7_lT5_lS6_lS7_lS5_lT8_i, .Lfunc_end120-_ZL26rocblas_hemvn_kernel_lowerILb0ELi64ELi4ELi33ELi32ELi16El19rocblas_complex_numIfEPKS1_PS1_EviT6_lT7_lT5_lS6_lS7_lS5_lT8_i
                                        ; -- End function
	.section	.AMDGPU.csdata,"",@progbits
; Kernel info:
; codeLenInByte = 8536
; NumSgprs: 48
; NumVgprs: 114
; ScratchSize: 0
; MemoryBound: 1
; FloatMode: 240
; IeeeMode: 1
; LDSByteSize: 9600 bytes/workgroup (compile time only)
; SGPRBlocks: 5
; VGPRBlocks: 14
; NumSGPRsForWavesPerEU: 48
; NumVGPRsForWavesPerEU: 114
; Occupancy: 12
; WaveLimiterHint : 0
; COMPUTE_PGM_RSRC2:SCRATCH_EN: 0
; COMPUTE_PGM_RSRC2:USER_SGPR: 14
; COMPUTE_PGM_RSRC2:TRAP_HANDLER: 0
; COMPUTE_PGM_RSRC2:TGID_X_EN: 1
; COMPUTE_PGM_RSRC2:TGID_Y_EN: 0
; COMPUTE_PGM_RSRC2:TGID_Z_EN: 1
; COMPUTE_PGM_RSRC2:TIDIG_COMP_CNT: 1
	.section	.text._ZL26rocblas_hemvn_kernel_lowerILb0ELi64ELi4ELi33ELi32ELi16Ei19rocblas_complex_numIfEPKS1_PS1_EviT6_lT7_lT5_lS6_lS7_lS5_lT8_i,"axG",@progbits,_ZL26rocblas_hemvn_kernel_lowerILb0ELi64ELi4ELi33ELi32ELi16Ei19rocblas_complex_numIfEPKS1_PS1_EviT6_lT7_lT5_lS6_lS7_lS5_lT8_i,comdat
	.globl	_ZL26rocblas_hemvn_kernel_lowerILb0ELi64ELi4ELi33ELi32ELi16Ei19rocblas_complex_numIfEPKS1_PS1_EviT6_lT7_lT5_lS6_lS7_lS5_lT8_i ; -- Begin function _ZL26rocblas_hemvn_kernel_lowerILb0ELi64ELi4ELi33ELi32ELi16Ei19rocblas_complex_numIfEPKS1_PS1_EviT6_lT7_lT5_lS6_lS7_lS5_lT8_i
	.p2align	8
	.type	_ZL26rocblas_hemvn_kernel_lowerILb0ELi64ELi4ELi33ELi32ELi16Ei19rocblas_complex_numIfEPKS1_PS1_EviT6_lT7_lT5_lS6_lS7_lS5_lT8_i,@function
_ZL26rocblas_hemvn_kernel_lowerILb0ELi64ELi4ELi33ELi32ELi16Ei19rocblas_complex_numIfEPKS1_PS1_EviT6_lT7_lT5_lS6_lS7_lS5_lT8_i: ; @_ZL26rocblas_hemvn_kernel_lowerILb0ELi64ELi4ELi33ELi32ELi16Ei19rocblas_complex_numIfEPKS1_PS1_EviT6_lT7_lT5_lS6_lS7_lS5_lT8_i
; %bb.0:
	s_load_b64 s[4:5], s[0:1], 0x84
	s_add_u32 s2, s0, 0x78
	s_addc_u32 s3, s1, 0
	s_waitcnt lgkmcnt(0)
	s_lshr_b32 s6, s4, 16
	s_and_b32 s4, s4, 0xffff
	s_and_b32 s5, s5, 0xffff
	s_mul_i32 s4, s6, s4
	s_delay_alu instid0(SALU_CYCLE_1) | instskip(NEXT) | instid1(SALU_CYCLE_1)
	s_mul_i32 s4, s4, s5
	s_cmpk_lg_i32 s4, 0x100
	s_cbranch_scc1 .LBB121_103
; %bb.1:
	s_load_b64 s[4:5], s[0:1], 0x4
	s_waitcnt lgkmcnt(0)
	s_or_b32 s4, s4, s5
	s_mov_b32 s5, -1
	s_bitset0_b32 s4, 31
	s_delay_alu instid0(SALU_CYCLE_1) | instskip(SKIP_1) | instid1(SALU_CYCLE_1)
	s_cmp_lg_u32 s4, 0
	s_cselect_b32 s4, -1, 0
	s_and_b32 vcc_lo, exec_lo, s4
	s_cbranch_vccnz .LBB121_3
; %bb.2:
	s_load_b64 s[6:7], s[0:1], 0x58
	s_waitcnt lgkmcnt(0)
	v_cmp_neq_f32_e64 s5, s6, 1.0
	v_cmp_neq_f32_e64 s6, s7, 0
	s_delay_alu instid0(VALU_DEP_1)
	s_or_b32 s5, s5, s6
.LBB121_3:
	s_delay_alu instid0(SALU_CYCLE_1)
	s_and_not1_b32 vcc_lo, exec_lo, s5
	s_cbranch_vccnz .LBB121_103
; %bb.4:
	s_and_not1_b32 vcc_lo, exec_lo, s4
	s_cbranch_vccnz .LBB121_103
; %bb.5:
	s_clause 0x3
	s_load_b64 s[8:9], s[0:1], 0x50
	s_load_b128 s[4:7], s[0:1], 0x30
	s_load_b64 s[10:11], s[0:1], 0x40
	s_load_b32 s24, s[0:1], 0x48
	v_and_b32_e32 v25, 0x3ff, v0
	s_load_b32 s25, s[0:1], 0x0
	s_load_b32 s26, s[2:3], 0x0
	v_bfe_u32 v71, v0, 10, 10
	s_waitcnt lgkmcnt(0)
	s_mul_i32 s9, s15, s9
	s_mul_hi_u32 s12, s15, s8
	s_mul_i32 s8, s15, s8
	s_add_i32 s9, s12, s9
	s_delay_alu instid0(SALU_CYCLE_1) | instskip(NEXT) | instid1(SALU_CYCLE_1)
	s_lshl_b64 s[8:9], s[8:9], 3
	s_add_u32 s8, s6, s8
	s_addc_u32 s9, s7, s9
	s_lshl_b64 s[6:7], s[10:11], 3
	s_delay_alu instid0(SALU_CYCLE_1)
	s_add_u32 s6, s8, s6
	s_addc_u32 s7, s9, s7
	s_lshl_b32 s12, s14, 6
	s_ashr_i32 s27, s25, 31
	v_add_nc_u32_e32 v16, s12, v25
	s_lshr_b32 s2, s27, 26
	s_add_i32 s8, s26, -1
	s_add_i32 s3, s25, s2
	v_cmp_ne_u32_e64 s2, 0, v71
	v_mul_lo_u32 v1, v16, s24
	s_and_not1_b32 s3, s3, 63
	s_delay_alu instid0(SALU_CYCLE_1) | instskip(SKIP_3) | instid1(VALU_DEP_2)
	s_sub_i32 s9, s25, s3
	v_cmp_eq_u32_e64 s3, 0, v71
	s_cmp_eq_u32 s14, s8
	s_cselect_b32 s16, s9, 0
	v_ashrrev_i32_e32 v2, 31, v1
	s_delay_alu instid0(VALU_DEP_1) | instskip(NEXT) | instid1(VALU_DEP_1)
	v_lshlrev_b64 v[0:1], 3, v[1:2]
	v_add_co_u32 v19, vcc_lo, s6, v0
	s_delay_alu instid0(VALU_DEP_2)
	v_add_co_ci_u32_e32 v20, vcc_lo, s7, v1, vcc_lo
	s_mov_b32 s6, -1
	s_and_saveexec_b32 s7, s3
	s_cbranch_execz .LBB121_10
; %bb.6:
	v_cmp_le_i32_e32 vcc_lo, s16, v25
	s_cmp_lg_u32 s16, 0
	v_lshl_add_u32 v0, v25, 3, 0x2380
	s_cselect_b32 s8, -1, 0
	s_delay_alu instid0(SALU_CYCLE_1) | instskip(NEXT) | instid1(SALU_CYCLE_1)
	s_and_b32 s8, s8, vcc_lo
	s_and_saveexec_b32 s9, s8
	s_delay_alu instid0(SALU_CYCLE_1)
	s_xor_b32 s8, exec_lo, s9
	s_cbranch_execz .LBB121_8
; %bb.7:
	v_mov_b32_e32 v1, 0
	s_delay_alu instid0(VALU_DEP_1)
	v_mov_b32_e32 v2, v1
	ds_store_b64 v0, v[1:2]
                                        ; implicit-def: $vgpr0
.LBB121_8:
	s_and_not1_saveexec_b32 s8, s8
	s_cbranch_execz .LBB121_10
; %bb.9:
	global_load_b64 v[1:2], v[19:20], off
	s_waitcnt vmcnt(0)
	ds_store_b64 v0, v[1:2]
.LBB121_10:
	s_or_b32 exec_lo, exec_lo, s7
	s_clause 0x1
	s_load_b128 s[20:23], s[0:1], 0x18
	s_load_b32 s10, s[0:1], 0x28
	v_lshl_add_u32 v26, v71, 6, v25
	v_and_b32_e32 v0, 31, v25
	s_mul_i32 s5, s15, s5
	s_mul_hi_u32 s7, s15, s4
	s_mul_i32 s4, s15, s4
	v_lshrrev_b32_e32 v5, 5, v26
	s_add_i32 s5, s7, s5
	s_delay_alu instid0(SALU_CYCLE_1)
	s_lshl_b64 s[4:5], s[4:5], 3
	s_waitcnt lgkmcnt(0)
	s_add_u32 s7, s20, s4
	v_mad_u64_u32 v[1:2], null, v5, s10, v[0:1]
	s_addc_u32 s8, s21, s5
	s_lshl_b64 s[4:5], s[22:23], 3
	s_delay_alu instid0(SALU_CYCLE_1) | instskip(SKIP_2) | instid1(VALU_DEP_1)
	s_add_u32 s7, s7, s4
	s_addc_u32 s9, s8, s5
	s_ashr_i32 s13, s12, 31
	v_ashrrev_i32_e32 v2, 31, v1
	s_lshl_b64 s[4:5], s[12:13], 3
	s_mul_i32 s8, s12, s10
	s_add_u32 s4, s7, s4
	s_addc_u32 s5, s9, s5
	s_ashr_i32 s9, s8, 31
	v_lshlrev_b64 v[21:22], 3, v[1:2]
	s_lshl_b64 s[18:19], s[8:9], 3
	s_delay_alu instid0(SALU_CYCLE_1) | instskip(SKIP_2) | instid1(VALU_DEP_1)
	s_add_u32 s4, s18, s4
	s_addc_u32 s5, s19, s5
	s_cmp_lg_u32 s16, 0
	v_add_co_u32 v1, vcc_lo, s4, v21
	v_add_co_ci_u32_e32 v2, vcc_lo, s5, v22, vcc_lo
	s_cselect_b32 s13, -1, 0
	s_cmp_eq_u32 s16, 0
	s_cselect_b32 s9, -1, 0
	s_and_b32 vcc_lo, exec_lo, s13
	s_cbranch_vccnz .LBB121_12
; %bb.11:
	s_lshl_b32 s4, s10, 3
	s_ashr_i32 s11, s10, 31
	s_ashr_i32 s5, s4, 31
	v_mul_u32_u24_e32 v12, 33, v5
	s_lshl_b64 s[4:5], s[4:5], 3
	s_mov_b32 s6, 0
	v_add_co_u32 v3, vcc_lo, v1, s4
	v_add_co_ci_u32_e32 v4, vcc_lo, s5, v2, vcc_lo
	s_lshl_b64 s[4:5], s[10:11], 6
	v_add_lshl_u32 v12, v12, v0, 3
	s_delay_alu instid0(VALU_DEP_3) | instskip(NEXT) | instid1(VALU_DEP_3)
	v_add_co_u32 v6, vcc_lo, v3, s4
	v_add_co_ci_u32_e32 v7, vcc_lo, s5, v4, vcc_lo
	s_delay_alu instid0(VALU_DEP_2) | instskip(NEXT) | instid1(VALU_DEP_2)
	v_add_co_u32 v8, vcc_lo, v6, s4
	v_add_co_ci_u32_e32 v9, vcc_lo, s5, v7, vcc_lo
	s_clause 0x1
	global_load_b64 v[10:11], v[1:2], off
	global_load_b64 v[3:4], v[3:4], off
	;; [unrolled: 1-line block ×4, first 2 shown]
	s_waitcnt vmcnt(3)
	ds_store_b64 v12, v[10:11]
	s_waitcnt vmcnt(2)
	ds_store_b64 v12, v[3:4] offset:2112
	s_waitcnt vmcnt(1)
	ds_store_b64 v12, v[6:7] offset:4224
	;; [unrolled: 2-line block ×3, first 2 shown]
.LBB121_12:
	s_and_not1_b32 vcc_lo, exec_lo, s6
	s_cbranch_vccnz .LBB121_30
; %bb.13:
	v_lshlrev_b32_e32 v6, 3, v0
	s_ashr_i32 s17, s16, 31
	v_mul_u32_u24_e32 v7, 33, v5
	s_lshl_b64 s[6:7], s[16:17], 3
	v_cmp_le_i32_e64 s4, s16, v5
	v_sub_co_u32 v3, vcc_lo, v1, v6
	v_subrev_co_ci_u32_e32 v4, vcc_lo, 0, v2, vcc_lo
	v_add_lshl_u32 v7, v7, v0, 3
	s_delay_alu instid0(VALU_DEP_3) | instskip(NEXT) | instid1(VALU_DEP_3)
	v_add_co_u32 v3, vcc_lo, v3, s6
	v_add_co_ci_u32_e32 v4, vcc_lo, s7, v4, vcc_lo
	s_delay_alu instid0(VALU_DEP_2) | instskip(NEXT) | instid1(VALU_DEP_2)
	v_add_co_u32 v3, vcc_lo, v3, -8
	v_add_co_ci_u32_e32 v4, vcc_lo, -1, v4, vcc_lo
	v_cmp_gt_i32_e32 vcc_lo, s16, v0
	s_delay_alu instid0(VALU_DEP_2) | instskip(SKIP_1) | instid1(SALU_CYCLE_1)
	v_dual_cndmask_b32 v3, v3, v1 :: v_dual_cndmask_b32 v4, v4, v2
	s_and_saveexec_b32 s5, s4
	s_xor_b32 s4, exec_lo, s5
	s_cbranch_execz .LBB121_15
; %bb.14:
	v_mov_b32_e32 v8, 0
	s_delay_alu instid0(VALU_DEP_1)
	v_mov_b32_e32 v9, v8
	ds_store_b64 v7, v[8:9]
.LBB121_15:
	s_and_not1_saveexec_b32 s4, s4
	s_cbranch_execz .LBB121_17
; %bb.16:
	global_load_b64 v[8:9], v[3:4], off
	s_waitcnt vmcnt(0)
	ds_store_b64 v7, v[8:9]
.LBB121_17:
	s_or_b32 exec_lo, exec_lo, s4
	v_add_nc_u32_e32 v8, 8, v5
	s_delay_alu instid0(VALU_DEP_1) | instskip(NEXT) | instid1(VALU_DEP_1)
	v_cmp_le_i32_e64 s4, s16, v8
	s_and_saveexec_b32 s5, s4
	s_delay_alu instid0(SALU_CYCLE_1)
	s_xor_b32 s4, exec_lo, s5
	s_cbranch_execz .LBB121_19
; %bb.18:
	v_mul_u32_u24_e32 v9, 33, v8
	v_mov_b32_e32 v8, 0
	s_delay_alu instid0(VALU_DEP_2) | instskip(NEXT) | instid1(VALU_DEP_2)
	v_add_lshl_u32 v10, v9, v0, 3
	v_mov_b32_e32 v9, v8
	ds_store_b64 v10, v[8:9]
.LBB121_19:
	s_and_not1_saveexec_b32 s5, s4
	s_cbranch_execz .LBB121_21
; %bb.20:
	s_lshl_b32 s20, s10, 3
	s_delay_alu instid0(SALU_CYCLE_1) | instskip(NEXT) | instid1(SALU_CYCLE_1)
	s_ashr_i32 s21, s20, 31
	s_lshl_b64 s[20:21], s[20:21], 3
	s_delay_alu instid0(SALU_CYCLE_1) | instskip(NEXT) | instid1(VALU_DEP_1)
	v_add_co_u32 v8, s4, v3, s20
	v_add_co_ci_u32_e64 v9, s4, s21, v4, s4
	global_load_b64 v[8:9], v[8:9], off
	s_waitcnt vmcnt(0)
	ds_store_b64 v7, v[8:9] offset:2112
.LBB121_21:
	s_or_b32 exec_lo, exec_lo, s5
	v_add_nc_u32_e32 v8, 16, v5
	s_delay_alu instid0(VALU_DEP_1) | instskip(NEXT) | instid1(VALU_DEP_1)
	v_cmp_le_i32_e64 s4, s16, v8
	s_and_saveexec_b32 s5, s4
	s_delay_alu instid0(SALU_CYCLE_1)
	s_xor_b32 s4, exec_lo, s5
	s_cbranch_execz .LBB121_23
; %bb.22:
	v_mul_u32_u24_e32 v9, 33, v8
	v_mov_b32_e32 v8, 0
	s_delay_alu instid0(VALU_DEP_2) | instskip(NEXT) | instid1(VALU_DEP_2)
	v_add_lshl_u32 v10, v9, v0, 3
	v_mov_b32_e32 v9, v8
	ds_store_b64 v10, v[8:9]
.LBB121_23:
	s_and_not1_saveexec_b32 s5, s4
	s_cbranch_execz .LBB121_25
; %bb.24:
	s_lshl_b32 s20, s10, 4
	s_delay_alu instid0(SALU_CYCLE_1) | instskip(NEXT) | instid1(SALU_CYCLE_1)
	s_ashr_i32 s21, s20, 31
	s_lshl_b64 s[20:21], s[20:21], 3
	s_delay_alu instid0(SALU_CYCLE_1) | instskip(NEXT) | instid1(VALU_DEP_1)
	v_add_co_u32 v8, s4, v3, s20
	v_add_co_ci_u32_e64 v9, s4, s21, v4, s4
	global_load_b64 v[8:9], v[8:9], off
	s_waitcnt vmcnt(0)
	ds_store_b64 v7, v[8:9] offset:4224
.LBB121_25:
	s_or_b32 exec_lo, exec_lo, s5
	v_add_nc_u32_e32 v8, 24, v5
	s_delay_alu instid0(VALU_DEP_1) | instskip(NEXT) | instid1(VALU_DEP_1)
	v_cmp_le_i32_e64 s4, s16, v8
	s_and_saveexec_b32 s5, s4
	s_delay_alu instid0(SALU_CYCLE_1)
	s_xor_b32 s4, exec_lo, s5
	s_cbranch_execz .LBB121_27
; %bb.26:
	v_mov_b32_e32 v8, 0
	s_delay_alu instid0(VALU_DEP_1)
	v_mov_b32_e32 v9, v8
	ds_store_b64 v7, v[8:9] offset:6336
                                        ; implicit-def: $vgpr7
.LBB121_27:
	s_and_not1_saveexec_b32 s5, s4
	s_cbranch_execz .LBB121_29
; %bb.28:
	s_mul_i32 s20, s10, 24
	s_delay_alu instid0(SALU_CYCLE_1) | instskip(NEXT) | instid1(SALU_CYCLE_1)
	s_ashr_i32 s21, s20, 31
	s_lshl_b64 s[20:21], s[20:21], 3
	s_delay_alu instid0(SALU_CYCLE_1) | instskip(NEXT) | instid1(VALU_DEP_1)
	v_add_co_u32 v8, s4, v3, s20
	v_add_co_ci_u32_e64 v9, s4, s21, v4, s4
	global_load_b64 v[8:9], v[8:9], off
	s_waitcnt vmcnt(0)
	ds_store_b64 v7, v[8:9] offset:6336
.LBB121_29:
	s_or_b32 exec_lo, exec_lo, s5
	v_add_co_u32 v3, s4, v3, v6
	s_delay_alu instid0(VALU_DEP_1) | instskip(NEXT) | instid1(VALU_DEP_2)
	v_add_co_ci_u32_e64 v4, s4, 0, v4, s4
	v_sub_co_u32 v3, s4, v3, s6
	s_delay_alu instid0(VALU_DEP_1) | instskip(NEXT) | instid1(VALU_DEP_2)
	v_subrev_co_ci_u32_e64 v4, s4, s7, v4, s4
	v_add_co_u32 v3, s4, v3, 8
	s_delay_alu instid0(VALU_DEP_1) | instskip(NEXT) | instid1(VALU_DEP_1)
	v_add_co_ci_u32_e64 v4, s4, 0, v4, s4
	v_dual_cndmask_b32 v1, v3, v1 :: v_dual_cndmask_b32 v2, v4, v2
.LBB121_30:
	v_lshlrev_b32_e32 v3, 2, v5
	v_mul_u32_u24_e32 v27, 33, v0
	v_mul_u32_u24_e32 v7, 0x84, v5
	s_waitcnt lgkmcnt(0)
	s_barrier
	v_cmp_lt_u32_e64 s5, v3, v0
	v_add_lshl_u32 v4, v3, v27, 3
	buffer_gl0_inv
	s_and_saveexec_b32 s4, s5
	s_cbranch_execz .LBB121_32
; %bb.31:
	v_add_lshl_u32 v6, v7, v0, 3
	ds_load_b64 v[8:9], v6
	s_waitcnt lgkmcnt(0)
	ds_store_b64 v4, v[8:9]
.LBB121_32:
	s_or_b32 exec_lo, exec_lo, s4
	v_or_b32_e32 v6, 1, v3
	s_delay_alu instid0(VALU_DEP_1) | instskip(NEXT) | instid1(VALU_DEP_1)
	v_cmp_lt_u32_e64 s6, v6, v0
	s_and_saveexec_b32 s4, s6
	s_cbranch_execz .LBB121_34
; %bb.33:
	v_mul_u32_u24_e32 v6, 33, v6
	s_delay_alu instid0(VALU_DEP_1)
	v_add_lshl_u32 v6, v6, v0, 3
	ds_load_b64 v[8:9], v6
	s_waitcnt lgkmcnt(0)
	ds_store_b64 v4, v[8:9] offset:8
.LBB121_34:
	s_or_b32 exec_lo, exec_lo, s4
	v_or_b32_e32 v6, 2, v3
	s_delay_alu instid0(VALU_DEP_1) | instskip(NEXT) | instid1(VALU_DEP_1)
	v_cmp_lt_u32_e64 s7, v6, v0
	s_and_saveexec_b32 s4, s7
	s_cbranch_execz .LBB121_36
; %bb.35:
	v_mul_u32_u24_e32 v6, 33, v6
	s_delay_alu instid0(VALU_DEP_1)
	v_add_lshl_u32 v6, v6, v0, 3
	ds_load_b64 v[8:9], v6
	s_waitcnt lgkmcnt(0)
	ds_store_b64 v4, v[8:9] offset:16
.LBB121_36:
	s_or_b32 exec_lo, exec_lo, s4
	v_or_b32_e32 v6, 3, v3
	s_delay_alu instid0(VALU_DEP_1) | instskip(SKIP_1) | instid1(VALU_DEP_2)
	v_mad_u32_u24 v8, v6, 33, v0
	v_cmp_lt_u32_e64 s8, v6, v0
	v_lshlrev_b32_e32 v6, 3, v8
	s_delay_alu instid0(VALU_DEP_2)
	s_and_saveexec_b32 s4, s8
	s_cbranch_execz .LBB121_38
; %bb.37:
	ds_load_b64 v[8:9], v6
	s_waitcnt lgkmcnt(0)
	ds_store_b64 v4, v[8:9] offset:24
.LBB121_38:
	s_or_b32 exec_lo, exec_lo, s4
	v_add_lshl_u32 v7, v7, v0, 3
	v_lshlrev_b32_e32 v3, 3, v3
	v_add_nc_u32_e32 v8, 0xfffffdf0, v6
	s_waitcnt lgkmcnt(0)
	s_barrier
	buffer_gl0_inv
	ds_load_b64 v[13:14], v7
	ds_load_b128 v[9:12], v3 offset:9088
	ds_load_2addr_b64 v[28:31], v8 offset1:33
	ds_load_b128 v[32:35], v3 offset:9104
	ds_load_b64 v[17:18], v6
	v_cmp_gt_u32_e64 s4, 32, v26
	s_waitcnt lgkmcnt(0)
	s_barrier
	buffer_gl0_inv
	v_dual_mul_f32 v15, v10, v14 :: v_dual_mul_f32 v24, v11, v29
	v_dual_mul_f32 v14, v9, v14 :: v_dual_mul_f32 v23, v12, v29
	v_mul_f32_e32 v29, v33, v31
	s_delay_alu instid0(VALU_DEP_3) | instskip(NEXT) | instid1(VALU_DEP_3)
	v_fma_f32 v9, v9, v13, -v15
	v_dual_mul_f32 v31, v32, v31 :: v_dual_fmac_f32 v14, v10, v13
	v_mul_f32_e32 v10, v35, v18
	v_fma_f32 v11, v11, v28, -v23
	s_delay_alu instid0(VALU_DEP_4) | instskip(NEXT) | instid1(VALU_DEP_4)
	v_dual_fmac_f32 v24, v12, v28 :: v_dual_add_f32 v9, 0, v9
	v_add_f32_e32 v12, 0, v14
	v_dual_mul_f32 v13, v34, v18 :: v_dual_mov_b32 v18, 0
	v_fma_f32 v14, v32, v30, -v29
	s_delay_alu instid0(VALU_DEP_4) | instskip(NEXT) | instid1(VALU_DEP_4)
	v_add_f32_e32 v9, v9, v11
	v_add_f32_e32 v11, v12, v24
	s_delay_alu instid0(VALU_DEP_4)
	v_fmac_f32_e32 v13, v35, v17
	v_fmac_f32_e32 v31, v33, v30
	v_fma_f32 v10, v34, v17, -v10
	v_add_f32_e32 v9, v9, v14
	v_add_lshl_u32 v28, v5, v27, 3
	v_mov_b32_e32 v17, 0
	v_add_f32_e32 v11, v11, v31
	s_delay_alu instid0(VALU_DEP_1)
	v_dual_add_f32 v9, v9, v10 :: v_dual_add_f32 v10, v11, v13
	ds_store_b64 v28, v[9:10]
	s_waitcnt lgkmcnt(0)
	s_barrier
	buffer_gl0_inv
	s_and_saveexec_b32 s11, s4
	s_cbranch_execz .LBB121_40
; %bb.39:
	v_lshlrev_b32_e32 v13, 3, v27
	ds_load_2addr_b64 v[9:12], v13 offset1:7
	ds_load_2addr_b64 v[29:32], v13 offset0:1 offset1:2
	ds_load_2addr_b64 v[33:36], v13 offset0:3 offset1:4
	;; [unrolled: 1-line block ×3, first 2 shown]
	s_waitcnt lgkmcnt(2)
	v_dual_add_f32 v10, v30, v10 :: v_dual_add_f32 v9, v29, v9
	s_delay_alu instid0(VALU_DEP_1) | instskip(SKIP_1) | instid1(VALU_DEP_1)
	v_dual_add_f32 v10, v10, v32 :: v_dual_add_f32 v9, v9, v31
	s_waitcnt lgkmcnt(1)
	v_dual_add_f32 v10, v10, v34 :: v_dual_add_f32 v9, v9, v33
	s_delay_alu instid0(VALU_DEP_1) | instskip(SKIP_1) | instid1(VALU_DEP_1)
	v_dual_add_f32 v10, v10, v36 :: v_dual_add_f32 v9, v9, v35
	s_waitcnt lgkmcnt(0)
	v_dual_add_f32 v10, v10, v38 :: v_dual_add_f32 v9, v9, v37
	s_delay_alu instid0(VALU_DEP_1) | instskip(NEXT) | instid1(VALU_DEP_1)
	v_dual_add_f32 v10, v10, v40 :: v_dual_add_f32 v9, v9, v39
	v_dual_add_f32 v18, v10, v12 :: v_dual_add_f32 v17, v9, v11
.LBB121_40:
	s_or_b32 exec_lo, exec_lo, s11
	s_lshl_b32 s20, s10, 5
	v_cndmask_b32_e64 v9, 0, 1, s9
	s_ashr_i32 s21, s20, 31
	s_delay_alu instid0(SALU_CYCLE_1)
	s_lshl_b64 s[20:21], s[20:21], 3
	s_barrier
	v_add_co_u32 v1, vcc_lo, v1, s20
	v_add_co_ci_u32_e32 v2, vcc_lo, s21, v2, vcc_lo
	buffer_gl0_inv
	v_add_co_u32 v10, vcc_lo, 0x100, v1
	v_add_co_ci_u32_e32 v11, vcc_lo, 0, v2, vcc_lo
	s_and_not1_b32 vcc_lo, exec_lo, s9
	s_cbranch_vccnz .LBB121_42
; %bb.41:
	s_lshl_b32 s22, s10, 3
	s_ashr_i32 s11, s10, 31
	s_ashr_i32 s23, s22, 31
	v_mul_u32_u24_e32 v29, 33, v5
	s_lshl_b64 s[22:23], s[22:23], 3
	s_delay_alu instid0(SALU_CYCLE_1) | instskip(SKIP_3) | instid1(VALU_DEP_3)
	v_add_co_u32 v12, vcc_lo, v1, s22
	v_add_co_ci_u32_e32 v13, vcc_lo, s23, v2, vcc_lo
	s_lshl_b64 s[22:23], s[10:11], 6
	v_add_lshl_u32 v29, v29, v0, 3
	v_add_co_u32 v14, vcc_lo, v12, s22
	s_delay_alu instid0(VALU_DEP_3) | instskip(NEXT) | instid1(VALU_DEP_2)
	v_add_co_ci_u32_e32 v15, vcc_lo, s23, v13, vcc_lo
	v_add_co_u32 v23, vcc_lo, v14, s22
	s_delay_alu instid0(VALU_DEP_2)
	v_add_co_ci_u32_e32 v24, vcc_lo, s23, v15, vcc_lo
	s_clause 0x3
	global_load_b64 v[1:2], v[1:2], off offset:256
	global_load_b64 v[12:13], v[12:13], off offset:256
	global_load_b64 v[14:15], v[14:15], off offset:256
	global_load_b64 v[23:24], v[23:24], off offset:256
	s_waitcnt vmcnt(3)
	ds_store_b64 v29, v[1:2]
	s_waitcnt vmcnt(2)
	ds_store_b64 v29, v[12:13] offset:2112
	s_waitcnt vmcnt(1)
	ds_store_b64 v29, v[14:15] offset:4224
	;; [unrolled: 2-line block ×3, first 2 shown]
	s_cbranch_execz .LBB121_43
	s_branch .LBB121_60
.LBB121_42:
.LBB121_43:
	v_lshlrev_b32_e32 v12, 3, v0
	s_ashr_i32 s17, s16, 31
	v_or_b32_e32 v13, 32, v0
	s_lshl_b64 s[22:23], s[16:17], 3
	s_sub_i32 s11, s16, 32
	v_sub_co_u32 v1, vcc_lo, v10, v12
	v_subrev_co_ci_u32_e32 v2, vcc_lo, 0, v11, vcc_lo
	v_cmp_le_i32_e64 s9, s11, v5
	s_delay_alu instid0(VALU_DEP_3) | instskip(NEXT) | instid1(VALU_DEP_3)
	v_add_co_u32 v1, vcc_lo, v1, s22
	v_add_co_ci_u32_e32 v2, vcc_lo, s23, v2, vcc_lo
	s_delay_alu instid0(VALU_DEP_2) | instskip(NEXT) | instid1(VALU_DEP_2)
	v_add_co_u32 v1, vcc_lo, 0xfffffef8, v1
	v_add_co_ci_u32_e32 v2, vcc_lo, -1, v2, vcc_lo
	v_cmp_gt_i32_e32 vcc_lo, s16, v13
	v_mul_u32_u24_e32 v13, 33, v5
	s_delay_alu instid0(VALU_DEP_3) | instskip(NEXT) | instid1(VALU_DEP_2)
	v_dual_cndmask_b32 v1, v1, v10 :: v_dual_cndmask_b32 v2, v2, v11
	v_add_lshl_u32 v13, v13, v0, 3
	s_and_saveexec_b32 s17, s9
	s_delay_alu instid0(SALU_CYCLE_1)
	s_xor_b32 s9, exec_lo, s17
	s_cbranch_execz .LBB121_45
; %bb.44:
	v_mov_b32_e32 v14, 0
	s_delay_alu instid0(VALU_DEP_1)
	v_mov_b32_e32 v15, v14
	ds_store_b64 v13, v[14:15]
.LBB121_45:
	s_and_not1_saveexec_b32 s9, s9
	s_cbranch_execz .LBB121_47
; %bb.46:
	global_load_b64 v[14:15], v[1:2], off
	s_waitcnt vmcnt(0)
	ds_store_b64 v13, v[14:15]
.LBB121_47:
	s_or_b32 exec_lo, exec_lo, s9
	v_add_nc_u32_e32 v14, 8, v5
	s_delay_alu instid0(VALU_DEP_1) | instskip(NEXT) | instid1(VALU_DEP_1)
	v_cmp_le_i32_e64 s9, s11, v14
	s_and_saveexec_b32 s17, s9
	s_delay_alu instid0(SALU_CYCLE_1)
	s_xor_b32 s9, exec_lo, s17
	s_cbranch_execz .LBB121_49
; %bb.48:
	v_mul_u32_u24_e32 v15, 33, v14
	v_mov_b32_e32 v14, 0
	s_delay_alu instid0(VALU_DEP_2) | instskip(NEXT) | instid1(VALU_DEP_2)
	v_add_lshl_u32 v23, v15, v0, 3
	v_mov_b32_e32 v15, v14
	ds_store_b64 v23, v[14:15]
.LBB121_49:
	s_and_not1_saveexec_b32 s17, s9
	s_cbranch_execz .LBB121_51
; %bb.50:
	s_lshl_b32 s28, s10, 3
	s_delay_alu instid0(SALU_CYCLE_1) | instskip(NEXT) | instid1(SALU_CYCLE_1)
	s_ashr_i32 s29, s28, 31
	s_lshl_b64 s[28:29], s[28:29], 3
	s_delay_alu instid0(SALU_CYCLE_1) | instskip(NEXT) | instid1(VALU_DEP_1)
	v_add_co_u32 v14, s9, v1, s28
	v_add_co_ci_u32_e64 v15, s9, s29, v2, s9
	global_load_b64 v[14:15], v[14:15], off
	s_waitcnt vmcnt(0)
	ds_store_b64 v13, v[14:15] offset:2112
.LBB121_51:
	s_or_b32 exec_lo, exec_lo, s17
	v_add_nc_u32_e32 v14, 16, v5
	s_delay_alu instid0(VALU_DEP_1) | instskip(NEXT) | instid1(VALU_DEP_1)
	v_cmp_le_i32_e64 s9, s11, v14
	s_and_saveexec_b32 s17, s9
	s_delay_alu instid0(SALU_CYCLE_1)
	s_xor_b32 s9, exec_lo, s17
	s_cbranch_execz .LBB121_53
; %bb.52:
	v_mul_u32_u24_e32 v15, 33, v14
	v_mov_b32_e32 v14, 0
	s_delay_alu instid0(VALU_DEP_2) | instskip(NEXT) | instid1(VALU_DEP_2)
	v_add_lshl_u32 v23, v15, v0, 3
	v_mov_b32_e32 v15, v14
	ds_store_b64 v23, v[14:15]
.LBB121_53:
	s_and_not1_saveexec_b32 s17, s9
	s_cbranch_execz .LBB121_55
; %bb.54:
	s_lshl_b32 s28, s10, 4
	s_delay_alu instid0(SALU_CYCLE_1) | instskip(NEXT) | instid1(SALU_CYCLE_1)
	s_ashr_i32 s29, s28, 31
	s_lshl_b64 s[28:29], s[28:29], 3
	s_delay_alu instid0(SALU_CYCLE_1) | instskip(NEXT) | instid1(VALU_DEP_1)
	v_add_co_u32 v14, s9, v1, s28
	v_add_co_ci_u32_e64 v15, s9, s29, v2, s9
	global_load_b64 v[14:15], v[14:15], off
	s_waitcnt vmcnt(0)
	ds_store_b64 v13, v[14:15] offset:4224
.LBB121_55:
	s_or_b32 exec_lo, exec_lo, s17
	v_add_nc_u32_e32 v14, 24, v5
	s_delay_alu instid0(VALU_DEP_1) | instskip(NEXT) | instid1(VALU_DEP_1)
	v_cmp_le_i32_e64 s9, s11, v14
	s_and_saveexec_b32 s11, s9
	s_delay_alu instid0(SALU_CYCLE_1)
	s_xor_b32 s9, exec_lo, s11
	s_cbranch_execz .LBB121_57
; %bb.56:
	v_mov_b32_e32 v14, 0
	s_delay_alu instid0(VALU_DEP_1)
	v_mov_b32_e32 v15, v14
	ds_store_b64 v13, v[14:15] offset:6336
                                        ; implicit-def: $vgpr13
.LBB121_57:
	s_and_not1_saveexec_b32 s11, s9
	s_cbranch_execz .LBB121_59
; %bb.58:
	s_mul_i32 s28, s10, 24
	s_delay_alu instid0(SALU_CYCLE_1) | instskip(NEXT) | instid1(SALU_CYCLE_1)
	s_ashr_i32 s29, s28, 31
	s_lshl_b64 s[28:29], s[28:29], 3
	s_delay_alu instid0(SALU_CYCLE_1) | instskip(NEXT) | instid1(VALU_DEP_1)
	v_add_co_u32 v14, s9, v1, s28
	v_add_co_ci_u32_e64 v15, s9, s29, v2, s9
	global_load_b64 v[14:15], v[14:15], off
	s_waitcnt vmcnt(0)
	ds_store_b64 v13, v[14:15] offset:6336
.LBB121_59:
	s_or_b32 exec_lo, exec_lo, s11
	v_add_co_u32 v1, s9, v1, v12
	s_delay_alu instid0(VALU_DEP_1) | instskip(NEXT) | instid1(VALU_DEP_2)
	v_add_co_ci_u32_e64 v2, s9, 0, v2, s9
	v_sub_co_u32 v1, s9, v1, s22
	s_delay_alu instid0(VALU_DEP_1) | instskip(NEXT) | instid1(VALU_DEP_2)
	v_subrev_co_ci_u32_e64 v2, s9, s23, v2, s9
	v_add_co_u32 v1, s9, 0x108, v1
	s_delay_alu instid0(VALU_DEP_1) | instskip(NEXT) | instid1(VALU_DEP_1)
	v_add_co_ci_u32_e64 v2, s9, 0, v2, s9
	v_dual_cndmask_b32 v10, v1, v10 :: v_dual_cndmask_b32 v11, v2, v11
.LBB121_60:
	v_add_nc_u32_e32 v3, 0x2380, v3
	s_waitcnt lgkmcnt(0)
	s_barrier
	buffer_gl0_inv
	s_and_saveexec_b32 s9, s5
	s_cbranch_execnz .LBB121_69
; %bb.61:
	s_or_b32 exec_lo, exec_lo, s9
	s_and_saveexec_b32 s5, s6
	s_cbranch_execnz .LBB121_70
.LBB121_62:
	s_or_b32 exec_lo, exec_lo, s5
	s_and_saveexec_b32 s5, s7
	s_cbranch_execnz .LBB121_71
.LBB121_63:
	s_or_b32 exec_lo, exec_lo, s5
	s_and_saveexec_b32 s5, s8
	s_cbranch_execz .LBB121_65
.LBB121_64:
	ds_load_b64 v[1:2], v6
	s_waitcnt lgkmcnt(0)
	ds_store_b64 v4, v[1:2] offset:24
.LBB121_65:
	s_or_b32 exec_lo, exec_lo, s5
	s_waitcnt lgkmcnt(0)
	s_barrier
	buffer_gl0_inv
	ds_load_b64 v[1:2], v7
	ds_load_b128 v[12:15], v3 offset:256
	ds_load_2addr_b64 v[29:32], v8 offset1:33
	ds_load_b128 v[33:36], v3 offset:272
	ds_load_b64 v[6:7], v6
	v_cmp_eq_u32_e64 s5, 1, v5
	s_waitcnt lgkmcnt(0)
	s_barrier
	buffer_gl0_inv
	v_mul_f32_e32 v8, v13, v2
	v_mul_f32_e32 v2, v12, v2
	;; [unrolled: 1-line block ×5, first 2 shown]
	v_fma_f32 v8, v12, v1, -v8
	v_dual_fmac_f32 v2, v13, v1 :: v_dual_mul_f32 v1, v36, v7
	v_fma_f32 v12, v14, v29, -v23
	v_fmac_f32_e32 v24, v15, v29
	v_dual_mul_f32 v7, v35, v7 :: v_dual_mul_f32 v32, v33, v32
	s_delay_alu instid0(VALU_DEP_4)
	v_add_f32_e32 v2, 0, v2
	v_fma_f32 v1, v35, v6, -v1
	v_add_f32_e32 v8, 0, v8
	v_fma_f32 v13, v33, v31, -v30
	v_dual_fmac_f32 v7, v36, v6 :: v_dual_fmac_f32 v32, v34, v31
	v_add_f32_e32 v2, v2, v24
	s_delay_alu instid0(VALU_DEP_4) | instskip(NEXT) | instid1(VALU_DEP_2)
	v_add_f32_e32 v8, v8, v12
	v_add_f32_e32 v2, v2, v32
	s_delay_alu instid0(VALU_DEP_2) | instskip(NEXT) | instid1(VALU_DEP_2)
	v_add_f32_e32 v6, v8, v13
	v_add_f32_e32 v2, v2, v7
	s_delay_alu instid0(VALU_DEP_2)
	v_add_f32_e32 v1, v6, v1
	ds_store_b64 v28, v[1:2]
	s_waitcnt lgkmcnt(0)
	s_barrier
	buffer_gl0_inv
	s_and_saveexec_b32 s6, s5
	s_cbranch_execz .LBB121_67
; %bb.66:
	v_lshlrev_b32_e32 v1, 3, v27
	ds_load_2addr_b64 v[12:15], v1 offset1:7
	ds_load_2addr_b64 v[29:32], v1 offset0:1 offset1:2
	ds_load_2addr_b64 v[33:36], v1 offset0:3 offset1:4
	;; [unrolled: 1-line block ×3, first 2 shown]
	s_waitcnt lgkmcnt(2)
	v_add_f32_e32 v2, v30, v13
	s_delay_alu instid0(VALU_DEP_1) | instskip(SKIP_1) | instid1(VALU_DEP_1)
	v_add_f32_e32 v2, v2, v32
	s_waitcnt lgkmcnt(1)
	v_dual_add_f32 v1, v29, v12 :: v_dual_add_f32 v2, v2, v34
	s_delay_alu instid0(VALU_DEP_1) | instskip(SKIP_1) | instid1(VALU_DEP_1)
	v_dual_add_f32 v1, v1, v31 :: v_dual_add_f32 v2, v2, v36
	s_waitcnt lgkmcnt(0)
	v_dual_add_f32 v1, v1, v33 :: v_dual_add_f32 v2, v2, v38
	s_delay_alu instid0(VALU_DEP_1) | instskip(NEXT) | instid1(VALU_DEP_1)
	v_dual_add_f32 v1, v1, v35 :: v_dual_add_f32 v2, v2, v40
	v_dual_add_f32 v1, v1, v37 :: v_dual_add_f32 v18, v2, v15
	s_delay_alu instid0(VALU_DEP_1) | instskip(NEXT) | instid1(VALU_DEP_1)
	v_add_f32_e32 v1, v1, v39
	v_add_f32_e32 v17, v1, v14
.LBB121_67:
	s_or_b32 exec_lo, exec_lo, s6
	v_cmp_ne_u32_e32 vcc_lo, 1, v9
	v_sub_co_u32 v23, s6, v10, s20
	s_delay_alu instid0(VALU_DEP_1)
	v_subrev_co_ci_u32_e64 v24, s6, s21, v11, s6
	s_barrier
	buffer_gl0_inv
	s_cbranch_vccnz .LBB121_72
; %bb.68:
	s_lshl_b32 s6, s10, 3
	s_ashr_i32 s11, s10, 31
	s_ashr_i32 s7, s6, 31
	v_add_nc_u32_e32 v10, 24, v5
	s_lshl_b64 s[6:7], s[6:7], 3
	s_delay_alu instid0(SALU_CYCLE_1)
	v_add_co_u32 v1, vcc_lo, v23, s6
	v_add_co_ci_u32_e32 v2, vcc_lo, s7, v24, vcc_lo
	s_lshl_b64 s[6:7], s[10:11], 6
	s_delay_alu instid0(VALU_DEP_2) | instid1(SALU_CYCLE_1)
	v_add_co_u32 v6, vcc_lo, v1, s6
	s_delay_alu instid0(VALU_DEP_2) | instskip(NEXT) | instid1(VALU_DEP_2)
	v_add_co_ci_u32_e32 v7, vcc_lo, s7, v2, vcc_lo
	v_add_co_u32 v8, vcc_lo, v6, s6
	s_delay_alu instid0(VALU_DEP_2)
	v_add_co_ci_u32_e32 v9, vcc_lo, s7, v7, vcc_lo
	s_clause 0x3
	global_load_b64 v[12:13], v[23:24], off
	global_load_b64 v[14:15], v[1:2], off
	global_load_b64 v[29:30], v[6:7], off
	global_load_b64 v[31:32], v[8:9], off
	v_mad_u32_u24 v6, v5, 33, v0
	v_add_nc_u32_e32 v7, 8, v5
	v_add_nc_u32_e32 v8, 16, v5
	s_delay_alu instid0(VALU_DEP_3)
	v_lshlrev_b32_e32 v9, 3, v6
	v_add_nc_u32_e32 v1, 0x108, v6
	v_add_nc_u32_e32 v2, 0x210, v6
	;; [unrolled: 1-line block ×3, first 2 shown]
	s_waitcnt vmcnt(3)
	ds_store_b64 v9, v[12:13]
	s_waitcnt vmcnt(2)
	ds_store_b64 v9, v[14:15] offset:2112
	s_waitcnt vmcnt(1)
	ds_store_b64 v9, v[29:30] offset:4224
	;; [unrolled: 2-line block ×3, first 2 shown]
	s_cbranch_execz .LBB121_73
	s_branch .LBB121_90
.LBB121_69:
	ds_load_b64 v[1:2], v7
	s_waitcnt lgkmcnt(0)
	ds_store_b64 v4, v[1:2]
	s_or_b32 exec_lo, exec_lo, s9
	s_and_saveexec_b32 s5, s6
	s_cbranch_execz .LBB121_62
.LBB121_70:
	ds_load_b64 v[1:2], v8
	s_waitcnt lgkmcnt(0)
	ds_store_b64 v4, v[1:2] offset:8
	s_or_b32 exec_lo, exec_lo, s5
	s_and_saveexec_b32 s5, s7
	s_cbranch_execz .LBB121_63
.LBB121_71:
	ds_load_b64 v[1:2], v8 offset:264
	s_waitcnt lgkmcnt(0)
	ds_store_b64 v4, v[1:2] offset:16
	s_or_b32 exec_lo, exec_lo, s5
	s_and_saveexec_b32 s5, s8
	s_cbranch_execnz .LBB121_64
	s_branch .LBB121_65
.LBB121_72:
                                        ; implicit-def: $vgpr6
                                        ; implicit-def: $vgpr7
                                        ; implicit-def: $vgpr1
                                        ; implicit-def: $vgpr8
                                        ; implicit-def: $vgpr2
                                        ; implicit-def: $vgpr10
                                        ; implicit-def: $vgpr11
.LBB121_73:
	v_lshlrev_b32_e32 v9, 3, v0
	s_ashr_i32 s17, s16, 31
	v_or_b32_e32 v6, 32, v0
	s_lshl_b64 s[8:9], s[16:17], 3
	v_cmp_le_i32_e64 s6, s16, v5
	v_sub_co_u32 v1, vcc_lo, v23, v9
	v_subrev_co_ci_u32_e32 v2, vcc_lo, 0, v24, vcc_lo
	s_delay_alu instid0(VALU_DEP_2) | instskip(NEXT) | instid1(VALU_DEP_2)
	v_add_co_u32 v1, vcc_lo, v1, s8
	v_add_co_ci_u32_e32 v2, vcc_lo, s9, v2, vcc_lo
	s_delay_alu instid0(VALU_DEP_2) | instskip(NEXT) | instid1(VALU_DEP_2)
	v_add_co_u32 v1, vcc_lo, 0xfffffef8, v1
	v_add_co_ci_u32_e32 v2, vcc_lo, -1, v2, vcc_lo
	v_cmp_gt_i32_e32 vcc_lo, s16, v6
	v_mad_u32_u24 v6, v5, 33, v0
	s_delay_alu instid0(VALU_DEP_3) | instskip(NEXT) | instid1(VALU_DEP_2)
	v_dual_cndmask_b32 v2, v2, v24 :: v_dual_cndmask_b32 v1, v1, v23
	v_lshlrev_b32_e32 v12, 3, v6
	s_and_saveexec_b32 s7, s6
	s_delay_alu instid0(SALU_CYCLE_1)
	s_xor_b32 s6, exec_lo, s7
	s_cbranch_execz .LBB121_75
; %bb.74:
	v_mov_b32_e32 v7, 0
	s_delay_alu instid0(VALU_DEP_1)
	v_mov_b32_e32 v8, v7
	ds_store_b64 v12, v[7:8]
.LBB121_75:
	s_and_not1_saveexec_b32 s6, s6
	s_cbranch_execz .LBB121_77
; %bb.76:
	global_load_b64 v[7:8], v[1:2], off
	s_waitcnt vmcnt(0)
	ds_store_b64 v12, v[7:8]
.LBB121_77:
	s_or_b32 exec_lo, exec_lo, s6
	v_add_nc_u32_e32 v7, 8, v5
	s_delay_alu instid0(VALU_DEP_1) | instskip(NEXT) | instid1(VALU_DEP_1)
	v_cmp_le_i32_e64 s6, s16, v7
	s_and_saveexec_b32 s7, s6
	s_delay_alu instid0(SALU_CYCLE_1)
	s_xor_b32 s6, exec_lo, s7
	s_cbranch_execz .LBB121_79
; %bb.78:
	v_mul_u32_u24_e32 v8, 33, v7
	v_mov_b32_e32 v10, 0
	s_delay_alu instid0(VALU_DEP_2) | instskip(NEXT) | instid1(VALU_DEP_2)
	v_add_lshl_u32 v8, v8, v0, 3
	v_mov_b32_e32 v11, v10
	ds_store_b64 v8, v[10:11]
.LBB121_79:
	s_and_not1_saveexec_b32 s7, s6
	s_cbranch_execz .LBB121_81
; %bb.80:
	s_lshl_b32 s20, s10, 3
	s_delay_alu instid0(SALU_CYCLE_1) | instskip(NEXT) | instid1(SALU_CYCLE_1)
	s_ashr_i32 s21, s20, 31
	s_lshl_b64 s[20:21], s[20:21], 3
	s_delay_alu instid0(SALU_CYCLE_1) | instskip(NEXT) | instid1(VALU_DEP_1)
	v_add_co_u32 v10, s6, v1, s20
	v_add_co_ci_u32_e64 v11, s6, s21, v2, s6
	global_load_b64 v[10:11], v[10:11], off
	s_waitcnt vmcnt(0)
	ds_store_b64 v12, v[10:11] offset:2112
.LBB121_81:
	s_or_b32 exec_lo, exec_lo, s7
	v_add_nc_u32_e32 v8, 16, v5
	s_delay_alu instid0(VALU_DEP_1) | instskip(NEXT) | instid1(VALU_DEP_1)
	v_cmp_le_i32_e64 s6, s16, v8
	s_and_saveexec_b32 s7, s6
	s_delay_alu instid0(SALU_CYCLE_1)
	s_xor_b32 s6, exec_lo, s7
	s_cbranch_execz .LBB121_83
; %bb.82:
	v_mul_u32_u24_e32 v11, 33, v8
	v_mov_b32_e32 v10, 0
	s_delay_alu instid0(VALU_DEP_2) | instskip(NEXT) | instid1(VALU_DEP_2)
	v_add_lshl_u32 v13, v11, v0, 3
	v_mov_b32_e32 v11, v10
	ds_store_b64 v13, v[10:11]
.LBB121_83:
	s_and_not1_saveexec_b32 s7, s6
	s_cbranch_execz .LBB121_85
; %bb.84:
	s_lshl_b32 s20, s10, 4
	s_delay_alu instid0(SALU_CYCLE_1) | instskip(NEXT) | instid1(SALU_CYCLE_1)
	s_ashr_i32 s21, s20, 31
	s_lshl_b64 s[20:21], s[20:21], 3
	s_delay_alu instid0(SALU_CYCLE_1) | instskip(NEXT) | instid1(VALU_DEP_1)
	v_add_co_u32 v10, s6, v1, s20
	v_add_co_ci_u32_e64 v11, s6, s21, v2, s6
	global_load_b64 v[10:11], v[10:11], off
	s_waitcnt vmcnt(0)
	ds_store_b64 v12, v[10:11] offset:4224
.LBB121_85:
	s_or_b32 exec_lo, exec_lo, s7
	v_add_nc_u32_e32 v10, 24, v5
                                        ; implicit-def: $vgpr11
	s_delay_alu instid0(VALU_DEP_1) | instskip(NEXT) | instid1(VALU_DEP_1)
	v_cmp_le_i32_e64 s6, s16, v10
	s_and_saveexec_b32 s7, s6
	s_delay_alu instid0(SALU_CYCLE_1)
	s_xor_b32 s6, exec_lo, s7
	s_cbranch_execz .LBB121_87
; %bb.86:
	v_mad_u32_u24 v11, v10, 33, v0
	v_mov_b32_e32 v12, 0
	s_delay_alu instid0(VALU_DEP_1)
	v_dual_mov_b32 v13, v12 :: v_dual_lshlrev_b32 v0, 3, v11
	ds_store_b64 v0, v[12:13]
                                        ; implicit-def: $vgpr12
.LBB121_87:
	s_and_not1_saveexec_b32 s7, s6
	s_cbranch_execz .LBB121_89
; %bb.88:
	s_mul_i32 s20, s10, 24
	v_add_nc_u32_e32 v11, 0x318, v6
	s_ashr_i32 s21, s20, 31
	s_delay_alu instid0(SALU_CYCLE_1) | instskip(NEXT) | instid1(SALU_CYCLE_1)
	s_lshl_b64 s[20:21], s[20:21], 3
	v_add_co_u32 v13, s6, v1, s20
	s_delay_alu instid0(VALU_DEP_1)
	v_add_co_ci_u32_e64 v14, s6, s21, v2, s6
	global_load_b64 v[13:14], v[13:14], off
	s_waitcnt vmcnt(0)
	ds_store_b64 v12, v[13:14] offset:6336
.LBB121_89:
	s_or_b32 exec_lo, exec_lo, s7
	v_add_co_u32 v0, s6, v1, v9
	s_delay_alu instid0(VALU_DEP_1) | instskip(NEXT) | instid1(VALU_DEP_2)
	v_add_co_ci_u32_e64 v1, s6, 0, v2, s6
	v_sub_co_u32 v0, s6, v0, s8
	s_delay_alu instid0(VALU_DEP_1) | instskip(NEXT) | instid1(VALU_DEP_2)
	v_subrev_co_ci_u32_e64 v1, s6, s9, v1, s6
	v_add_co_u32 v0, s6, 0x108, v0
	s_delay_alu instid0(VALU_DEP_1) | instskip(SKIP_1) | instid1(VALU_DEP_2)
	v_add_co_ci_u32_e64 v2, s6, 0, v1, s6
	v_add_nc_u32_e32 v1, 0x108, v6
	v_dual_cndmask_b32 v23, v0, v23 :: v_dual_cndmask_b32 v24, v2, v24
	v_add_nc_u32_e32 v2, 0x210, v6
.LBB121_90:
	v_lshlrev_b32_e32 v0, 3, v6
	v_lshlrev_b32_e32 v5, 3, v5
	;; [unrolled: 1-line block ×8, first 2 shown]
	s_waitcnt lgkmcnt(0)
	s_barrier
	buffer_gl0_inv
	ds_load_b64 v[29:30], v0
	ds_load_b64 v[31:32], v5 offset:9088
	ds_load_b64 v[33:34], v1
	ds_load_b64 v[35:36], v6 offset:9088
	;; [unrolled: 2-line block ×4, first 2 shown]
	ds_load_b128 v[8:11], v3 offset:256
	ds_load_b128 v[0:3], v3 offset:272
	ds_load_2addr_b64 v[12:15], v4 offset1:1
	ds_load_2addr_b64 v[4:7], v4 offset0:2 offset1:3
	s_waitcnt lgkmcnt(0)
	s_barrier
	buffer_gl0_inv
	v_mul_f32_e32 v45, v32, v30
	v_mul_f32_e32 v30, v31, v30
	;; [unrolled: 1-line block ×5, first 2 shown]
	v_fma_f32 v31, v31, v29, -v45
	v_fmac_f32_e32 v30, v32, v29
	v_fma_f32 v32, v35, v33, -v46
	v_dual_mul_f32 v29, v39, v38 :: v_dual_fmac_f32 v34, v36, v33
	s_delay_alu instid0(VALU_DEP_3) | instskip(SKIP_2) | instid1(VALU_DEP_4)
	v_dual_add_f32 v31, 0, v31 :: v_dual_add_f32 v30, 0, v30
	v_fma_f32 v35, v39, v37, -v47
	v_mul_f32_e32 v48, v44, v42
	v_fmac_f32_e32 v29, v40, v37
	s_delay_alu instid0(VALU_DEP_4) | instskip(NEXT) | instid1(VALU_DEP_3)
	v_dual_add_f32 v31, v31, v32 :: v_dual_add_f32 v30, v30, v34
	v_fma_f32 v32, v43, v41, -v48
	s_delay_alu instid0(VALU_DEP_2) | instskip(NEXT) | instid1(VALU_DEP_3)
	v_add_f32_e32 v31, v31, v35
	v_dual_mul_f32 v33, v43, v42 :: v_dual_add_f32 v30, v30, v29
	s_delay_alu instid0(VALU_DEP_1) | instskip(NEXT) | instid1(VALU_DEP_1)
	v_fmac_f32_e32 v33, v44, v41
	v_dual_add_f32 v29, v31, v32 :: v_dual_add_f32 v30, v30, v33
	ds_store_b64 v28, v[29:30]
	s_waitcnt lgkmcnt(0)
	s_barrier
	buffer_gl0_inv
	s_and_saveexec_b32 s6, s5
	s_cbranch_execz .LBB121_92
; %bb.91:
	v_lshlrev_b32_e32 v41, 3, v27
	ds_load_2addr_b64 v[29:32], v41 offset1:1
	ds_load_2addr_b64 v[33:36], v41 offset0:2 offset1:3
	s_waitcnt lgkmcnt(1)
	v_dual_add_f32 v18, v18, v30 :: v_dual_add_f32 v17, v17, v29
	ds_load_2addr_b64 v[37:40], v41 offset0:4 offset1:5
	v_dual_add_f32 v18, v18, v32 :: v_dual_add_f32 v17, v17, v31
	ds_load_2addr_b64 v[29:32], v41 offset0:6 offset1:7
	s_waitcnt lgkmcnt(2)
	v_dual_add_f32 v18, v18, v34 :: v_dual_add_f32 v17, v17, v33
	s_delay_alu instid0(VALU_DEP_1) | instskip(SKIP_1) | instid1(VALU_DEP_1)
	v_dual_add_f32 v18, v18, v36 :: v_dual_add_f32 v17, v17, v35
	s_waitcnt lgkmcnt(1)
	v_dual_add_f32 v18, v18, v38 :: v_dual_add_f32 v17, v17, v37
	s_delay_alu instid0(VALU_DEP_1) | instskip(SKIP_1) | instid1(VALU_DEP_1)
	v_dual_add_f32 v18, v18, v40 :: v_dual_add_f32 v17, v17, v39
	s_waitcnt lgkmcnt(0)
	v_dual_add_f32 v18, v18, v30 :: v_dual_add_f32 v17, v17, v29
	s_delay_alu instid0(VALU_DEP_1)
	v_dual_add_f32 v18, v18, v32 :: v_dual_add_f32 v17, v17, v31
.LBB121_92:
	s_or_b32 exec_lo, exec_lo, s6
	v_dual_mul_f32 v29, v9, v13 :: v_dual_mul_f32 v30, v11, v15
	v_mul_f32_e32 v13, v8, v13
	s_barrier
	s_delay_alu instid0(VALU_DEP_2) | instskip(SKIP_3) | instid1(VALU_DEP_1)
	v_fma_f32 v8, v8, v12, -v29
	buffer_gl0_inv
	v_dual_add_f32 v8, 0, v8 :: v_dual_mul_f32 v15, v10, v15
	v_fma_f32 v10, v10, v14, -v30
	v_dual_add_f32 v8, v8, v10 :: v_dual_mul_f32 v31, v1, v5
	v_mul_f32_e32 v5, v0, v5
	s_delay_alu instid0(VALU_DEP_4) | instskip(NEXT) | instid1(VALU_DEP_3)
	v_fmac_f32_e32 v15, v11, v14
	v_fma_f32 v0, v0, v4, -v31
	s_delay_alu instid0(VALU_DEP_3) | instskip(NEXT) | instid1(VALU_DEP_2)
	v_fmac_f32_e32 v5, v1, v4
	v_add_f32_e32 v0, v8, v0
	v_fmac_f32_e32 v13, v9, v12
	v_mul_f32_e32 v9, v3, v7
	v_mul_f32_e32 v7, v2, v7
	s_delay_alu instid0(VALU_DEP_2) | instskip(NEXT) | instid1(VALU_DEP_2)
	v_fma_f32 v2, v2, v6, -v9
	v_fmac_f32_e32 v7, v3, v6
	s_delay_alu instid0(VALU_DEP_2) | instskip(NEXT) | instid1(VALU_DEP_1)
	v_dual_add_f32 v0, v0, v2 :: v_dual_add_f32 v11, 0, v13
	v_add_f32_e32 v1, v11, v15
	s_delay_alu instid0(VALU_DEP_1) | instskip(NEXT) | instid1(VALU_DEP_1)
	v_add_f32_e32 v1, v1, v5
	v_add_f32_e32 v1, v1, v7
	ds_store_b64 v28, v[0:1]
	s_waitcnt lgkmcnt(0)
	s_barrier
	buffer_gl0_inv
	s_and_saveexec_b32 s5, s4
	s_cbranch_execz .LBB121_94
; %bb.93:
	v_lshlrev_b32_e32 v12, 3, v27
	ds_load_2addr_b64 v[0:3], v12 offset1:1
	ds_load_2addr_b64 v[4:7], v12 offset0:2 offset1:3
	s_waitcnt lgkmcnt(1)
	v_add_f32_e32 v1, v18, v1
	ds_load_2addr_b64 v[8:11], v12 offset0:4 offset1:5
	v_add_f32_e32 v14, v1, v3
	s_waitcnt lgkmcnt(1)
	s_delay_alu instid0(VALU_DEP_1) | instskip(NEXT) | instid1(VALU_DEP_1)
	v_dual_add_f32 v0, v17, v0 :: v_dual_add_f32 v5, v14, v5
	v_add_f32_e32 v13, v0, v2
	ds_load_2addr_b64 v[0:3], v12 offset0:6 offset1:7
	v_add_f32_e32 v5, v5, v7
	s_waitcnt lgkmcnt(1)
	s_delay_alu instid0(VALU_DEP_1) | instskip(NEXT) | instid1(VALU_DEP_1)
	v_add_f32_e32 v5, v5, v9
	v_add_f32_e32 v5, v5, v11
	s_waitcnt lgkmcnt(0)
	s_delay_alu instid0(VALU_DEP_1) | instskip(NEXT) | instid1(VALU_DEP_1)
	v_add_f32_e32 v1, v5, v1
	v_add_f32_e32 v18, v1, v3
	;; [unrolled: 1-line block ×3, first 2 shown]
	s_delay_alu instid0(VALU_DEP_1) | instskip(NEXT) | instid1(VALU_DEP_1)
	v_add_f32_e32 v4, v4, v6
	v_add_f32_e32 v4, v4, v8
	s_delay_alu instid0(VALU_DEP_1) | instskip(NEXT) | instid1(VALU_DEP_1)
	v_add_f32_e32 v4, v4, v10
	v_add_f32_e32 v0, v4, v0
	s_delay_alu instid0(VALU_DEP_1)
	v_add_f32_e32 v17, v0, v2
.LBB121_94:
	s_or_b32 exec_lo, exec_lo, s5
	s_load_b64 s[0:1], s[0:1], 0x68
	s_mul_hi_u32 s4, s25, s15
	s_mul_i32 s27, s27, s15
	s_mul_i32 s5, s25, s15
	s_add_i32 s4, s4, s27
	s_mul_hi_u32 s6, s5, s26
	s_mul_i32 s7, s4, s26
	s_mul_i32 s4, s5, s26
	s_add_i32 s5, s6, s7
	s_mul_i32 s6, s14, s25
	s_lshl_b64 s[4:5], s[4:5], 3
	v_cmp_le_i32_e32 vcc_lo, s16, v25
	v_lshlrev_b32_e32 v72, 3, v25
	s_waitcnt lgkmcnt(0)
	s_barrier
	buffer_gl0_inv
	s_add_u32 s4, s0, s4
	s_addc_u32 s5, s1, s5
	s_ashr_i32 s7, s6, 31
	s_delay_alu instid0(SALU_CYCLE_1) | instskip(NEXT) | instid1(SALU_CYCLE_1)
	s_lshl_b64 s[0:1], s[6:7], 3
	s_add_u32 s15, s4, s0
	s_addc_u32 s20, s5, s1
	s_and_b32 vcc_lo, s13, vcc_lo
	s_cmp_lt_i32 s14, 1
	s_cbranch_scc1 .LBB121_101
; %bb.95:
	v_mul_lo_u32 v0, v71, s10
	v_sub_co_u32 v2, s0, v23, s18
	s_delay_alu instid0(VALU_DEP_1) | instskip(SKIP_1) | instid1(VALU_DEP_2)
	v_subrev_co_ci_u32_e64 v3, s0, s19, v24, s0
	s_mul_i32 s4, s12, s24
	v_sub_co_u32 v2, s0, v2, v21
	s_delay_alu instid0(VALU_DEP_4) | instskip(NEXT) | instid1(VALU_DEP_3)
	v_lshl_add_u32 v0, v0, 2, v25
	v_sub_co_ci_u32_e64 v3, s0, v3, v22, s0
	s_ashr_i32 s5, s4, 31
	s_ashr_i32 s17, s16, 31
	s_delay_alu instid0(VALU_DEP_2)
	v_ashrrev_i32_e32 v1, 31, v0
	s_lshl_b64 s[4:5], s[4:5], 3
	s_lshl_b64 s[6:7], s[16:17], 3
	v_and_b32_e32 v7, 48, v25
	v_lshrrev_b32_e32 v6, 4, v26
	v_lshlrev_b64 v[0:1], 3, v[0:1]
	v_add_nc_u32_e32 v75, 0x2180, v72
	v_lshl_add_u32 v80, v71, 5, 0x2180
	v_mad_u32_u24 v81, 0x860, v71, v72
	v_lshlrev_b32_e32 v8, 5, v6
	s_ashr_i32 s11, s10, 31
	v_add_co_u32 v0, s0, v2, v0
	s_delay_alu instid0(VALU_DEP_1) | instskip(SKIP_1) | instid1(VALU_DEP_2)
	v_add_co_ci_u32_e64 v1, s0, v3, v1, s0
	s_lshl_b32 s18, s24, 6
	v_sub_co_u32 v2, s0, v0, v72
	s_delay_alu instid0(VALU_DEP_1) | instskip(SKIP_1) | instid1(VALU_DEP_1)
	v_subrev_co_ci_u32_e64 v3, s0, 0, v1, s0
	v_sub_co_u32 v73, s0, v19, s4
	v_subrev_co_ci_u32_e64 v74, s0, s5, v20, s0
	s_delay_alu instid0(VALU_DEP_4) | instskip(NEXT) | instid1(VALU_DEP_1)
	v_add_co_u32 v2, s0, v2, s6
	v_add_co_ci_u32_e64 v3, s0, s7, v3, s0
	v_add_co_u32 v0, s0, 0xffffff00, v0
	s_delay_alu instid0(VALU_DEP_1) | instskip(NEXT) | instid1(VALU_DEP_4)
	v_add_co_ci_u32_e64 v4, s0, -1, v1, s0
	v_add_co_u32 v2, s0, 0xfffffef8, v2
	s_delay_alu instid0(VALU_DEP_1) | instskip(NEXT) | instid1(VALU_DEP_2)
	v_add_co_ci_u32_e64 v3, s0, -1, v3, s0
	v_dual_cndmask_b32 v2, v0, v2 :: v_dual_and_b32 v5, 15, v25
	v_dual_mov_b32 v1, 0 :: v_dual_lshlrev_b32 v0, 3, v7
	s_delay_alu instid0(VALU_DEP_3) | instskip(SKIP_2) | instid1(VALU_DEP_4)
	v_dual_cndmask_b32 v3, v4, v3 :: v_dual_add_nc_u32 v76, 0x2380, v72
	v_or_b32_e32 v4, 0x78, v72
	v_cmp_gt_u32_e64 s0, 64, v26
	v_mad_u32_u24 v77, 0x218, v5, v0
	v_lshlrev_b32_e32 v0, 3, v6
	v_mad_u32_u24 v79, 0x218, v5, v8
	v_mad_u32_u24 v78, 0x218, v5, v4
	s_lshl_b64 s[4:5], s[10:11], 3
	s_lshl_b64 s[6:7], s[10:11], 9
	v_mad_u32_u24 v82, 0x218, v5, v0
	v_or_b32_e32 v0, v7, v5
	s_lshl_b64 s[8:9], s[10:11], 4
	s_mul_hi_i32 s19, s10, 24
	s_mul_i32 s21, s10, 24
	s_mul_hi_i32 s22, s10, 0x90
	s_mul_i32 s23, s10, 0x90
	;; [unrolled: 2-line block ×10, first 2 shown]
	s_lshl_b64 s[12:13], s[10:11], 8
	s_mul_hi_i32 s41, s10, 0x88
	s_mul_i32 s42, s10, 0x88
	s_lshl_b64 s[10:11], s[10:11], 7
	s_mov_b32 s16, 0
	s_branch .LBB121_97
.LBB121_96:                             ;   in Loop: Header=BB121_97 Depth=1
	s_or_b32 exec_lo, exec_lo, s17
	v_dual_mul_f32 v83, v13, v5 :: v_dual_mul_f32 v84, v30, v11
	v_dual_mul_f32 v13, v13, v4 :: v_dual_mul_f32 v30, v30, v10
	v_mul_f32_e32 v85, v28, v9
	s_delay_alu instid0(VALU_DEP_3) | instskip(SKIP_3) | instid1(VALU_DEP_4)
	v_fma_f32 v4, v12, v4, -v83
	v_dual_mul_f32 v28, v28, v8 :: v_dual_mul_f32 v83, v26, v7
	v_mul_f32_e32 v26, v26, v6
	v_fma_f32 v10, v29, v10, -v84
	v_dual_add_f32 v4, v17, v4 :: v_dual_fmac_f32 v13, v12, v5
	v_mul_f32_e32 v17, v42, v24
	v_fma_f32 v5, v27, v8, -v85
	v_fmac_f32_e32 v30, v29, v11
	s_delay_alu instid0(VALU_DEP_4)
	v_add_f32_e32 v4, v4, v10
	v_fmac_f32_e32 v26, v25, v7
	v_add_f32_e32 v10, v18, v13
	v_fma_f32 v6, v25, v6, -v83
	v_mul_f32_e32 v8, v46, v22
	v_add_f32_e32 v4, v4, v5
	v_mul_f32_e32 v5, v46, v21
	v_dual_fmac_f32 v28, v27, v9 :: v_dual_add_f32 v9, v10, v30
	v_fma_f32 v10, v41, v23, -v17
	v_add_co_u32 v2, s1, v2, s6
	s_delay_alu instid0(VALU_DEP_4) | instskip(NEXT) | instid1(VALU_DEP_4)
	v_dual_fmac_f32 v5, v45, v22 :: v_dual_mul_f32 v42, v42, v23
	v_add_f32_e32 v7, v9, v28
	v_mul_f32_e32 v9, v40, v15
	v_fma_f32 v8, v45, v21, -v8
	v_add_co_ci_u32_e64 v3, s1, s7, v3, s1
	s_delay_alu instid0(VALU_DEP_4) | instskip(NEXT) | instid1(VALU_DEP_4)
	v_dual_fmac_f32 v42, v41, v24 :: v_dual_add_f32 v7, v7, v26
	v_fma_f32 v9, v39, v14, -v9
	v_add_nc_u32_e32 v0, 64, v0
	s_add_i32 s14, s14, -1
	s_add_i32 s16, s16, s18
	v_add_f32_e32 v7, v7, v42
	v_add_f32_e32 v4, v4, v6
	s_cmp_eq_u32 s14, 0
	s_waitcnt_vscnt null, 0x0
	s_barrier
	s_delay_alu instid0(VALU_DEP_1)
	v_dual_add_f32 v5, v7, v5 :: v_dual_add_f32 v4, v4, v10
	v_mul_f32_e32 v7, v40, v14
	v_mul_f32_e32 v6, v44, v20
	buffer_gl0_inv
	v_mul_f32_e32 v10, v66, v47
	v_dual_fmac_f32 v7, v39, v15 :: v_dual_add_f32 v4, v4, v8
	v_mul_f32_e32 v8, v44, v19
	v_fma_f32 v6, v43, v19, -v6
	s_delay_alu instid0(VALU_DEP_4) | instskip(NEXT) | instid1(VALU_DEP_3)
	v_fmac_f32_e32 v10, v65, v48
	v_fmac_f32_e32 v8, v43, v20
	s_delay_alu instid0(VALU_DEP_1) | instskip(NEXT) | instid1(VALU_DEP_1)
	v_dual_add_f32 v5, v5, v8 :: v_dual_mul_f32 v8, v56, v37
	v_dual_add_f32 v5, v5, v7 :: v_dual_add_f32 v4, v4, v6
	s_delay_alu instid0(VALU_DEP_2) | instskip(SKIP_1) | instid1(VALU_DEP_2)
	v_dual_mul_f32 v7, v62, v35 :: v_dual_fmac_f32 v8, v55, v38
	v_mul_f32_e32 v6, v56, v38
	v_dual_add_f32 v4, v4, v9 :: v_dual_fmac_f32 v7, v61, v36
	v_mul_f32_e32 v9, v62, v36
	s_delay_alu instid0(VALU_DEP_4) | instskip(NEXT) | instid1(VALU_DEP_4)
	v_add_f32_e32 v5, v5, v8
	v_fma_f32 v6, v55, v37, -v6
	s_delay_alu instid0(VALU_DEP_2) | instskip(NEXT) | instid1(VALU_DEP_2)
	v_dual_mul_f32 v8, v60, v33 :: v_dual_add_f32 v5, v5, v7
	v_add_f32_e32 v4, v4, v6
	v_fma_f32 v6, v61, v35, -v9
	v_mul_f32_e32 v9, v60, v34
	s_delay_alu instid0(VALU_DEP_4) | instskip(SKIP_1) | instid1(VALU_DEP_4)
	v_fmac_f32_e32 v8, v59, v34
	v_mul_f32_e32 v7, v64, v54
	v_add_f32_e32 v4, v4, v6
	s_delay_alu instid0(VALU_DEP_4) | instskip(NEXT) | instid1(VALU_DEP_4)
	v_fma_f32 v6, v59, v33, -v9
	v_add_f32_e32 v5, v5, v8
	s_delay_alu instid0(VALU_DEP_2) | instskip(NEXT) | instid1(VALU_DEP_1)
	v_dual_mul_f32 v9, v58, v32 :: v_dual_add_f32 v4, v4, v6
	v_fma_f32 v6, v57, v31, -v9
	v_mul_f32_e32 v9, v58, v31
	s_delay_alu instid0(VALU_DEP_1) | instskip(SKIP_2) | instid1(VALU_DEP_3)
	v_dual_fmac_f32 v9, v57, v32 :: v_dual_add_f32 v4, v4, v6
	v_fma_f32 v6, v63, v53, -v7
	v_mul_f32_e32 v7, v70, v52
	v_add_f32_e32 v5, v5, v9
	v_mul_f32_e32 v9, v68, v50
	s_delay_alu instid0(VALU_DEP_4) | instskip(NEXT) | instid1(VALU_DEP_4)
	v_add_f32_e32 v4, v4, v6
	v_fma_f32 v6, v69, v51, -v7
	v_dual_mul_f32 v7, v70, v51 :: v_dual_mul_f32 v8, v64, v53
	s_delay_alu instid0(VALU_DEP_1) | instskip(NEXT) | instid1(VALU_DEP_1)
	v_dual_fmac_f32 v7, v69, v52 :: v_dual_fmac_f32 v8, v63, v54
	v_dual_add_f32 v5, v5, v8 :: v_dual_add_f32 v4, v4, v6
	v_mul_f32_e32 v6, v68, v49
	v_fma_f32 v8, v67, v49, -v9
	v_mul_f32_e32 v9, v66, v48
	s_delay_alu instid0(VALU_DEP_2) | instskip(NEXT) | instid1(VALU_DEP_2)
	v_dual_add_f32 v5, v5, v7 :: v_dual_add_f32 v4, v4, v8
	v_fma_f32 v7, v65, v47, -v9
	s_delay_alu instid0(VALU_DEP_1) | instskip(NEXT) | instid1(VALU_DEP_1)
	v_dual_fmac_f32 v6, v67, v50 :: v_dual_add_f32 v17, v4, v7
	v_add_f32_e32 v5, v5, v6
	s_delay_alu instid0(VALU_DEP_1)
	v_add_f32_e32 v18, v5, v10
	s_cbranch_scc1 .LBB121_101
.LBB121_97:                             ; =>This Inner Loop Header: Depth=1
	s_and_saveexec_b32 s43, s3
	s_cbranch_execz .LBB121_99
; %bb.98:                               ;   in Loop: Header=BB121_97 Depth=1
	s_ashr_i32 s17, s16, 31
	s_delay_alu instid0(SALU_CYCLE_1) | instskip(NEXT) | instid1(SALU_CYCLE_1)
	s_lshl_b64 s[44:45], s[16:17], 3
	v_add_co_u32 v4, s1, v73, s44
	s_delay_alu instid0(VALU_DEP_1)
	v_add_co_ci_u32_e64 v5, s1, s45, v74, s1
	global_load_b64 v[4:5], v[4:5], off
	s_waitcnt vmcnt(0)
	ds_store_b64 v75, v[4:5]
.LBB121_99:                             ;   in Loop: Header=BB121_97 Depth=1
	s_or_b32 exec_lo, exec_lo, s43
	v_add_co_u32 v6, s1, v2, s4
	s_delay_alu instid0(VALU_DEP_1) | instskip(SKIP_1) | instid1(VALU_DEP_1)
	v_add_co_ci_u32_e64 v7, s1, s5, v3, s1
	v_add_co_u32 v8, s1, v2, s8
	v_add_co_ci_u32_e64 v9, s1, s9, v3, s1
	v_add_co_u32 v12, s1, v2, s21
	s_delay_alu instid0(VALU_DEP_1)
	v_add_co_ci_u32_e64 v13, s1, s19, v3, s1
	s_waitcnt lgkmcnt(0)
	s_barrier
	buffer_gl0_inv
	s_clause 0x3
	global_load_b64 v[4:5], v[2:3], off
	global_load_b64 v[10:11], v[6:7], off
	;; [unrolled: 1-line block ×4, first 2 shown]
	ds_load_b64 v[14:15], v76
	ds_load_b64 v[12:13], v80
	v_add_co_u32 v19, s1, v2, s10
	s_delay_alu instid0(VALU_DEP_1) | instskip(SKIP_1) | instid1(VALU_DEP_1)
	v_add_co_ci_u32_e64 v20, s1, s11, v3, s1
	v_add_co_u32 v21, s1, v2, s42
	v_add_co_ci_u32_e64 v22, s1, s41, v3, s1
	v_add_co_u32 v31, s1, v2, s23
	s_delay_alu instid0(VALU_DEP_1)
	v_add_co_ci_u32_e64 v32, s1, s22, v3, s1
	s_waitcnt vmcnt(2) lgkmcnt(1)
	v_mul_f32_e32 v26, v15, v11
	s_waitcnt vmcnt(1)
	v_mul_f32_e32 v34, v15, v8
	s_waitcnt vmcnt(0)
	v_dual_mul_f32 v23, v15, v5 :: v_dual_mul_f32 v36, v14, v7
	v_mul_f32_e32 v25, v15, v10
	v_mul_f32_e32 v27, v15, v9
	v_fmac_f32_e32 v34, v14, v9
	v_mul_f32_e32 v24, v15, v4
	v_fma_f32 v23, v14, v4, -v23
	v_fmac_f32_e32 v25, v14, v11
	v_mul_f32_e32 v28, v15, v7
	v_fma_f32 v33, v14, v8, -v27
	v_fmac_f32_e32 v24, v14, v5
	v_fmac_f32_e32 v36, v15, v6
	s_delay_alu instid0(VALU_DEP_4) | instskip(SKIP_4) | instid1(VALU_DEP_1)
	v_fma_f32 v35, v14, v6, -v28
	ds_store_b64 v81, v[23:24]
	v_fma_f32 v24, v14, v10, -v26
	ds_load_b64 v[29:30], v80 offset:8
	v_add_co_u32 v14, s1, v2, s25
	v_add_co_ci_u32_e64 v15, s1, s24, v3, s1
	ds_store_b64 v81, v[24:25] offset:536
	ds_load_b64 v[27:28], v80 offset:16
	ds_store_b64 v81, v[33:34] offset:1072
	ds_load_b64 v[25:26], v80 offset:24
	ds_store_b64 v81, v[35:36] offset:1608
	s_waitcnt lgkmcnt(0)
	s_barrier
	buffer_gl0_inv
	ds_load_2addr_b64 v[83:86], v79 offset1:1
	ds_load_2addr_b64 v[87:90], v79 offset0:2 offset1:3
	s_waitcnt lgkmcnt(0)
	s_barrier
	buffer_gl0_inv
	s_clause 0x3
	global_load_b64 v[23:24], v[19:20], off
	global_load_b64 v[21:22], v[21:22], off
	;; [unrolled: 1-line block ×4, first 2 shown]
	ds_load_b64 v[31:32], v76
	ds_load_b64 v[41:42], v80 offset:128
	v_add_co_u32 v33, s1, v2, s12
	s_delay_alu instid0(VALU_DEP_1) | instskip(SKIP_1) | instid1(VALU_DEP_1)
	v_add_co_ci_u32_e64 v34, s1, s13, v3, s1
	v_add_co_u32 v35, s1, v2, s40
	v_add_co_ci_u32_e64 v36, s1, s39, v3, s1
	v_add_co_u32 v47, s1, v2, s27
	s_delay_alu instid0(VALU_DEP_1)
	v_add_co_ci_u32_e64 v48, s1, s26, v3, s1
	v_add_f32_e32 v111, 0, v83
	s_waitcnt vmcnt(2) lgkmcnt(1)
	v_mul_f32_e32 v39, v32, v22
	v_mul_f32_e32 v37, v32, v24
	;; [unrolled: 1-line block ×4, first 2 shown]
	s_waitcnt vmcnt(1)
	v_mul_f32_e32 v43, v32, v20
	v_mul_f32_e32 v50, v32, v19
	s_waitcnt vmcnt(0)
	v_mul_f32_e32 v44, v32, v15
	v_mul_f32_e32 v52, v31, v15
	v_fma_f32 v37, v31, v23, -v37
	v_fmac_f32_e32 v38, v31, v24
	v_fma_f32 v39, v31, v21, -v39
	v_fmac_f32_e32 v40, v31, v22
	;; [unrolled: 2-line block ×4, first 2 shown]
	ds_store_b64 v81, v[37:38]
	ds_load_b64 v[45:46], v80 offset:136
	ds_store_b64 v81, v[39:40] offset:536
	v_add_co_u32 v31, s1, v2, s29
	ds_load_b64 v[43:44], v80 offset:144
	ds_store_b64 v81, v[49:50] offset:1072
	ds_load_b64 v[39:40], v80 offset:152
	ds_store_b64 v81, v[51:52] offset:1608
	s_waitcnt lgkmcnt(0)
	s_barrier
	buffer_gl0_inv
	ds_load_2addr_b64 v[91:94], v79 offset1:1
	ds_load_2addr_b64 v[95:98], v79 offset0:2 offset1:3
	s_waitcnt lgkmcnt(0)
	s_barrier
	buffer_gl0_inv
	global_load_b64 v[37:38], v[33:34], off
	v_add_co_ci_u32_e64 v32, s1, s28, v3, s1
	s_clause 0x2
	global_load_b64 v[35:36], v[35:36], off
	global_load_b64 v[33:34], v[47:48], off
	;; [unrolled: 1-line block ×3, first 2 shown]
	ds_load_b64 v[47:48], v76
	ds_load_b64 v[55:56], v80 offset:256
	v_add_co_u32 v49, s1, v2, s38
	s_delay_alu instid0(VALU_DEP_1) | instskip(SKIP_1) | instid1(VALU_DEP_1)
	v_add_co_ci_u32_e64 v50, s1, s37, v3, s1
	v_add_co_u32 v51, s1, v2, s36
	v_add_co_ci_u32_e64 v52, s1, s35, v3, s1
	v_add_f32_e32 v91, 0, v91
	v_add_co_u32 v63, s1, v2, s31
	s_delay_alu instid0(VALU_DEP_1) | instskip(NEXT) | instid1(VALU_DEP_3)
	v_add_co_ci_u32_e64 v64, s1, s30, v3, s1
	v_dual_add_f32 v92, 0, v92 :: v_dual_add_f32 v91, v91, v93
	s_waitcnt vmcnt(3) lgkmcnt(1)
	v_mul_f32_e32 v53, v48, v38
	v_mul_f32_e32 v54, v48, v37
	s_waitcnt vmcnt(2)
	v_mul_f32_e32 v57, v48, v36
	v_mul_f32_e32 v58, v48, v35
	s_waitcnt vmcnt(1)
	;; [unrolled: 3-line block ×3, first 2 shown]
	v_mul_f32_e32 v60, v48, v32
	v_mul_f32_e32 v68, v47, v32
	v_fma_f32 v53, v47, v37, -v53
	v_fmac_f32_e32 v54, v47, v38
	v_fma_f32 v57, v47, v35, -v57
	v_fmac_f32_e32 v58, v47, v36
	;; [unrolled: 2-line block ×4, first 2 shown]
	ds_store_b64 v81, v[53:54]
	ds_load_b64 v[61:62], v80 offset:264
	ds_store_b64 v81, v[57:58] offset:536
	v_add_co_u32 v47, s1, v2, s34
	ds_load_b64 v[59:60], v80 offset:272
	ds_store_b64 v81, v[65:66] offset:1072
	ds_load_b64 v[57:58], v80 offset:280
	ds_store_b64 v81, v[67:68] offset:1608
	s_waitcnt lgkmcnt(0)
	s_barrier
	buffer_gl0_inv
	ds_load_2addr_b64 v[99:102], v79 offset1:1
	ds_load_2addr_b64 v[103:106], v79 offset0:2 offset1:3
	s_waitcnt lgkmcnt(0)
	s_barrier
	buffer_gl0_inv
	global_load_b64 v[53:54], v[49:50], off
	v_add_co_ci_u32_e64 v48, s1, s33, v3, s1
	s_clause 0x2
	global_load_b64 v[51:52], v[51:52], off
	global_load_b64 v[49:50], v[63:64], off
	;; [unrolled: 1-line block ×3, first 2 shown]
	ds_load_b64 v[65:66], v76
	ds_load_b64 v[63:64], v80 offset:384
	s_waitcnt vmcnt(3) lgkmcnt(1)
	v_dual_add_f32 v112, 0, v84 :: v_dual_mul_f32 v67, v66, v54
	v_mul_f32_e32 v68, v66, v53
	s_waitcnt vmcnt(2)
	v_mul_f32_e32 v69, v66, v52
	v_mul_f32_e32 v84, v66, v51
	s_waitcnt vmcnt(1)
	v_mul_f32_e32 v70, v66, v50
	;; [unrolled: 3-line block ×3, first 2 shown]
	v_mul_f32_e32 v110, v65, v48
	v_fma_f32 v67, v65, v53, -v67
	v_fmac_f32_e32 v68, v65, v54
	v_fma_f32 v83, v65, v51, -v69
	v_fmac_f32_e32 v84, v65, v52
	;; [unrolled: 2-line block ×4, first 2 shown]
	ds_store_b64 v81, v[67:68]
	ds_load_b64 v[69:70], v80 offset:392
	ds_store_b64 v81, v[83:84] offset:536
	ds_load_b64 v[67:68], v80 offset:400
	ds_store_b64 v81, v[107:108] offset:1072
	;; [unrolled: 2-line block ×3, first 2 shown]
	s_waitcnt lgkmcnt(0)
	s_barrier
	buffer_gl0_inv
	ds_load_2addr_b64 v[107:110], v79 offset1:1
	v_dual_add_f32 v83, v111, v85 :: v_dual_add_f32 v84, v112, v86
	s_delay_alu instid0(VALU_DEP_1)
	v_dual_add_f32 v87, v83, v87 :: v_dual_add_f32 v88, v84, v88
	ds_load_2addr_b64 v[83:86], v79 offset0:2 offset1:3
	s_waitcnt lgkmcnt(0)
	s_barrier
	v_dual_add_f32 v87, v87, v89 :: v_dual_add_f32 v88, v88, v90
	v_dual_add_f32 v89, v92, v94 :: v_dual_add_f32 v90, v91, v95
	;; [unrolled: 1-line block ×3, first 2 shown]
	buffer_gl0_inv
	v_add_f32_e32 v95, v89, v96
	v_add_f32_e32 v89, v90, v97
	v_dual_add_f32 v93, 0, v107 :: v_dual_add_f32 v94, 0, v108
	v_dual_add_f32 v91, v91, v101 :: v_dual_add_f32 v92, v92, v102
	s_delay_alu instid0(VALU_DEP_2) | instskip(NEXT) | instid1(VALU_DEP_2)
	v_dual_add_f32 v90, v95, v98 :: v_dual_add_f32 v93, v93, v109
	v_dual_add_f32 v94, v94, v110 :: v_dual_add_f32 v91, v91, v103
	s_delay_alu instid0(VALU_DEP_2) | instskip(NEXT) | instid1(VALU_DEP_2)
	;; [unrolled: 3-line block ×3, first 2 shown]
	v_dual_add_f32 v84, v92, v106 :: v_dual_add_f32 v85, v93, v85
	v_add_f32_e32 v86, v94, v86
	ds_store_2addr_b64 v82, v[87:88], v[89:90] offset1:16
	ds_store_2addr_b64 v82, v[83:84], v[85:86] offset0:32 offset1:48
	s_waitcnt lgkmcnt(0)
	s_barrier
	buffer_gl0_inv
	s_and_saveexec_b32 s17, s0
	s_cbranch_execz .LBB121_96
; %bb.100:                              ;   in Loop: Header=BB121_97 Depth=1
	ds_load_b64 v[94:95], v77
	ds_load_2addr_b64 v[83:86], v77 offset0:1 offset1:2
	ds_load_2addr_b64 v[87:90], v77 offset0:3 offset1:4
	s_waitcnt lgkmcnt(1)
	v_dual_add_f32 v83, v83, v94 :: v_dual_add_f32 v84, v84, v95
	ds_load_2addr_b64 v[91:94], v77 offset0:5 offset1:6
	v_add_f32_e32 v83, v83, v85
	v_add_f32_e32 v95, v84, v86
	s_waitcnt lgkmcnt(1)
	s_delay_alu instid0(VALU_DEP_2) | instskip(SKIP_3) | instid1(VALU_DEP_2)
	v_add_f32_e32 v87, v83, v87
	ds_load_2addr_b64 v[83:86], v77 offset0:7 offset1:8
	v_add_f32_e32 v88, v95, v88
	v_add_f32_e32 v87, v87, v89
	;; [unrolled: 1-line block ×3, first 2 shown]
	s_waitcnt lgkmcnt(1)
	s_delay_alu instid0(VALU_DEP_2) | instskip(SKIP_3) | instid1(VALU_DEP_2)
	v_add_f32_e32 v91, v87, v91
	ds_load_2addr_b64 v[87:90], v77 offset0:9 offset1:10
	v_add_f32_e32 v92, v95, v92
	v_add_f32_e32 v91, v91, v93
	;; [unrolled: 1-line block ×3, first 2 shown]
	s_waitcnt lgkmcnt(1)
	s_delay_alu instid0(VALU_DEP_2) | instskip(SKIP_4) | instid1(VALU_DEP_1)
	v_add_f32_e32 v83, v91, v83
	ds_load_2addr_b64 v[91:94], v77 offset0:11 offset1:12
	v_add_f32_e32 v84, v95, v84
	v_add_f32_e32 v95, v83, v85
	s_waitcnt lgkmcnt(1)
	v_add_f32_e32 v87, v95, v87
	s_delay_alu instid0(VALU_DEP_1) | instskip(SKIP_1) | instid1(VALU_DEP_1)
	v_add_f32_e32 v89, v87, v89
	s_waitcnt lgkmcnt(0)
	v_add_f32_e32 v89, v89, v91
	s_delay_alu instid0(VALU_DEP_1) | instskip(SKIP_2) | instid1(VALU_DEP_1)
	v_dual_add_f32 v89, v89, v93 :: v_dual_add_f32 v96, v84, v86
	ds_load_2addr_b64 v[83:86], v77 offset0:13 offset1:14
	v_add_f32_e32 v88, v96, v88
	v_add_f32_e32 v90, v88, v90
	ds_load_b64 v[87:88], v78
	v_add_f32_e32 v90, v90, v92
	s_waitcnt lgkmcnt(1)
	s_delay_alu instid0(VALU_DEP_1) | instskip(NEXT) | instid1(VALU_DEP_1)
	v_dual_add_f32 v90, v90, v94 :: v_dual_add_f32 v83, v89, v83
	v_dual_add_f32 v84, v90, v84 :: v_dual_add_f32 v85, v83, v85
	s_delay_alu instid0(VALU_DEP_1) | instskip(SKIP_2) | instid1(VALU_DEP_2)
	v_add_f32_e32 v86, v84, v86
	v_lshlrev_b64 v[83:84], 3, v[0:1]
	s_waitcnt lgkmcnt(0)
	v_dual_add_f32 v85, v85, v87 :: v_dual_add_f32 v86, v86, v88
	s_delay_alu instid0(VALU_DEP_2) | instskip(NEXT) | instid1(VALU_DEP_1)
	v_add_co_u32 v83, s1, s15, v83
	v_add_co_ci_u32_e64 v84, s1, s20, v84, s1
	global_store_b64 v[83:84], v[85:86], off
	s_branch .LBB121_96
.LBB121_101:
	v_mad_u32_u24 v0, 0x218, v71, v72
	s_or_b32 s0, s2, vcc_lo
	s_delay_alu instid0(SALU_CYCLE_1)
	s_xor_b32 s0, s0, -1
	ds_store_b64 v0, v[17:18]
	s_waitcnt lgkmcnt(0)
	s_barrier
	buffer_gl0_inv
	s_and_saveexec_b32 s1, s0
	s_cbranch_execz .LBB121_103
; %bb.102:
	ds_load_2addr_b64 v[0:3], v72 offset1:67
	ds_load_2addr_b64 v[4:7], v72 offset0:134 offset1:201
	v_ashrrev_i32_e32 v17, 31, v16
	s_waitcnt lgkmcnt(1)
	v_dual_add_f32 v0, v2, v0 :: v_dual_add_f32 v1, v3, v1
	s_waitcnt lgkmcnt(0)
	s_delay_alu instid0(VALU_DEP_1) | instskip(SKIP_1) | instid1(VALU_DEP_2)
	v_dual_add_f32 v2, v0, v4 :: v_dual_add_f32 v3, v1, v5
	v_lshlrev_b64 v[0:1], 3, v[16:17]
	v_dual_add_f32 v2, v2, v6 :: v_dual_add_f32 v3, v3, v7
	s_delay_alu instid0(VALU_DEP_2) | instskip(NEXT) | instid1(VALU_DEP_3)
	v_add_co_u32 v0, vcc_lo, s15, v0
	v_add_co_ci_u32_e32 v1, vcc_lo, s20, v1, vcc_lo
	global_store_b64 v[0:1], v[2:3], off
.LBB121_103:
	s_nop 0
	s_sendmsg sendmsg(MSG_DEALLOC_VGPRS)
	s_endpgm
	.section	.rodata,"a",@progbits
	.p2align	6, 0x0
	.amdhsa_kernel _ZL26rocblas_hemvn_kernel_lowerILb0ELi64ELi4ELi33ELi32ELi16Ei19rocblas_complex_numIfEPKS1_PS1_EviT6_lT7_lT5_lS6_lS7_lS5_lT8_i
		.amdhsa_group_segment_fixed_size 9600
		.amdhsa_private_segment_fixed_size 0
		.amdhsa_kernarg_size 376
		.amdhsa_user_sgpr_count 14
		.amdhsa_user_sgpr_dispatch_ptr 0
		.amdhsa_user_sgpr_queue_ptr 0
		.amdhsa_user_sgpr_kernarg_segment_ptr 1
		.amdhsa_user_sgpr_dispatch_id 0
		.amdhsa_user_sgpr_private_segment_size 0
		.amdhsa_wavefront_size32 1
		.amdhsa_uses_dynamic_stack 0
		.amdhsa_enable_private_segment 0
		.amdhsa_system_sgpr_workgroup_id_x 1
		.amdhsa_system_sgpr_workgroup_id_y 0
		.amdhsa_system_sgpr_workgroup_id_z 1
		.amdhsa_system_sgpr_workgroup_info 0
		.amdhsa_system_vgpr_workitem_id 1
		.amdhsa_next_free_vgpr 113
		.amdhsa_next_free_sgpr 46
		.amdhsa_reserve_vcc 1
		.amdhsa_float_round_mode_32 0
		.amdhsa_float_round_mode_16_64 0
		.amdhsa_float_denorm_mode_32 3
		.amdhsa_float_denorm_mode_16_64 3
		.amdhsa_dx10_clamp 1
		.amdhsa_ieee_mode 1
		.amdhsa_fp16_overflow 0
		.amdhsa_workgroup_processor_mode 1
		.amdhsa_memory_ordered 1
		.amdhsa_forward_progress 0
		.amdhsa_shared_vgpr_count 0
		.amdhsa_exception_fp_ieee_invalid_op 0
		.amdhsa_exception_fp_denorm_src 0
		.amdhsa_exception_fp_ieee_div_zero 0
		.amdhsa_exception_fp_ieee_overflow 0
		.amdhsa_exception_fp_ieee_underflow 0
		.amdhsa_exception_fp_ieee_inexact 0
		.amdhsa_exception_int_div_zero 0
	.end_amdhsa_kernel
	.section	.text._ZL26rocblas_hemvn_kernel_lowerILb0ELi64ELi4ELi33ELi32ELi16Ei19rocblas_complex_numIfEPKS1_PS1_EviT6_lT7_lT5_lS6_lS7_lS5_lT8_i,"axG",@progbits,_ZL26rocblas_hemvn_kernel_lowerILb0ELi64ELi4ELi33ELi32ELi16Ei19rocblas_complex_numIfEPKS1_PS1_EviT6_lT7_lT5_lS6_lS7_lS5_lT8_i,comdat
.Lfunc_end121:
	.size	_ZL26rocblas_hemvn_kernel_lowerILb0ELi64ELi4ELi33ELi32ELi16Ei19rocblas_complex_numIfEPKS1_PS1_EviT6_lT7_lT5_lS6_lS7_lS5_lT8_i, .Lfunc_end121-_ZL26rocblas_hemvn_kernel_lowerILb0ELi64ELi4ELi33ELi32ELi16Ei19rocblas_complex_numIfEPKS1_PS1_EviT6_lT7_lT5_lS6_lS7_lS5_lT8_i
                                        ; -- End function
	.section	.AMDGPU.csdata,"",@progbits
; Kernel info:
; codeLenInByte = 8508
; NumSgprs: 48
; NumVgprs: 113
; ScratchSize: 0
; MemoryBound: 1
; FloatMode: 240
; IeeeMode: 1
; LDSByteSize: 9600 bytes/workgroup (compile time only)
; SGPRBlocks: 5
; VGPRBlocks: 14
; NumSGPRsForWavesPerEU: 48
; NumVGPRsForWavesPerEU: 113
; Occupancy: 12
; WaveLimiterHint : 1
; COMPUTE_PGM_RSRC2:SCRATCH_EN: 0
; COMPUTE_PGM_RSRC2:USER_SGPR: 14
; COMPUTE_PGM_RSRC2:TRAP_HANDLER: 0
; COMPUTE_PGM_RSRC2:TGID_X_EN: 1
; COMPUTE_PGM_RSRC2:TGID_Y_EN: 0
; COMPUTE_PGM_RSRC2:TGID_Z_EN: 1
; COMPUTE_PGM_RSRC2:TIDIG_COMP_CNT: 1
	.section	.text._ZL26rocblas_hemvn_kernel_upperILb0ELi64ELi4ELi33ELi32ELi16ElPK19rocblas_complex_numIdES3_PS1_EviT6_lT7_lT5_lS6_lS7_lS5_lT8_i,"axG",@progbits,_ZL26rocblas_hemvn_kernel_upperILb0ELi64ELi4ELi33ELi32ELi16ElPK19rocblas_complex_numIdES3_PS1_EviT6_lT7_lT5_lS6_lS7_lS5_lT8_i,comdat
	.globl	_ZL26rocblas_hemvn_kernel_upperILb0ELi64ELi4ELi33ELi32ELi16ElPK19rocblas_complex_numIdES3_PS1_EviT6_lT7_lT5_lS6_lS7_lS5_lT8_i ; -- Begin function _ZL26rocblas_hemvn_kernel_upperILb0ELi64ELi4ELi33ELi32ELi16ElPK19rocblas_complex_numIdES3_PS1_EviT6_lT7_lT5_lS6_lS7_lS5_lT8_i
	.p2align	8
	.type	_ZL26rocblas_hemvn_kernel_upperILb0ELi64ELi4ELi33ELi32ELi16ElPK19rocblas_complex_numIdES3_PS1_EviT6_lT7_lT5_lS6_lS7_lS5_lT8_i,@function
_ZL26rocblas_hemvn_kernel_upperILb0ELi64ELi4ELi33ELi32ELi16ElPK19rocblas_complex_numIdES3_PS1_EviT6_lT7_lT5_lS6_lS7_lS5_lT8_i: ; @_ZL26rocblas_hemvn_kernel_upperILb0ELi64ELi4ELi33ELi32ELi16ElPK19rocblas_complex_numIdES3_PS1_EviT6_lT7_lT5_lS6_lS7_lS5_lT8_i
; %bb.0:
	s_load_b64 s[4:5], s[0:1], 0x84
	s_add_u32 s2, s0, 0x78
	s_addc_u32 s3, s1, 0
	s_waitcnt lgkmcnt(0)
	s_lshr_b32 s6, s4, 16
	s_and_b32 s4, s4, 0xffff
	s_and_b32 s5, s5, 0xffff
	s_mul_i32 s4, s6, s4
	s_delay_alu instid0(SALU_CYCLE_1) | instskip(NEXT) | instid1(SALU_CYCLE_1)
	s_mul_i32 s4, s4, s5
	s_cmpk_lg_i32 s4, 0x100
	s_cbranch_scc1 .LBB122_154
; %bb.1:
	s_load_b512 s[16:31], s[0:1], 0x8
	s_waitcnt lgkmcnt(0)
	s_mul_i32 s5, s15, s19
	s_mul_hi_u32 s6, s15, s18
	s_mul_i32 s4, s15, s18
	s_add_i32 s5, s6, s5
	s_delay_alu instid0(SALU_CYCLE_1) | instskip(NEXT) | instid1(SALU_CYCLE_1)
	s_lshl_b64 s[4:5], s[4:5], 4
	s_add_u32 s4, s16, s4
	s_addc_u32 s5, s17, s5
	s_load_b128 s[4:7], s[4:5], 0x0
	s_clause 0x1
	s_load_b64 s[12:13], s[0:1], 0x68
	s_load_b256 s[36:43], s[0:1], 0x48
	s_waitcnt lgkmcnt(0)
	v_cmp_neq_f64_e64 s4, s[4:5], 0
	v_cmp_neq_f64_e64 s5, s[6:7], 0
	s_delay_alu instid0(VALU_DEP_1)
	s_or_b32 s4, s4, s5
	s_mov_b32 s5, -1
	s_and_b32 vcc_lo, exec_lo, s4
	s_cbranch_vccnz .LBB122_3
; %bb.2:
	s_mul_i32 s5, s15, s43
	s_mul_hi_u32 s7, s15, s42
	s_mul_i32 s6, s15, s42
	s_add_i32 s7, s7, s5
	s_delay_alu instid0(SALU_CYCLE_1) | instskip(NEXT) | instid1(SALU_CYCLE_1)
	s_lshl_b64 s[6:7], s[6:7], 4
	s_add_u32 s6, s40, s6
	s_addc_u32 s7, s41, s7
	s_load_b128 s[8:11], s[6:7], 0x0
	s_waitcnt lgkmcnt(0)
	v_cmp_neq_f64_e64 s5, s[8:9], 1.0
	v_cmp_neq_f64_e64 s6, s[10:11], 0
	s_delay_alu instid0(VALU_DEP_1)
	s_or_b32 s5, s5, s6
.LBB122_3:
	s_delay_alu instid0(SALU_CYCLE_1)
	s_and_not1_b32 vcc_lo, exec_lo, s5
	s_cbranch_vccnz .LBB122_154
; %bb.4:
	s_and_not1_b32 vcc_lo, exec_lo, s4
	s_cbranch_vccnz .LBB122_154
; %bb.5:
	s_mul_i32 s5, s15, s39
	s_mul_hi_u32 s6, s15, s38
	s_mul_i32 s4, s15, s38
	s_add_i32 s5, s6, s5
	s_load_b32 s33, s[0:1], 0x0
	s_lshl_b64 s[4:5], s[4:5], 4
	v_and_b32_e32 v183, 0x3ff, v0
	s_add_u32 s4, s28, s4
	s_addc_u32 s5, s29, s5
	s_lshl_b64 s[0:1], s[30:31], 4
	s_load_b32 s7, s[2:3], 0x0
	s_add_u32 s0, s4, s0
	s_addc_u32 s1, s5, s1
	s_lshl_b32 s10, s14, 6
	v_bfe_u32 v0, v0, 10, 10
	v_add_nc_u32_e32 v4, s10, v183
	scratch_store_b32 off, v0, off offset:4 ; 4-byte Folded Spill
	v_ashrrev_i32_e32 v5, 31, v4
	v_mul_lo_u32 v3, v4, s37
	v_mad_u64_u32 v[1:2], null, v4, s36, 0
	s_waitcnt lgkmcnt(0)
	s_ashr_i32 s28, s33, 31
	scratch_store_b64 off, v[4:5], off offset:8 ; 8-byte Folded Spill
	v_mul_lo_u32 v4, v5, s36
	s_lshr_b32 s2, s28, 26
	s_delay_alu instid0(SALU_CYCLE_1) | instskip(SKIP_2) | instid1(SALU_CYCLE_1)
	s_add_i32 s2, s33, s2
	s_add_i32 s3, s7, -1
	s_and_not1_b32 s2, s2, 63
	s_sub_i32 s18, s33, s2
	s_delay_alu instid0(VALU_DEP_1) | instskip(SKIP_3) | instid1(VALU_DEP_1)
	v_add3_u32 v2, v2, v3, v4
	s_cmp_eq_u32 s14, s3
	s_mov_b32 s2, -1
	s_cselect_b32 s8, s18, 0
	v_lshlrev_b64 v[1:2], 4, v[1:2]
	s_delay_alu instid0(VALU_DEP_1) | instskip(NEXT) | instid1(VALU_DEP_2)
	v_add_co_u32 v38, vcc_lo, s0, v1
	v_add_co_ci_u32_e32 v39, vcc_lo, s1, v2, vcc_lo
	v_cmp_eq_u32_e64 s0, 0, v0
	s_delay_alu instid0(VALU_DEP_1)
	s_and_saveexec_b32 s1, s0
	s_cbranch_execz .LBB122_10
; %bb.6:
	v_cmp_le_i32_e32 vcc_lo, s8, v183
	s_cmp_lg_u32 s8, 0
	v_lshl_add_u32 v0, v183, 4, 0x4700
	s_cselect_b32 s3, -1, 0
	s_delay_alu instid0(SALU_CYCLE_1) | instskip(NEXT) | instid1(SALU_CYCLE_1)
	s_and_b32 s3, s3, vcc_lo
	s_and_saveexec_b32 s4, s3
	s_delay_alu instid0(SALU_CYCLE_1)
	s_xor_b32 s3, exec_lo, s4
	s_cbranch_execz .LBB122_8
; %bb.7:
	v_mov_b32_e32 v1, 0
	s_delay_alu instid0(VALU_DEP_1)
	v_mov_b32_e32 v2, v1
	v_mov_b32_e32 v3, v1
	;; [unrolled: 1-line block ×3, first 2 shown]
	ds_store_b128 v0, v[1:4]
                                        ; implicit-def: $vgpr0
.LBB122_8:
	s_and_not1_saveexec_b32 s3, s3
	s_cbranch_execz .LBB122_10
; %bb.9:
	global_load_b128 v[1:4], v[38:39], off
	s_waitcnt vmcnt(0)
	ds_store_2addr_b64 v0, v[1:2], v[3:4] offset1:1
.LBB122_10:
	s_or_b32 exec_lo, exec_lo, s1
	scratch_load_b32 v0, off, off offset:4  ; 4-byte Folded Reload
	v_dual_mov_b32 v5, 0 :: v_dual_and_b32 v4, 31, v183
	s_mul_i32 s1, s15, s27
	s_mul_hi_u32 s3, s15, s26
	s_mul_i32 s4, s15, s26
	s_add_i32 s5, s3, s1
	v_lshlrev_b32_e32 v13, 4, v4
	s_lshl_b64 s[4:5], s[4:5], 4
	s_delay_alu instid0(SALU_CYCLE_1) | instskip(SKIP_2) | instid1(SALU_CYCLE_1)
	s_add_u32 s1, s20, s4
	s_addc_u32 s3, s21, s5
	s_lshl_b64 s[4:5], s[22:23], 4
	s_add_u32 s1, s1, s4
	s_addc_u32 s3, s3, s5
	s_ashr_i32 s11, s10, 31
	s_delay_alu instid0(SALU_CYCLE_1) | instskip(NEXT) | instid1(SALU_CYCLE_1)
	s_lshl_b64 s[4:5], s[10:11], 4
	s_add_u32 s1, s1, s4
	s_addc_u32 s3, s3, s5
	s_mul_i32 s4, s10, s25
	s_mul_hi_u32 s5, s10, s24
	s_delay_alu instid0(SALU_CYCLE_1) | instskip(SKIP_1) | instid1(SALU_CYCLE_1)
	s_add_i32 s4, s5, s4
	s_mul_i32 s5, s11, s24
	s_add_i32 s5, s4, s5
	s_mul_i32 s4, s10, s24
	s_delay_alu instid0(SALU_CYCLE_1) | instskip(NEXT) | instid1(SALU_CYCLE_1)
	s_lshl_b64 s[4:5], s[4:5], 4
	s_add_u32 s1, s4, s1
	s_addc_u32 s3, s5, s3
	s_cmp_eq_u32 s8, 0
	s_cselect_b32 s19, -1, 0
	s_cmp_lg_u32 s8, 0
	s_cselect_b32 s20, -1, 0
	s_delay_alu instid0(SALU_CYCLE_1) | instskip(SKIP_2) | instid1(VALU_DEP_1)
	s_and_b32 vcc_lo, exec_lo, s20
	s_waitcnt vmcnt(0)
	v_lshl_add_u32 v42, v0, 6, v183
	v_lshrrev_b32_e32 v11, 5, v42
	s_delay_alu instid0(VALU_DEP_1) | instskip(SKIP_1) | instid1(VALU_DEP_2)
	v_mad_u64_u32 v[0:1], null, v11, s24, v[4:5]
	v_mul_u32_u24_e32 v12, 33, v11
	v_mad_u64_u32 v[2:3], null, v11, s25, v[1:2]
	s_delay_alu instid0(VALU_DEP_1) | instskip(NEXT) | instid1(VALU_DEP_1)
	v_mov_b32_e32 v1, v2
	v_lshlrev_b64 v[36:37], 4, v[0:1]
	s_delay_alu instid0(VALU_DEP_1) | instskip(NEXT) | instid1(VALU_DEP_1)
	v_add_co_u32 v0, s1, s1, v36
	v_add_co_ci_u32_e64 v1, s1, s3, v37, s1
	v_cmp_gt_i32_e64 s1, s8, v4
	s_cbranch_vccz .LBB122_28
; %bb.11:
	s_delay_alu instid0(VALU_DEP_3)
	v_sub_co_u32 v2, vcc_lo, v0, v13
	s_ashr_i32 s9, s8, 31
	v_subrev_co_ci_u32_e32 v3, vcc_lo, 0, v1, vcc_lo
	s_lshl_b64 s[2:3], s[8:9], 4
	v_add_lshl_u32 v5, v12, v4, 4
	v_add_co_u32 v2, vcc_lo, v2, s2
	s_delay_alu instid0(VALU_DEP_3) | instskip(SKIP_1) | instid1(VALU_DEP_2)
	v_add_co_ci_u32_e32 v3, vcc_lo, s3, v3, vcc_lo
	s_mov_b32 s4, exec_lo
	v_add_co_u32 v2, vcc_lo, v2, -16
	s_delay_alu instid0(VALU_DEP_2) | instskip(NEXT) | instid1(VALU_DEP_2)
	v_add_co_ci_u32_e32 v3, vcc_lo, -1, v3, vcc_lo
	v_cndmask_b32_e64 v2, v2, v0, s1
	s_delay_alu instid0(VALU_DEP_2)
	v_cndmask_b32_e64 v3, v3, v1, s1
	v_cmpx_le_i32_e64 s8, v11
	s_xor_b32 s4, exec_lo, s4
	s_cbranch_execz .LBB122_13
; %bb.12:
	v_mov_b32_e32 v6, 0
	s_delay_alu instid0(VALU_DEP_1)
	v_mov_b32_e32 v7, v6
	v_mov_b32_e32 v8, v6
	;; [unrolled: 1-line block ×3, first 2 shown]
	ds_store_b128 v5, v[6:9]
.LBB122_13:
	s_and_not1_saveexec_b32 s4, s4
	s_cbranch_execz .LBB122_15
; %bb.14:
	global_load_b128 v[6:9], v[2:3], off
	s_waitcnt vmcnt(0)
	ds_store_2addr_b64 v5, v[6:7], v[8:9] offset1:1
.LBB122_15:
	s_or_b32 exec_lo, exec_lo, s4
	v_add_nc_u32_e32 v6, 8, v11
	s_mov_b32 s4, exec_lo
	s_delay_alu instid0(VALU_DEP_1)
	v_cmpx_le_i32_e64 s8, v6
	s_xor_b32 s4, exec_lo, s4
	s_cbranch_execz .LBB122_17
; %bb.16:
	v_mul_u32_u24_e32 v7, 33, v6
	v_mov_b32_e32 v6, 0
	s_delay_alu instid0(VALU_DEP_2) | instskip(NEXT) | instid1(VALU_DEP_2)
	v_add_lshl_u32 v10, v7, v4, 4
	v_mov_b32_e32 v7, v6
	v_mov_b32_e32 v8, v6
	;; [unrolled: 1-line block ×3, first 2 shown]
	ds_store_b128 v10, v[6:9]
.LBB122_17:
	s_and_not1_saveexec_b32 s4, s4
	s_cbranch_execz .LBB122_19
; %bb.18:
	s_lshl_b64 s[16:17], s[24:25], 7
	v_add_nc_u32_e32 v10, 0x1080, v5
	v_add_co_u32 v6, vcc_lo, v2, s16
	v_add_co_ci_u32_e32 v7, vcc_lo, s17, v3, vcc_lo
	global_load_b128 v[6:9], v[6:7], off
	s_waitcnt vmcnt(0)
	ds_store_2addr_b64 v10, v[6:7], v[8:9] offset1:1
.LBB122_19:
	s_or_b32 exec_lo, exec_lo, s4
	v_add_nc_u32_e32 v6, 16, v11
	s_mov_b32 s4, exec_lo
	s_delay_alu instid0(VALU_DEP_1)
	v_cmpx_le_i32_e64 s8, v6
	s_xor_b32 s4, exec_lo, s4
	s_cbranch_execz .LBB122_21
; %bb.20:
	v_mov_b32_e32 v6, 0
	s_delay_alu instid0(VALU_DEP_1)
	v_mov_b32_e32 v7, v6
	v_mov_b32_e32 v8, v6
	;; [unrolled: 1-line block ×3, first 2 shown]
	ds_store_b128 v5, v[6:9] offset:8448
.LBB122_21:
	s_and_not1_saveexec_b32 s4, s4
	s_cbranch_execz .LBB122_23
; %bb.22:
	s_lshl_b64 s[16:17], s[24:25], 8
	v_add_nc_u32_e32 v10, 0x2100, v5
	v_add_co_u32 v6, vcc_lo, v2, s16
	v_add_co_ci_u32_e32 v7, vcc_lo, s17, v3, vcc_lo
	global_load_b128 v[6:9], v[6:7], off
	s_waitcnt vmcnt(0)
	ds_store_2addr_b64 v10, v[6:7], v[8:9] offset1:1
.LBB122_23:
	s_or_b32 exec_lo, exec_lo, s4
	v_add_nc_u32_e32 v6, 24, v11
	s_mov_b32 s4, exec_lo
	s_delay_alu instid0(VALU_DEP_1)
	v_cmpx_le_i32_e64 s8, v6
	s_xor_b32 s4, exec_lo, s4
	s_cbranch_execz .LBB122_25
; %bb.24:
	v_mov_b32_e32 v6, 0
	s_delay_alu instid0(VALU_DEP_1)
	v_mov_b32_e32 v7, v6
	v_mov_b32_e32 v8, v6
	;; [unrolled: 1-line block ×3, first 2 shown]
	ds_store_b128 v5, v[6:9] offset:12672
                                        ; implicit-def: $vgpr5
.LBB122_25:
	s_and_not1_saveexec_b32 s4, s4
	s_cbranch_execz .LBB122_27
; %bb.26:
	v_mad_u64_u32 v[6:7], null, 0x180, s24, v[2:3]
	v_add_nc_u32_e32 v5, 0x3180, v5
	s_delay_alu instid0(VALU_DEP_2) | instskip(NEXT) | instid1(VALU_DEP_1)
	v_mad_u64_u32 v[8:9], null, 0x180, s25, v[7:8]
	v_mov_b32_e32 v7, v8
	global_load_b128 v[6:9], v[6:7], off
	s_waitcnt vmcnt(0)
	ds_store_2addr_b64 v5, v[6:7], v[8:9] offset1:1
.LBB122_27:
	s_or_b32 exec_lo, exec_lo, s4
	v_add_co_u32 v2, vcc_lo, v2, v13
	v_add_co_ci_u32_e32 v3, vcc_lo, 0, v3, vcc_lo
	s_delay_alu instid0(VALU_DEP_2) | instskip(NEXT) | instid1(VALU_DEP_2)
	v_sub_co_u32 v2, vcc_lo, v2, s2
	v_subrev_co_ci_u32_e32 v3, vcc_lo, s3, v3, vcc_lo
	s_delay_alu instid0(VALU_DEP_2) | instskip(NEXT) | instid1(VALU_DEP_2)
	v_add_co_u32 v2, vcc_lo, v2, 16
	v_add_co_ci_u32_e32 v3, vcc_lo, 0, v3, vcc_lo
	s_delay_alu instid0(VALU_DEP_2) | instskip(NEXT) | instid1(VALU_DEP_2)
	v_cndmask_b32_e64 v5, v2, v0, s1
	v_cndmask_b32_e64 v6, v3, v1, s1
	s_branch .LBB122_30
.LBB122_28:
                                        ; implicit-def: $vgpr5_vgpr6
	s_and_b32 vcc_lo, exec_lo, s2
	s_cbranch_vccz .LBB122_30
; %bb.29:
	v_mad_u64_u32 v[2:3], null, 0x180, s24, v[0:1]
	s_lshl_b64 s[2:3], s[24:25], 7
	s_delay_alu instid0(SALU_CYCLE_1) | instskip(SKIP_1) | instid1(VALU_DEP_3)
	v_add_co_u32 v14, vcc_lo, v0, s2
	v_add_co_ci_u32_e32 v15, vcc_lo, s3, v1, vcc_lo
	v_mad_u64_u32 v[5:6], null, 0x180, s25, v[3:4]
	s_delay_alu instid0(VALU_DEP_3) | instskip(NEXT) | instid1(VALU_DEP_3)
	v_add_co_u32 v18, vcc_lo, v14, s2
	v_add_co_ci_u32_e32 v19, vcc_lo, s3, v15, vcc_lo
	s_delay_alu instid0(VALU_DEP_3)
	v_mov_b32_e32 v3, v5
	s_clause 0x1
	global_load_b128 v[7:10], v[0:1], off
	global_load_b128 v[14:17], v[14:15], off
	global_load_b128 v[18:21], v[18:19], off
	global_load_b128 v[22:25], v[2:3], off
	v_add_lshl_u32 v2, v12, v4, 4
	v_dual_mov_b32 v6, v1 :: v_dual_mov_b32 v5, v0
	s_delay_alu instid0(VALU_DEP_2)
	v_add_nc_u32_e32 v26, 0x2100, v2
	v_add_nc_u32_e32 v3, 0x1080, v2
	;; [unrolled: 1-line block ×3, first 2 shown]
	s_waitcnt vmcnt(3)
	ds_store_2addr_b64 v2, v[7:8], v[9:10] offset1:1
	s_waitcnt vmcnt(2)
	ds_store_2addr_b64 v3, v[14:15], v[16:17] offset1:1
	;; [unrolled: 2-line block ×4, first 2 shown]
.LBB122_30:
	v_lshlrev_b32_e32 v0, 2, v11
	v_mul_u32_u24_e32 v14, 33, v4
	v_mul_u32_u24_e32 v1, 0x84, v11
	s_waitcnt lgkmcnt(0)
	s_waitcnt_vscnt null, 0x0
	s_barrier
	v_cmp_gt_u32_e64 s2, v0, v4
	v_add_lshl_u32 v17, v0, v14, 4
	buffer_gl0_inv
	s_and_saveexec_b32 s1, s2
	s_cbranch_execz .LBB122_32
; %bb.31:
	v_add_lshl_u32 v2, v1, v4, 4
	ds_load_b128 v[7:10], v2
	s_waitcnt lgkmcnt(0)
	ds_store_b128 v17, v[7:10]
.LBB122_32:
	s_or_b32 exec_lo, exec_lo, s1
	v_cmp_ge_u32_e64 s3, v0, v4
	s_delay_alu instid0(VALU_DEP_1)
	s_and_saveexec_b32 s1, s3
	s_cbranch_execz .LBB122_34
; %bb.33:
	v_or_b32_e32 v2, 1, v0
	s_delay_alu instid0(VALU_DEP_1) | instskip(NEXT) | instid1(VALU_DEP_1)
	v_mul_u32_u24_e32 v2, 33, v2
	v_add_lshl_u32 v2, v2, v4, 4
	ds_load_b128 v[7:10], v2
	s_waitcnt lgkmcnt(0)
	ds_store_b128 v17, v[7:10] offset:16
.LBB122_34:
	s_or_b32 exec_lo, exec_lo, s1
	v_or_b32_e32 v2, 2, v0
	s_delay_alu instid0(VALU_DEP_1) | instskip(NEXT) | instid1(VALU_DEP_1)
	v_cmp_gt_u32_e64 s4, v2, v4
	s_and_saveexec_b32 s1, s4
	s_cbranch_execz .LBB122_36
; %bb.35:
	v_mul_u32_u24_e32 v2, 33, v2
	s_delay_alu instid0(VALU_DEP_1)
	v_add_lshl_u32 v2, v2, v4, 4
	ds_load_b128 v[7:10], v2
	s_waitcnt lgkmcnt(0)
	ds_store_b128 v17, v[7:10] offset:32
.LBB122_36:
	s_or_b32 exec_lo, exec_lo, s1
	v_or_b32_e32 v2, 3, v0
	s_delay_alu instid0(VALU_DEP_1) | instskip(SKIP_1) | instid1(VALU_DEP_2)
	v_mad_u32_u24 v3, v2, 33, v4
	v_cmp_gt_u32_e64 s5, v2, v4
	v_lshlrev_b32_e32 v16, 4, v3
	s_delay_alu instid0(VALU_DEP_2)
	s_and_saveexec_b32 s1, s5
	s_cbranch_execz .LBB122_38
; %bb.37:
	ds_load_b128 v[7:10], v16
	s_waitcnt lgkmcnt(0)
	ds_store_b128 v17, v[7:10] offset:48
.LBB122_38:
	s_or_b32 exec_lo, exec_lo, s1
	v_lshlrev_b32_e32 v18, 4, v0
	v_add_lshl_u32 v15, v1, v4, 4
	s_waitcnt lgkmcnt(0)
	s_barrier
	buffer_gl0_inv
	ds_load_b128 v[0:3], v18 offset:18176
	ds_load_b128 v[7:10], v15
	v_add_nc_u32_e32 v24, 0xfffffbe0, v16
	ds_load_b128 v[19:22], v24
	ds_load_b128 v[25:28], v24 offset:528
	ds_load_b128 v[29:32], v18 offset:18192
	;; [unrolled: 1-line block ×3, first 2 shown]
	v_cmp_gt_u32_e64 s1, 32, v42
	s_waitcnt lgkmcnt(4)
	v_mul_f64 v[33:34], v[2:3], v[9:10]
	v_mul_f64 v[9:10], v[0:1], v[9:10]
	s_waitcnt lgkmcnt(1)
	v_mul_f64 v[40:41], v[31:32], v[21:22]
	v_mul_f64 v[21:22], v[29:30], v[21:22]
	s_delay_alu instid0(VALU_DEP_4) | instskip(NEXT) | instid1(VALU_DEP_4)
	v_fma_f64 v[0:1], v[0:1], v[7:8], -v[33:34]
	v_fma_f64 v[2:3], v[2:3], v[7:8], v[9:10]
	s_waitcnt lgkmcnt(0)
	v_mul_f64 v[33:34], v[45:46], v[27:28]
	v_mul_f64 v[27:28], v[43:44], v[27:28]
	v_fma_f64 v[29:30], v[29:30], v[19:20], -v[40:41]
	v_fma_f64 v[19:20], v[31:32], v[19:20], v[21:22]
	v_add_f64 v[21:22], v[0:1], 0
	v_add_f64 v[31:32], v[2:3], 0
	ds_load_b128 v[0:3], v18 offset:18224
	ds_load_b128 v[7:10], v16
	v_fma_f64 v[33:34], v[43:44], v[25:26], -v[33:34]
	v_fma_f64 v[25:26], v[45:46], v[25:26], v[27:28]
	v_add_lshl_u32 v44, v11, v14, 4
	s_waitcnt lgkmcnt(0)
	s_barrier
	buffer_gl0_inv
	v_lshlrev_b32_e32 v43, 4, v14
	v_mul_f64 v[40:41], v[2:3], v[9:10]
	v_mul_f64 v[9:10], v[0:1], v[9:10]
	v_add_f64 v[21:22], v[21:22], v[29:30]
	v_add_f64 v[19:20], v[31:32], v[19:20]
	s_delay_alu instid0(VALU_DEP_4) | instskip(NEXT) | instid1(VALU_DEP_4)
	v_fma_f64 v[0:1], v[0:1], v[7:8], -v[40:41]
	v_fma_f64 v[2:3], v[2:3], v[7:8], v[9:10]
	s_delay_alu instid0(VALU_DEP_4) | instskip(NEXT) | instid1(VALU_DEP_4)
	v_add_f64 v[7:8], v[21:22], v[33:34]
	v_add_f64 v[9:10], v[19:20], v[25:26]
	s_delay_alu instid0(VALU_DEP_2) | instskip(NEXT) | instid1(VALU_DEP_2)
	v_add_f64 v[7:8], v[7:8], v[0:1]
	v_add_f64 v[9:10], v[9:10], v[2:3]
	v_mov_b32_e32 v0, 0
	v_mov_b32_e32 v1, 0
	s_delay_alu instid0(VALU_DEP_1)
	v_dual_mov_b32 v3, v1 :: v_dual_mov_b32 v2, v0
	ds_store_b128 v44, v[7:10]
	s_waitcnt lgkmcnt(0)
	s_barrier
	buffer_gl0_inv
	s_and_saveexec_b32 s6, s1
	s_cbranch_execz .LBB122_40
; %bb.39:
	ds_load_b128 v[0:3], v43
	ds_load_b128 v[7:10], v43 offset:16
	s_waitcnt lgkmcnt(0)
	v_add_f64 v[19:20], v[7:8], v[0:1]
	v_add_f64 v[21:22], v[9:10], v[2:3]
	ds_load_b128 v[0:3], v43 offset:32
	ds_load_b128 v[7:10], v43 offset:48
	s_waitcnt lgkmcnt(1)
	v_add_f64 v[0:1], v[19:20], v[0:1]
	v_add_f64 v[2:3], v[21:22], v[2:3]
	s_waitcnt lgkmcnt(0)
	s_delay_alu instid0(VALU_DEP_2) | instskip(NEXT) | instid1(VALU_DEP_2)
	v_add_f64 v[19:20], v[0:1], v[7:8]
	v_add_f64 v[21:22], v[2:3], v[9:10]
	ds_load_b128 v[0:3], v43 offset:64
	ds_load_b128 v[7:10], v43 offset:80
	s_waitcnt lgkmcnt(1)
	v_add_f64 v[0:1], v[19:20], v[0:1]
	v_add_f64 v[2:3], v[21:22], v[2:3]
	s_waitcnt lgkmcnt(0)
	s_delay_alu instid0(VALU_DEP_2) | instskip(NEXT) | instid1(VALU_DEP_2)
	;; [unrolled: 9-line block ×3, first 2 shown]
	v_add_f64 v[0:1], v[0:1], v[7:8]
	v_add_f64 v[2:3], v[2:3], v[9:10]
.LBB122_40:
	s_or_b32 exec_lo, exec_lo, s6
	s_lshl_b64 s[16:17], s[24:25], 9
	s_delay_alu instid0(SALU_CYCLE_1) | instskip(SKIP_2) | instid1(VALU_DEP_2)
	v_add_co_u32 v9, vcc_lo, v5, s16
	v_add_co_ci_u32_e32 v10, vcc_lo, s17, v6, vcc_lo
	s_barrier
	v_add_co_u32 v7, vcc_lo, 0x200, v9
	s_delay_alu instid0(VALU_DEP_2)
	v_add_co_ci_u32_e32 v8, vcc_lo, 0, v10, vcc_lo
	s_and_b32 vcc_lo, exec_lo, s20
	buffer_gl0_inv
	s_cbranch_vccz .LBB122_58
; %bb.41:
	v_sub_co_u32 v5, vcc_lo, v7, v13
	s_ashr_i32 s9, s8, 31
	v_subrev_co_ci_u32_e32 v6, vcc_lo, 0, v8, vcc_lo
	s_lshl_b64 s[16:17], s[8:9], 4
	v_or_b32_e32 v19, 32, v4
	v_add_co_u32 v5, vcc_lo, v5, s16
	s_delay_alu instid0(VALU_DEP_3) | instskip(SKIP_1) | instid1(VALU_DEP_2)
	v_add_co_ci_u32_e32 v6, vcc_lo, s17, v6, vcc_lo
	s_sub_i32 s9, s8, 32
	v_add_co_u32 v5, vcc_lo, 0xfffffdf0, v5
	s_delay_alu instid0(VALU_DEP_2) | instskip(SKIP_3) | instid1(VALU_DEP_4)
	v_add_co_ci_u32_e32 v6, vcc_lo, -1, v6, vcc_lo
	v_cmp_gt_i32_e32 vcc_lo, s8, v19
	v_cmp_le_i32_e64 s6, s9, v11
	v_add_lshl_u32 v19, v12, v4, 4
	v_dual_cndmask_b32 v6, v6, v8 :: v_dual_cndmask_b32 v5, v5, v7
	s_delay_alu instid0(VALU_DEP_3) | instskip(NEXT) | instid1(SALU_CYCLE_1)
	s_and_saveexec_b32 s21, s6
	s_xor_b32 s6, exec_lo, s21
	s_cbranch_execz .LBB122_43
; %bb.42:
	v_mov_b32_e32 v20, 0
	s_delay_alu instid0(VALU_DEP_1)
	v_mov_b32_e32 v21, v20
	v_mov_b32_e32 v22, v20
	;; [unrolled: 1-line block ×3, first 2 shown]
	ds_store_b128 v19, v[20:23]
.LBB122_43:
	s_and_not1_saveexec_b32 s6, s6
	s_cbranch_execz .LBB122_45
; %bb.44:
	global_load_b128 v[20:23], v[5:6], off
	s_waitcnt vmcnt(0)
	ds_store_2addr_b64 v19, v[20:21], v[22:23] offset1:1
.LBB122_45:
	s_or_b32 exec_lo, exec_lo, s6
	v_add_nc_u32_e32 v20, 8, v11
	s_delay_alu instid0(VALU_DEP_1) | instskip(NEXT) | instid1(VALU_DEP_1)
	v_cmp_le_i32_e64 s6, s9, v20
	s_and_saveexec_b32 s21, s6
	s_delay_alu instid0(SALU_CYCLE_1)
	s_xor_b32 s6, exec_lo, s21
	s_cbranch_execz .LBB122_47
; %bb.46:
	v_mul_u32_u24_e32 v21, 33, v20
	v_mov_b32_e32 v20, 0
	s_delay_alu instid0(VALU_DEP_2) | instskip(NEXT) | instid1(VALU_DEP_2)
	v_add_lshl_u32 v25, v21, v4, 4
	v_mov_b32_e32 v21, v20
	v_mov_b32_e32 v22, v20
	;; [unrolled: 1-line block ×3, first 2 shown]
	ds_store_b128 v25, v[20:23]
.LBB122_47:
	s_and_not1_saveexec_b32 s21, s6
	s_cbranch_execz .LBB122_49
; %bb.48:
	s_lshl_b64 s[22:23], s[24:25], 7
	v_add_nc_u32_e32 v25, 0x1080, v19
	v_add_co_u32 v20, s6, v5, s22
	s_delay_alu instid0(VALU_DEP_1)
	v_add_co_ci_u32_e64 v21, s6, s23, v6, s6
	global_load_b128 v[20:23], v[20:21], off
	s_waitcnt vmcnt(0)
	ds_store_2addr_b64 v25, v[20:21], v[22:23] offset1:1
.LBB122_49:
	s_or_b32 exec_lo, exec_lo, s21
	v_add_nc_u32_e32 v20, 16, v11
	s_delay_alu instid0(VALU_DEP_1) | instskip(NEXT) | instid1(VALU_DEP_1)
	v_cmp_le_i32_e64 s6, s9, v20
	s_and_saveexec_b32 s21, s6
	s_delay_alu instid0(SALU_CYCLE_1)
	s_xor_b32 s6, exec_lo, s21
	s_cbranch_execz .LBB122_51
; %bb.50:
	v_mov_b32_e32 v20, 0
	s_delay_alu instid0(VALU_DEP_1)
	v_mov_b32_e32 v21, v20
	v_mov_b32_e32 v22, v20
	;; [unrolled: 1-line block ×3, first 2 shown]
	ds_store_b128 v19, v[20:23] offset:8448
.LBB122_51:
	s_and_not1_saveexec_b32 s21, s6
	s_cbranch_execz .LBB122_53
; %bb.52:
	s_lshl_b64 s[22:23], s[24:25], 8
	v_add_nc_u32_e32 v25, 0x2100, v19
	v_add_co_u32 v20, s6, v5, s22
	s_delay_alu instid0(VALU_DEP_1)
	v_add_co_ci_u32_e64 v21, s6, s23, v6, s6
	global_load_b128 v[20:23], v[20:21], off
	s_waitcnt vmcnt(0)
	ds_store_2addr_b64 v25, v[20:21], v[22:23] offset1:1
.LBB122_53:
	s_or_b32 exec_lo, exec_lo, s21
	v_add_nc_u32_e32 v20, 24, v11
	s_delay_alu instid0(VALU_DEP_1) | instskip(NEXT) | instid1(VALU_DEP_1)
	v_cmp_le_i32_e64 s6, s9, v20
	s_and_saveexec_b32 s9, s6
	s_delay_alu instid0(SALU_CYCLE_1)
	s_xor_b32 s6, exec_lo, s9
	s_cbranch_execz .LBB122_55
; %bb.54:
	v_mov_b32_e32 v20, 0
	s_delay_alu instid0(VALU_DEP_1)
	v_mov_b32_e32 v21, v20
	v_mov_b32_e32 v22, v20
	;; [unrolled: 1-line block ×3, first 2 shown]
	ds_store_b128 v19, v[20:23] offset:12672
                                        ; implicit-def: $vgpr19
.LBB122_55:
	s_and_not1_saveexec_b32 s6, s6
	s_cbranch_execz .LBB122_57
; %bb.56:
	v_mad_u64_u32 v[20:21], null, 0x180, s24, v[5:6]
	v_add_nc_u32_e32 v19, 0x3180, v19
	s_delay_alu instid0(VALU_DEP_2) | instskip(NEXT) | instid1(VALU_DEP_1)
	v_mad_u64_u32 v[22:23], null, 0x180, s25, v[21:22]
	v_mov_b32_e32 v21, v22
	global_load_b128 v[20:23], v[20:21], off
	s_waitcnt vmcnt(0)
	ds_store_2addr_b64 v19, v[20:21], v[22:23] offset1:1
.LBB122_57:
	s_or_b32 exec_lo, exec_lo, s6
	v_add_co_u32 v5, s6, v5, v13
	s_delay_alu instid0(VALU_DEP_1) | instskip(NEXT) | instid1(VALU_DEP_2)
	v_add_co_ci_u32_e64 v6, s6, 0, v6, s6
	v_sub_co_u32 v5, s6, v5, s16
	s_delay_alu instid0(VALU_DEP_1) | instskip(NEXT) | instid1(VALU_DEP_2)
	v_subrev_co_ci_u32_e64 v6, s6, s17, v6, s6
	v_add_co_u32 v5, s6, 0x210, v5
	s_delay_alu instid0(VALU_DEP_1) | instskip(NEXT) | instid1(VALU_DEP_1)
	v_add_co_ci_u32_e64 v6, s6, 0, v6, s6
	v_dual_cndmask_b32 v5, v5, v7 :: v_dual_cndmask_b32 v6, v6, v8
	s_branch .LBB122_60
.LBB122_58:
                                        ; implicit-def: $vgpr5_vgpr6
	s_cbranch_execz .LBB122_60
; %bb.59:
	v_mad_u64_u32 v[5:6], null, 0x180, s24, v[9:10]
	s_lshl_b64 s[16:17], s[24:25], 7
	s_delay_alu instid0(SALU_CYCLE_1) | instskip(SKIP_1) | instid1(VALU_DEP_3)
	v_add_co_u32 v9, vcc_lo, v9, s16
	v_add_co_ci_u32_e32 v10, vcc_lo, s17, v10, vcc_lo
	v_mad_u64_u32 v[19:20], null, 0x180, s25, v[6:7]
	s_delay_alu instid0(VALU_DEP_3) | instskip(NEXT) | instid1(VALU_DEP_3)
	v_add_co_u32 v29, vcc_lo, v9, s16
	v_add_co_ci_u32_e32 v30, vcc_lo, s17, v10, vcc_lo
	s_delay_alu instid0(VALU_DEP_3)
	v_mov_b32_e32 v6, v19
	s_clause 0x3
	global_load_b128 v[19:22], v[7:8], off
	global_load_b128 v[25:28], v[9:10], off offset:512
	global_load_b128 v[29:32], v[29:30], off offset:512
	;; [unrolled: 1-line block ×3, first 2 shown]
	v_add_lshl_u32 v9, v12, v4, 4
	v_dual_mov_b32 v5, v7 :: v_dual_mov_b32 v6, v8
	s_delay_alu instid0(VALU_DEP_2)
	v_add_nc_u32_e32 v23, 0x2100, v9
	v_add_nc_u32_e32 v10, 0x1080, v9
	;; [unrolled: 1-line block ×3, first 2 shown]
	s_waitcnt vmcnt(3)
	ds_store_2addr_b64 v9, v[19:20], v[21:22] offset1:1
	s_waitcnt vmcnt(2)
	ds_store_2addr_b64 v10, v[25:26], v[27:28] offset1:1
	;; [unrolled: 2-line block ×4, first 2 shown]
.LBB122_60:
	s_waitcnt lgkmcnt(0)
	s_barrier
	buffer_gl0_inv
	s_and_saveexec_b32 s6, s2
	s_cbranch_execnz .LBB122_85
; %bb.61:
	s_or_b32 exec_lo, exec_lo, s6
	s_and_saveexec_b32 s2, s3
	s_cbranch_execnz .LBB122_86
.LBB122_62:
	s_or_b32 exec_lo, exec_lo, s2
	s_and_saveexec_b32 s2, s4
	s_cbranch_execnz .LBB122_87
.LBB122_63:
	s_or_b32 exec_lo, exec_lo, s2
	v_add_nc_u32_e32 v25, 0x4700, v18
	s_and_saveexec_b32 s2, s5
	s_cbranch_execz .LBB122_65
.LBB122_64:
	ds_load_b128 v[7:10], v16
	s_waitcnt lgkmcnt(0)
	ds_store_b128 v17, v[7:10] offset:48
.LBB122_65:
	s_or_b32 exec_lo, exec_lo, s2
	s_waitcnt lgkmcnt(0)
	s_barrier
	buffer_gl0_inv
	ds_load_b128 v[7:10], v25 offset:512
	ds_load_b128 v[17:20], v15
	v_cmp_eq_u32_e64 s2, 1, v11
	s_waitcnt lgkmcnt(0)
	v_mul_f64 v[34:35], v[9:10], v[19:20]
	v_mul_f64 v[40:41], v[7:8], v[19:20]
	ds_load_b128 v[19:22], v24
	ds_load_b128 v[26:29], v25 offset:528
	ds_load_b128 v[30:33], v25 offset:544
	s_waitcnt lgkmcnt(1)
	v_mul_f64 v[49:50], v[28:29], v[21:22]
	v_mul_f64 v[21:22], v[26:27], v[21:22]
	v_fma_f64 v[34:35], v[7:8], v[17:18], -v[34:35]
	v_fma_f64 v[17:18], v[9:10], v[17:18], v[40:41]
	ds_load_b128 v[7:10], v24 offset:528
	ds_load_b128 v[45:48], v16
	s_waitcnt lgkmcnt(1)
	v_mul_f64 v[40:41], v[32:33], v[9:10]
	v_mul_f64 v[9:10], v[30:31], v[9:10]
	v_fma_f64 v[26:27], v[26:27], v[19:20], -v[49:50]
	v_fma_f64 v[21:22], v[28:29], v[19:20], v[21:22]
	v_add_f64 v[28:29], v[34:35], 0
	v_add_f64 v[34:35], v[17:18], 0
	ds_load_b128 v[17:20], v25 offset:560
	s_waitcnt lgkmcnt(0)
	s_barrier
	buffer_gl0_inv
	v_fma_f64 v[30:31], v[30:31], v[7:8], -v[40:41]
	v_mul_f64 v[49:50], v[19:20], v[47:48]
	v_mul_f64 v[47:48], v[17:18], v[47:48]
	v_fma_f64 v[7:8], v[32:33], v[7:8], v[9:10]
	v_add_f64 v[9:10], v[28:29], v[26:27]
	v_add_f64 v[21:22], v[34:35], v[21:22]
	v_fma_f64 v[17:18], v[17:18], v[45:46], -v[49:50]
	v_fma_f64 v[19:20], v[19:20], v[45:46], v[47:48]
	s_delay_alu instid0(VALU_DEP_4) | instskip(NEXT) | instid1(VALU_DEP_4)
	v_add_f64 v[9:10], v[9:10], v[30:31]
	v_add_f64 v[21:22], v[21:22], v[7:8]
	s_delay_alu instid0(VALU_DEP_2) | instskip(NEXT) | instid1(VALU_DEP_2)
	v_add_f64 v[7:8], v[9:10], v[17:18]
	v_add_f64 v[9:10], v[21:22], v[19:20]
	ds_store_b128 v44, v[7:10]
	s_waitcnt lgkmcnt(0)
	s_barrier
	buffer_gl0_inv
	s_and_saveexec_b32 s3, s2
	s_cbranch_execz .LBB122_67
; %bb.66:
	ds_load_b128 v[0:3], v43
	ds_load_b128 v[7:10], v43 offset:16
	s_waitcnt lgkmcnt(0)
	v_add_f64 v[17:18], v[7:8], v[0:1]
	v_add_f64 v[19:20], v[9:10], v[2:3]
	ds_load_b128 v[0:3], v43 offset:32
	ds_load_b128 v[7:10], v43 offset:48
	s_waitcnt lgkmcnt(1)
	v_add_f64 v[0:1], v[17:18], v[0:1]
	v_add_f64 v[2:3], v[19:20], v[2:3]
	s_waitcnt lgkmcnt(0)
	s_delay_alu instid0(VALU_DEP_2) | instskip(NEXT) | instid1(VALU_DEP_2)
	v_add_f64 v[17:18], v[0:1], v[7:8]
	v_add_f64 v[19:20], v[2:3], v[9:10]
	ds_load_b128 v[0:3], v43 offset:64
	ds_load_b128 v[7:10], v43 offset:80
	s_waitcnt lgkmcnt(1)
	v_add_f64 v[0:1], v[17:18], v[0:1]
	v_add_f64 v[2:3], v[19:20], v[2:3]
	s_waitcnt lgkmcnt(0)
	s_delay_alu instid0(VALU_DEP_2) | instskip(NEXT) | instid1(VALU_DEP_2)
	v_add_f64 v[17:18], v[0:1], v[7:8]
	v_add_f64 v[19:20], v[2:3], v[9:10]
	ds_load_b128 v[0:3], v43 offset:96
	ds_load_b128 v[7:10], v43 offset:112
	s_waitcnt lgkmcnt(1)
	v_add_f64 v[0:1], v[17:18], v[0:1]
	v_add_f64 v[2:3], v[19:20], v[2:3]
	s_waitcnt lgkmcnt(0)
	s_delay_alu instid0(VALU_DEP_2) | instskip(NEXT) | instid1(VALU_DEP_2)
	v_add_f64 v[0:1], v[0:1], v[7:8]
	v_add_f64 v[2:3], v[2:3], v[9:10]
.LBB122_67:
	s_or_b32 exec_lo, exec_lo, s3
	v_add_co_u32 v7, vcc_lo, 0xfffffe00, v5
	v_add_co_ci_u32_e32 v8, vcc_lo, -1, v6, vcc_lo
	s_and_b32 vcc_lo, exec_lo, s20
	s_barrier
	buffer_gl0_inv
	s_cbranch_vccz .LBB122_88
; %bb.68:
	v_sub_co_u32 v9, vcc_lo, v5, v13
	s_ashr_i32 s9, s8, 31
	v_subrev_co_ci_u32_e32 v10, vcc_lo, 0, v6, vcc_lo
	s_lshl_b64 s[4:5], s[8:9], 4
	s_sub_i32 s6, s8, 32
	v_add_co_u32 v9, vcc_lo, v9, s4
	s_delay_alu instid0(VALU_DEP_2) | instskip(SKIP_1) | instid1(VALU_DEP_3)
	v_add_co_ci_u32_e32 v10, vcc_lo, s5, v10, vcc_lo
	v_cmp_le_i32_e64 s3, s6, v11
	v_add_co_u32 v9, vcc_lo, 0xfffffdf0, v9
	s_delay_alu instid0(VALU_DEP_3) | instskip(SKIP_2) | instid1(VALU_DEP_3)
	v_add_co_ci_u32_e32 v10, vcc_lo, -1, v10, vcc_lo
	v_cmp_gt_i32_e32 vcc_lo, s8, v4
	v_add_lshl_u32 v20, v12, v4, 4
	v_dual_cndmask_b32 v10, v10, v8 :: v_dual_cndmask_b32 v9, v9, v7
	s_and_saveexec_b32 s9, s3
	s_delay_alu instid0(SALU_CYCLE_1)
	s_xor_b32 s3, exec_lo, s9
	s_cbranch_execz .LBB122_70
; %bb.69:
	v_mov_b32_e32 v26, 0
	s_delay_alu instid0(VALU_DEP_1)
	v_mov_b32_e32 v27, v26
	v_mov_b32_e32 v28, v26
	;; [unrolled: 1-line block ×3, first 2 shown]
	ds_store_b128 v20, v[26:29]
.LBB122_70:
	s_and_not1_saveexec_b32 s3, s3
	s_cbranch_execz .LBB122_72
; %bb.71:
	global_load_b128 v[26:29], v[9:10], off
	s_waitcnt vmcnt(0)
	ds_store_2addr_b64 v20, v[26:27], v[28:29] offset1:1
.LBB122_72:
	s_or_b32 exec_lo, exec_lo, s3
	v_add_nc_u32_e32 v17, 8, v11
	s_delay_alu instid0(VALU_DEP_1) | instskip(NEXT) | instid1(VALU_DEP_1)
	v_cmp_le_i32_e64 s3, s6, v17
	s_and_saveexec_b32 s9, s3
	s_delay_alu instid0(SALU_CYCLE_1)
	s_xor_b32 s3, exec_lo, s9
	s_cbranch_execz .LBB122_74
; %bb.73:
	v_mul_u32_u24_e32 v18, 33, v17
	v_mov_b32_e32 v26, 0
	s_delay_alu instid0(VALU_DEP_2) | instskip(NEXT) | instid1(VALU_DEP_2)
	v_add_lshl_u32 v18, v18, v4, 4
	v_mov_b32_e32 v27, v26
	v_mov_b32_e32 v28, v26
	;; [unrolled: 1-line block ×3, first 2 shown]
	ds_store_b128 v18, v[26:29]
.LBB122_74:
	s_and_not1_saveexec_b32 s9, s3
	s_cbranch_execz .LBB122_76
; %bb.75:
	s_lshl_b64 s[16:17], s[24:25], 7
	s_delay_alu instid0(SALU_CYCLE_1) | instskip(NEXT) | instid1(VALU_DEP_1)
	v_add_co_u32 v18, s3, v9, s16
	v_add_co_ci_u32_e64 v19, s3, s17, v10, s3
	global_load_b128 v[26:29], v[18:19], off
	v_add_nc_u32_e32 v18, 0x1080, v20
	s_waitcnt vmcnt(0)
	ds_store_2addr_b64 v18, v[26:27], v[28:29] offset1:1
.LBB122_76:
	s_or_b32 exec_lo, exec_lo, s9
	v_add_nc_u32_e32 v18, 16, v11
	s_delay_alu instid0(VALU_DEP_1) | instskip(NEXT) | instid1(VALU_DEP_1)
	v_cmp_le_i32_e64 s3, s6, v18
	s_and_saveexec_b32 s9, s3
	s_delay_alu instid0(SALU_CYCLE_1)
	s_xor_b32 s3, exec_lo, s9
	s_cbranch_execz .LBB122_78
; %bb.77:
	v_mov_b32_e32 v26, 0
	s_delay_alu instid0(VALU_DEP_1)
	v_mov_b32_e32 v27, v26
	v_mov_b32_e32 v28, v26
	;; [unrolled: 1-line block ×3, first 2 shown]
	ds_store_b128 v20, v[26:29] offset:8448
.LBB122_78:
	s_and_not1_saveexec_b32 s9, s3
	s_cbranch_execz .LBB122_80
; %bb.79:
	s_lshl_b64 s[16:17], s[24:25], 8
	v_add_nc_u32_e32 v19, 0x2100, v20
	v_add_co_u32 v21, s3, v9, s16
	s_delay_alu instid0(VALU_DEP_1)
	v_add_co_ci_u32_e64 v22, s3, s17, v10, s3
	global_load_b128 v[26:29], v[21:22], off
	s_waitcnt vmcnt(0)
	ds_store_2addr_b64 v19, v[26:27], v[28:29] offset1:1
.LBB122_80:
	s_or_b32 exec_lo, exec_lo, s9
	v_add_nc_u32_e32 v19, 24, v11
	s_delay_alu instid0(VALU_DEP_1) | instskip(NEXT) | instid1(VALU_DEP_1)
	v_cmp_le_i32_e64 s3, s6, v19
	s_and_saveexec_b32 s6, s3
	s_delay_alu instid0(SALU_CYCLE_1)
	s_xor_b32 s3, exec_lo, s6
	s_cbranch_execz .LBB122_82
; %bb.81:
	v_mov_b32_e32 v26, 0
	s_delay_alu instid0(VALU_DEP_1)
	v_mov_b32_e32 v27, v26
	v_mov_b32_e32 v28, v26
	v_mov_b32_e32 v29, v26
	ds_store_b128 v20, v[26:29] offset:12672
                                        ; implicit-def: $vgpr20
.LBB122_82:
	s_and_not1_saveexec_b32 s3, s3
	s_cbranch_execz .LBB122_84
; %bb.83:
	v_mad_u64_u32 v[21:22], null, 0x180, s24, v[9:10]
	v_add_nc_u32_e32 v20, 0x3180, v20
	s_delay_alu instid0(VALU_DEP_2) | instskip(NEXT) | instid1(VALU_DEP_1)
	v_mad_u64_u32 v[26:27], null, 0x180, s25, v[22:23]
	v_mov_b32_e32 v22, v26
	global_load_b128 v[26:29], v[21:22], off
	s_waitcnt vmcnt(0)
	ds_store_2addr_b64 v20, v[26:27], v[28:29] offset1:1
.LBB122_84:
	s_or_b32 exec_lo, exec_lo, s3
	v_add_co_u32 v9, s3, v9, v13
	s_delay_alu instid0(VALU_DEP_1) | instskip(NEXT) | instid1(VALU_DEP_2)
	v_add_co_ci_u32_e64 v10, s3, 0, v10, s3
	v_sub_co_u32 v9, s3, v9, s4
	s_delay_alu instid0(VALU_DEP_1) | instskip(NEXT) | instid1(VALU_DEP_2)
	v_subrev_co_ci_u32_e64 v10, s3, s5, v10, s3
	v_add_co_u32 v9, s3, v9, 16
	s_delay_alu instid0(VALU_DEP_1) | instskip(NEXT) | instid1(VALU_DEP_1)
	v_add_co_ci_u32_e64 v10, s3, 0, v10, s3
	v_dual_cndmask_b32 v40, v9, v7 :: v_dual_cndmask_b32 v41, v10, v8
	s_branch .LBB122_90
.LBB122_85:
	ds_load_b128 v[7:10], v15
	s_waitcnt lgkmcnt(0)
	ds_store_b128 v17, v[7:10]
	s_or_b32 exec_lo, exec_lo, s6
	s_and_saveexec_b32 s2, s3
	s_cbranch_execz .LBB122_62
.LBB122_86:
	ds_load_b128 v[7:10], v24
	s_waitcnt lgkmcnt(0)
	ds_store_b128 v17, v[7:10] offset:16
	s_or_b32 exec_lo, exec_lo, s2
	s_and_saveexec_b32 s2, s4
	s_cbranch_execz .LBB122_63
.LBB122_87:
	v_add_nc_u32_e32 v7, 0x210, v24
	ds_load_b128 v[7:10], v7
	s_waitcnt lgkmcnt(0)
	ds_store_b128 v17, v[7:10] offset:32
	s_or_b32 exec_lo, exec_lo, s2
	v_add_nc_u32_e32 v25, 0x4700, v18
	s_and_saveexec_b32 s2, s5
	s_cbranch_execnz .LBB122_64
	s_branch .LBB122_65
.LBB122_88:
                                        ; implicit-def: $vgpr40_vgpr41
                                        ; implicit-def: $vgpr17
                                        ; implicit-def: $vgpr18
                                        ; implicit-def: $vgpr19
	s_cbranch_execz .LBB122_90
; %bb.89:
	v_mad_u64_u32 v[9:10], null, 0x180, s24, v[5:6]
	s_lshl_b64 s[4:5], s[24:25], 7
	v_add_lshl_u32 v4, v12, v4, 4
	v_add_co_u32 v5, vcc_lo, v5, s4
	v_add_co_ci_u32_e32 v6, vcc_lo, s5, v6, vcc_lo
	s_delay_alu instid0(VALU_DEP_4) | instskip(NEXT) | instid1(VALU_DEP_3)
	v_mad_u64_u32 v[17:18], null, 0x180, s25, v[10:11]
	v_add_co_u32 v18, vcc_lo, v5, s4
	s_delay_alu instid0(VALU_DEP_3) | instskip(SKIP_1) | instid1(VALU_DEP_4)
	v_add_co_ci_u32_e32 v19, vcc_lo, s5, v6, vcc_lo
	v_dual_mov_b32 v41, v8 :: v_dual_mov_b32 v40, v7
	v_dual_mov_b32 v10, v17 :: v_dual_add_nc_u32 v17, 8, v11
	s_clause 0x3
	global_load_b128 v[20:23], v[7:8], off
	global_load_b128 v[26:29], v[5:6], off offset:-512
	global_load_b128 v[30:33], v[18:19], off offset:-512
	;; [unrolled: 1-line block ×3, first 2 shown]
	v_add_nc_u32_e32 v18, 16, v11
	v_add_nc_u32_e32 v5, 0x1080, v4
	;; [unrolled: 1-line block ×5, first 2 shown]
	s_waitcnt vmcnt(3)
	ds_store_2addr_b64 v4, v[20:21], v[22:23] offset1:1
	s_waitcnt vmcnt(2)
	ds_store_2addr_b64 v5, v[26:27], v[28:29] offset1:1
	;; [unrolled: 2-line block ×4, first 2 shown]
.LBB122_90:
	v_lshlrev_b32_e32 v4, 4, v11
	s_waitcnt lgkmcnt(0)
	s_barrier
	buffer_gl0_inv
	v_add_lshl_u32 v12, v17, v14, 4
	ds_load_b128 v[8:11], v4 offset:18176
	ds_load_b128 v[20:23], v44
	ds_load_b128 v[4:7], v24 offset:528
	ds_load_b128 v[26:29], v12
	s_waitcnt lgkmcnt(2)
	v_mul_f64 v[34:35], v[22:23], v[10:11]
	v_mul_f64 v[45:46], v[20:21], v[10:11]
	v_lshlrev_b32_e32 v10, 4, v17
	v_add_lshl_u32 v17, v18, v14, 4
	v_add_lshl_u32 v14, v19, v14, 4
	ds_load_b128 v[10:13], v10 offset:18176
	ds_load_b128 v[30:33], v17
	v_lshlrev_b32_e32 v17, 4, v18
	v_fma_f64 v[34:35], v[20:21], v[8:9], -v[34:35]
	v_fma_f64 v[8:9], v[22:23], v[8:9], v[45:46]
	ds_load_b128 v[45:48], v14
	s_waitcnt lgkmcnt(2)
	v_mul_f64 v[49:50], v[28:29], v[12:13]
	v_mul_f64 v[12:13], v[26:27], v[12:13]
	ds_load_b128 v[20:23], v17 offset:18176
	s_waitcnt lgkmcnt(0)
	v_mul_f64 v[17:18], v[32:33], v[22:23]
	v_mul_f64 v[22:23], v[30:31], v[22:23]
	v_add_f64 v[34:35], v[34:35], 0
	v_add_f64 v[51:52], v[8:9], 0
	v_lshlrev_b32_e32 v8, 4, v19
	v_fma_f64 v[49:50], v[26:27], v[10:11], -v[49:50]
	v_fma_f64 v[12:13], v[28:29], v[10:11], v[12:13]
	ds_load_b128 v[26:29], v8 offset:18176
	ds_load_b128 v[8:11], v16
	v_fma_f64 v[16:17], v[30:31], v[20:21], -v[17:18]
	s_waitcnt lgkmcnt(1)
	v_mul_f64 v[53:54], v[47:48], v[28:29]
	v_mul_f64 v[28:29], v[45:46], v[28:29]
	v_fma_f64 v[18:19], v[32:33], v[20:21], v[22:23]
	v_add_f64 v[20:21], v[34:35], v[49:50]
	v_add_f64 v[12:13], v[51:52], v[12:13]
	v_fma_f64 v[22:23], v[45:46], v[26:27], -v[53:54]
	v_fma_f64 v[26:27], v[47:48], v[26:27], v[28:29]
	s_delay_alu instid0(VALU_DEP_4) | instskip(NEXT) | instid1(VALU_DEP_4)
	v_add_f64 v[16:17], v[20:21], v[16:17]
	v_add_f64 v[12:13], v[12:13], v[18:19]
	s_delay_alu instid0(VALU_DEP_2) | instskip(NEXT) | instid1(VALU_DEP_2)
	v_add_f64 v[45:46], v[16:17], v[22:23]
	v_add_f64 v[47:48], v[12:13], v[26:27]
	ds_load_b128 v[20:23], v25 offset:528
	ds_load_b128 v[16:19], v25 offset:544
	;; [unrolled: 1-line block ×3, first 2 shown]
	ds_load_b128 v[32:35], v15
	ds_load_b128 v[12:15], v25 offset:560
	ds_load_b128 v[24:27], v24
	s_waitcnt lgkmcnt(0)
	s_barrier
	buffer_gl0_inv
	ds_store_b128 v44, v[45:48]
	s_waitcnt lgkmcnt(0)
	s_barrier
	buffer_gl0_inv
	s_and_saveexec_b32 s3, s2
	s_cbranch_execz .LBB122_92
; %bb.91:
	ds_load_b128 v[45:48], v43
	ds_load_b128 v[49:52], v43 offset:16
	s_waitcnt lgkmcnt(1)
	v_add_f64 v[0:1], v[0:1], v[45:46]
	v_add_f64 v[2:3], v[2:3], v[47:48]
	s_waitcnt lgkmcnt(0)
	s_delay_alu instid0(VALU_DEP_2) | instskip(NEXT) | instid1(VALU_DEP_2)
	v_add_f64 v[49:50], v[0:1], v[49:50]
	v_add_f64 v[51:52], v[2:3], v[51:52]
	ds_load_b128 v[0:3], v43 offset:32
	ds_load_b128 v[45:48], v43 offset:48
	s_waitcnt lgkmcnt(1)
	v_add_f64 v[0:1], v[49:50], v[0:1]
	v_add_f64 v[2:3], v[51:52], v[2:3]
	s_waitcnt lgkmcnt(0)
	s_delay_alu instid0(VALU_DEP_2) | instskip(NEXT) | instid1(VALU_DEP_2)
	v_add_f64 v[49:50], v[0:1], v[45:46]
	v_add_f64 v[51:52], v[2:3], v[47:48]
	ds_load_b128 v[0:3], v43 offset:64
	;; [unrolled: 9-line block ×3, first 2 shown]
	ds_load_b128 v[45:48], v43 offset:112
	s_waitcnt lgkmcnt(1)
	v_add_f64 v[0:1], v[49:50], v[0:1]
	v_add_f64 v[2:3], v[51:52], v[2:3]
	s_waitcnt lgkmcnt(0)
	s_delay_alu instid0(VALU_DEP_2) | instskip(NEXT) | instid1(VALU_DEP_2)
	v_add_f64 v[0:1], v[0:1], v[45:46]
	v_add_f64 v[2:3], v[2:3], v[47:48]
.LBB122_92:
	s_or_b32 exec_lo, exec_lo, s3
	v_mul_f64 v[45:46], v[30:31], v[34:35]
	v_mul_f64 v[34:35], v[28:29], v[34:35]
	;; [unrolled: 1-line block ×4, first 2 shown]
	s_barrier
	buffer_gl0_inv
	v_fma_f64 v[28:29], v[28:29], v[32:33], -v[45:46]
	v_fma_f64 v[30:31], v[30:31], v[32:33], v[34:35]
	v_mul_f64 v[32:33], v[18:19], v[6:7]
	v_mul_f64 v[6:7], v[16:17], v[6:7]
	v_fma_f64 v[20:21], v[20:21], v[24:25], -v[47:48]
	v_fma_f64 v[22:23], v[22:23], v[24:25], v[26:27]
	v_add_f64 v[24:25], v[28:29], 0
	v_add_f64 v[26:27], v[30:31], 0
	v_mul_f64 v[28:29], v[14:15], v[10:11]
	v_mul_f64 v[10:11], v[12:13], v[10:11]
	v_fma_f64 v[16:17], v[16:17], v[4:5], -v[32:33]
	v_fma_f64 v[4:5], v[18:19], v[4:5], v[6:7]
	v_add_f64 v[6:7], v[24:25], v[20:21]
	v_add_f64 v[18:19], v[26:27], v[22:23]
	v_fma_f64 v[12:13], v[12:13], v[8:9], -v[28:29]
	v_fma_f64 v[8:9], v[14:15], v[8:9], v[10:11]
	s_delay_alu instid0(VALU_DEP_4) | instskip(NEXT) | instid1(VALU_DEP_4)
	v_add_f64 v[6:7], v[6:7], v[16:17]
	v_add_f64 v[10:11], v[18:19], v[4:5]
	s_delay_alu instid0(VALU_DEP_2) | instskip(NEXT) | instid1(VALU_DEP_2)
	v_add_f64 v[4:5], v[6:7], v[12:13]
	v_add_f64 v[6:7], v[10:11], v[8:9]
	ds_store_b128 v44, v[4:7]
	s_waitcnt lgkmcnt(0)
	s_barrier
	buffer_gl0_inv
	s_and_saveexec_b32 s2, s1
	s_cbranch_execz .LBB122_94
; %bb.93:
	ds_load_b128 v[4:7], v43
	ds_load_b128 v[8:11], v43 offset:16
	s_waitcnt lgkmcnt(1)
	v_add_f64 v[0:1], v[0:1], v[4:5]
	v_add_f64 v[2:3], v[2:3], v[6:7]
	s_waitcnt lgkmcnt(0)
	s_delay_alu instid0(VALU_DEP_2) | instskip(NEXT) | instid1(VALU_DEP_2)
	v_add_f64 v[8:9], v[0:1], v[8:9]
	v_add_f64 v[10:11], v[2:3], v[10:11]
	ds_load_b128 v[0:3], v43 offset:32
	ds_load_b128 v[4:7], v43 offset:48
	s_waitcnt lgkmcnt(1)
	v_add_f64 v[0:1], v[8:9], v[0:1]
	v_add_f64 v[2:3], v[10:11], v[2:3]
	s_waitcnt lgkmcnt(0)
	s_delay_alu instid0(VALU_DEP_2) | instskip(NEXT) | instid1(VALU_DEP_2)
	v_add_f64 v[8:9], v[0:1], v[4:5]
	v_add_f64 v[10:11], v[2:3], v[6:7]
	ds_load_b128 v[0:3], v43 offset:64
	;; [unrolled: 9-line block ×3, first 2 shown]
	ds_load_b128 v[4:7], v43 offset:112
	s_waitcnt lgkmcnt(1)
	v_add_f64 v[0:1], v[8:9], v[0:1]
	v_add_f64 v[2:3], v[10:11], v[2:3]
	s_waitcnt lgkmcnt(0)
	s_delay_alu instid0(VALU_DEP_2) | instskip(NEXT) | instid1(VALU_DEP_2)
	v_add_f64 v[0:1], v[0:1], v[4:5]
	v_add_f64 v[2:3], v[2:3], v[6:7]
.LBB122_94:
	s_or_b32 exec_lo, exec_lo, s2
	s_mul_hi_u32 s1, s33, s15
	s_mul_i32 s28, s28, s15
	s_mul_i32 s2, s33, s15
	s_add_i32 s1, s1, s28
	s_mul_hi_u32 s3, s2, s7
	s_mul_i32 s1, s1, s7
	s_mul_i32 s2, s2, s7
	s_add_i32 s3, s3, s1
	s_mul_hi_i32 s5, s33, s14
	s_lshl_b64 s[2:3], s[2:3], 4
	s_mul_i32 s4, s33, s14
	s_add_u32 s1, s12, s2
	s_addc_u32 s9, s13, s3
	s_lshl_b64 s[2:3], s[4:5], 4
	v_lshlrev_b32_e32 v185, 4, v183
	s_add_u32 s6, s1, s2
	s_addc_u32 s9, s9, s3
	s_add_i32 s1, s14, 1
	s_delay_alu instid0(SALU_CYCLE_1)
	s_cmp_ge_u32 s1, s7
	s_barrier
	buffer_gl0_inv
	s_cbranch_scc1 .LBB122_152
; %bb.95:
	scratch_load_b32 v7, off, off offset:4  ; 4-byte Folded Reload
	v_and_b32_e32 v9, 48, v183
	v_lshrrev_b32_e32 v11, 4, v42
	v_and_b32_e32 v10, 15, v183
	v_or_b32_e32 v5, 0xf0, v185
	s_mul_i32 s1, s10, s37
	v_lshlrev_b32_e32 v4, 4, v9
	v_lshlrev_b32_e32 v6, 6, v11
	s_mul_hi_u32 s2, s10, s36
	s_mul_i32 s3, s11, s36
	s_add_i32 s1, s2, s1
	v_mad_u32_u24 v191, 0x430, v10, v4
	v_mad_u32_u24 v4, 0x430, v10, v5
	;; [unrolled: 1-line block ×3, first 2 shown]
	s_add_i32 s3, s1, s3
	s_mul_i32 s2, s10, s36
	v_mul_i32_i24_e32 v16, 0xffffffd0, v11
	scratch_store_b32 off, v4, off          ; 4-byte Folded Spill
	s_lshl_b64 s[2:3], s[2:3], 4
	v_cmp_gt_u32_e64 s1, 64, v42
	v_sub_co_u32 v187, vcc_lo, v38, s2
	v_subrev_co_ci_u32_e32 v188, vcc_lo, s3, v39, vcc_lo
	v_add_nc_u32_e32 v244, v193, v16
	s_add_i32 s11, s7, -2
	s_add_i32 s10, s10, 64
	s_lshl_b64 s[4:5], s[24:25], 10
	s_waitcnt vmcnt(0)
	v_lshlrev_b32_e32 v15, 6, v7
	v_lshlrev_b32_e32 v186, 2, v7
	v_mad_u32_u24 v198, 0x10c0, v7, v185
	s_delay_alu instid0(VALU_DEP_3) | instskip(NEXT) | instid1(VALU_DEP_1)
	v_add_nc_u32_e32 v8, 0x200, v15
	v_mad_u64_u32 v[5:6], null, s24, v8, 0
	s_delay_alu instid0(VALU_DEP_1) | instskip(SKIP_1) | instid1(VALU_DEP_3)
	v_mov_b32_e32 v4, v6
	v_or_b32_e32 v211, v9, v10
	v_sub_co_u32 v10, vcc_lo, v5, v36
	s_delay_alu instid0(VALU_DEP_3)
	v_mad_u64_u32 v[6:7], null, s25, v8, v[4:5]
	v_mov_b32_e32 v4, 0
	v_add_nc_u32_e32 v12, 0x530, v15
	v_add_nc_u32_e32 v13, 0x220, v15
	v_add_nc_u32_e32 v17, 0x520, v15
	v_add_nc_u32_e32 v18, 0x210, v15
	v_add_nc_u32_e32 v19, 0x300, v15
	v_mad_u64_u32 v[7:8], null, s24, v12, 0
	v_mov_b32_e32 v9, v6
	v_add_nc_u32_e32 v197, 0x4300, v15
	v_add_nc_u32_e32 v20, 0x330, v15
	v_or_b32_e32 v189, 1, v186
	v_or_b32_e32 v192, 2, v186
	v_sub_co_ci_u32_e32 v11, vcc_lo, v9, v37, vcc_lo
	v_mov_b32_e32 v6, v8
	v_or_b32_e32 v196, 3, v186
	s_delay_alu instid0(VALU_DEP_2) | instskip(SKIP_3) | instid1(VALU_DEP_3)
	v_mad_u64_u32 v[8:9], null, s25, v12, v[6:7]
	v_add_co_u32 v9, vcc_lo, v40, v10
	v_add_co_ci_u32_e32 v10, vcc_lo, v41, v11, vcc_lo
	v_mad_u64_u32 v[5:6], null, s24, v13, 0
	v_add_co_u32 v212, vcc_lo, v9, 8
	s_delay_alu instid0(VALU_DEP_3) | instskip(SKIP_3) | instid1(VALU_DEP_3)
	v_add_co_ci_u32_e32 v213, vcc_lo, 0, v10, vcc_lo
	v_dual_mov_b32 v10, v8 :: v_dual_add_nc_u32 v253, 16, v186
	v_mad_u64_u32 v[8:9], null, s24, v17, 0
	v_sub_co_u32 v7, vcc_lo, v7, v36
	v_sub_co_ci_u32_e32 v14, vcc_lo, v10, v37, vcc_lo
	v_add_nc_u32_e32 v255, 18, v186
	s_delay_alu instid0(VALU_DEP_3) | instskip(SKIP_4) | instid1(VALU_DEP_4)
	v_mad_u64_u32 v[10:11], null, s25, v13, v[6:7]
	v_mov_b32_e32 v6, v9
	v_mad_u64_u32 v[11:12], null, s24, v18, 0
	v_add_co_u32 v214, vcc_lo, v40, v7
	v_add_co_ci_u32_e32 v215, vcc_lo, v41, v14, vcc_lo
	v_mad_u64_u32 v[13:14], null, s25, v17, v[6:7]
	v_mov_b32_e32 v7, v10
	v_dual_mov_b32 v6, v12 :: v_dual_add_nc_u32 v203, 32, v186
	v_sub_co_u32 v12, vcc_lo, v5, v36
	s_delay_alu instid0(VALU_DEP_3) | instskip(SKIP_1) | instid1(VALU_DEP_3)
	v_sub_co_ci_u32_e32 v7, vcc_lo, v7, v37, vcc_lo
	v_add_nc_u32_e32 v14, 0x510, v15
	v_add_co_u32 v216, vcc_lo, v40, v12
	s_delay_alu instid0(VALU_DEP_3) | instskip(NEXT) | instid1(VALU_DEP_3)
	v_mad_u64_u32 v[9:10], null, s25, v18, v[6:7]
	v_mad_u64_u32 v[5:6], null, s24, v14, 0
	v_add_co_ci_u32_e32 v217, vcc_lo, v41, v7, vcc_lo
	v_sub_co_u32 v10, vcc_lo, v8, v36
	s_delay_alu instid0(VALU_DEP_4) | instskip(SKIP_3) | instid1(VALU_DEP_4)
	v_mov_b32_e32 v7, v9
	v_sub_co_ci_u32_e32 v12, vcc_lo, v13, v37, vcc_lo
	v_add_nc_u32_e32 v13, 0x230, v15
	v_sub_co_u32 v11, vcc_lo, v11, v36
	v_sub_co_ci_u32_e32 v17, vcc_lo, v7, v37, vcc_lo
	v_mad_u64_u32 v[7:8], null, s25, v14, v[6:7]
	s_delay_alu instid0(VALU_DEP_4)
	v_mad_u64_u32 v[8:9], null, s24, v13, 0
	v_add_co_u32 v218, vcc_lo, v40, v10
	v_add_co_ci_u32_e32 v219, vcc_lo, v41, v12, vcc_lo
	v_add_co_u32 v12, vcc_lo, v40, v11
	v_add_co_ci_u32_e32 v14, vcc_lo, v41, v17, vcc_lo
	v_sub_co_u32 v17, vcc_lo, v5, v36
	v_dual_mov_b32 v6, v9 :: v_dual_add_nc_u32 v205, 34, v186
	v_sub_co_ci_u32_e32 v7, vcc_lo, v7, v37, vcc_lo
	v_add_nc_u32_e32 v18, 0x500, v15
	v_add_co_u32 v220, vcc_lo, v12, 8
	s_delay_alu instid0(VALU_DEP_3) | instskip(SKIP_1) | instid1(VALU_DEP_4)
	v_mad_u64_u32 v[9:10], null, s25, v13, v[6:7]
	v_mad_u64_u32 v[10:11], null, s24, v19, 0
	;; [unrolled: 1-line block ×3, first 2 shown]
	v_add_co_ci_u32_e32 v221, vcc_lo, 0, v14, vcc_lo
	v_add_co_u32 v222, vcc_lo, v40, v17
	v_add_nc_u32_e32 v190, 0x4700, v185
	v_add_co_ci_u32_e32 v223, vcc_lo, v41, v7, vcc_lo
	v_mov_b32_e32 v7, v11
	v_sub_co_u32 v13, vcc_lo, v8, v36
	v_sub_co_ci_u32_e32 v14, vcc_lo, v9, v37, vcc_lo
	s_delay_alu instid0(VALU_DEP_3) | instskip(NEXT) | instid1(VALU_DEP_3)
	v_mad_u64_u32 v[8:9], null, s25, v18, v[6:7]
	v_add_co_u32 v6, vcc_lo, v40, v13
	v_add_nc_u32_e32 v9, 0x430, v15
	v_add_nc_u32_e32 v17, 0x320, v15
	s_delay_alu instid0(VALU_DEP_4) | instskip(SKIP_2) | instid1(VALU_DEP_2)
	v_mad_u64_u32 v[11:12], null, s25, v19, v[7:8]
	v_add_co_ci_u32_e32 v7, vcc_lo, v41, v14, vcc_lo
	v_add_co_u32 v224, vcc_lo, v6, 8
	v_add_co_ci_u32_e32 v225, vcc_lo, 0, v7, vcc_lo
	v_mad_u64_u32 v[6:7], null, s24, v9, 0
	v_sub_co_u32 v12, vcc_lo, v5, v36
	v_sub_co_ci_u32_e32 v13, vcc_lo, v8, v37, vcc_lo
	v_sub_co_u32 v8, vcc_lo, v10, v36
	v_sub_co_ci_u32_e32 v10, vcc_lo, v11, v37, vcc_lo
	v_mov_b32_e32 v5, v7
	s_delay_alu instid0(VALU_DEP_3) | instskip(SKIP_1) | instid1(VALU_DEP_4)
	v_add_co_u32 v14, vcc_lo, v40, v8
	v_add_nc_u32_e32 v11, 0x310, v15
	v_add_co_ci_u32_e32 v10, vcc_lo, v41, v10, vcc_lo
	s_delay_alu instid0(VALU_DEP_4)
	v_mad_u64_u32 v[7:8], null, s25, v9, v[5:6]
	v_add_co_u32 v226, vcc_lo, v40, v12
	v_add_co_ci_u32_e32 v227, vcc_lo, v41, v13, vcc_lo
	v_mad_u64_u32 v[8:9], null, s24, v11, 0
	v_add_co_u32 v228, vcc_lo, v14, 8
	v_add_nc_u32_e32 v14, 0x420, v15
	v_add_co_ci_u32_e32 v229, vcc_lo, 0, v10, vcc_lo
	v_sub_co_u32 v12, vcc_lo, v6, v36
	v_sub_co_ci_u32_e32 v13, vcc_lo, v7, v37, vcc_lo
	s_delay_alu instid0(VALU_DEP_4) | instskip(SKIP_1) | instid1(VALU_DEP_4)
	v_mad_u64_u32 v[6:7], null, s24, v14, 0
	v_dual_mov_b32 v5, v9 :: v_dual_add_nc_u32 v254, 17, v186
	v_add_co_u32 v230, vcc_lo, v40, v12
	s_delay_alu instid0(VALU_DEP_4) | instskip(NEXT) | instid1(VALU_DEP_3)
	v_add_co_ci_u32_e32 v231, vcc_lo, v41, v13, vcc_lo
	v_mad_u64_u32 v[9:10], null, s25, v11, v[5:6]
	v_mov_b32_e32 v5, v7
	v_mad_u64_u32 v[10:11], null, s24, v17, 0
	v_add_nc_u32_e32 v184, 19, v186
	v_sub_co_u32 v8, vcc_lo, v8, v36
	v_dual_mov_b32 v7, v9 :: v_dual_add_nc_u32 v204, 33, v186
	v_mad_u64_u32 v[12:13], null, s25, v14, v[5:6]
	v_mov_b32_e32 v5, v11
	s_delay_alu instid0(VALU_DEP_3) | instskip(SKIP_2) | instid1(VALU_DEP_3)
	v_sub_co_ci_u32_e32 v7, vcc_lo, v7, v37, vcc_lo
	v_add_nc_u32_e32 v14, 0x410, v15
	v_add_co_u32 v11, vcc_lo, v40, v8
	v_add_co_ci_u32_e32 v13, vcc_lo, v41, v7, vcc_lo
	v_mad_u64_u32 v[7:8], null, s25, v17, v[5:6]
	s_delay_alu instid0(VALU_DEP_4) | instskip(NEXT) | instid1(VALU_DEP_4)
	v_mad_u64_u32 v[8:9], null, s24, v14, 0
	v_add_co_u32 v232, vcc_lo, v11, 8
	s_delay_alu instid0(VALU_DEP_4)
	v_add_co_ci_u32_e32 v233, vcc_lo, 0, v13, vcc_lo
	v_add_nc_u32_e32 v206, 35, v186
	v_add_nc_u32_e32 v207, 48, v186
	v_sub_co_u32 v13, vcc_lo, v6, v36
	v_dual_mov_b32 v6, v7 :: v_dual_mov_b32 v5, v9
	v_add_nc_u32_e32 v15, 0x400, v15
	v_sub_co_ci_u32_e32 v17, vcc_lo, v12, v37, vcc_lo
	v_sub_co_u32 v18, vcc_lo, v10, v36
	s_delay_alu instid0(VALU_DEP_4)
	v_sub_co_ci_u32_e32 v19, vcc_lo, v6, v37, vcc_lo
	v_mad_u64_u32 v[6:7], null, s25, v14, v[5:6]
	v_mad_u64_u32 v[9:10], null, s24, v20, 0
	;; [unrolled: 1-line block ×3, first 2 shown]
	v_add_co_u32 v234, vcc_lo, v40, v13
	v_add_co_ci_u32_e32 v235, vcc_lo, v41, v17, vcc_lo
	s_delay_alu instid0(VALU_DEP_4)
	v_dual_mov_b32 v5, v10 :: v_dual_add_nc_u32 v208, 49, v186
	v_add_nc_u32_e32 v209, 50, v186
	v_add_co_u32 v14, vcc_lo, v40, v18
	v_dual_mov_b32 v7, v6 :: v_dual_mov_b32 v6, v12
	v_add_co_ci_u32_e32 v17, vcc_lo, v41, v19, vcc_lo
	v_sub_co_u32 v10, vcc_lo, v8, v36
	s_delay_alu instid0(VALU_DEP_3) | instskip(NEXT) | instid1(VALU_DEP_4)
	v_sub_co_ci_u32_e32 v18, vcc_lo, v7, v37, vcc_lo
	v_mad_u64_u32 v[7:8], null, s25, v20, v[5:6]
	v_add_co_u32 v236, vcc_lo, v14, 8
	v_add_co_ci_u32_e32 v237, vcc_lo, 0, v17, vcc_lo
	v_add_nc_u32_e32 v210, 51, v186
	v_add_co_u32 v238, vcc_lo, v40, v10
	v_mov_b32_e32 v5, v7
	v_mad_u64_u32 v[12:13], null, s25, v15, v[6:7]
	v_add_co_ci_u32_e32 v239, vcc_lo, v41, v18, vcc_lo
	v_sub_co_u32 v7, vcc_lo, v9, v36
	s_delay_alu instid0(VALU_DEP_4) | instskip(NEXT) | instid1(VALU_DEP_4)
	v_sub_co_ci_u32_e32 v5, vcc_lo, v5, v37, vcc_lo
	v_mov_b32_e32 v6, v12
	v_sub_co_u32 v8, vcc_lo, v11, v36
	s_delay_alu instid0(VALU_DEP_2) | instskip(SKIP_2) | instid1(VALU_DEP_4)
	v_sub_co_ci_u32_e32 v6, vcc_lo, v6, v37, vcc_lo
	v_add_co_u32 v7, vcc_lo, v40, v7
	v_add_co_ci_u32_e32 v5, vcc_lo, v41, v5, vcc_lo
	v_add_co_u32 v8, vcc_lo, v40, v8
	s_delay_alu instid0(VALU_DEP_4) | instskip(NEXT) | instid1(VALU_DEP_4)
	v_add_co_ci_u32_e32 v6, vcc_lo, v41, v6, vcc_lo
	v_add_co_u32 v240, vcc_lo, v7, 8
	s_delay_alu instid0(VALU_DEP_4) | instskip(NEXT) | instid1(VALU_DEP_4)
	v_add_co_ci_u32_e32 v241, vcc_lo, 0, v5, vcc_lo
	v_add_co_u32 v242, vcc_lo, v8, 8
	s_delay_alu instid0(VALU_DEP_4)
	v_add_co_ci_u32_e32 v243, vcc_lo, 0, v6, vcc_lo
	s_cmp_eq_u32 s11, s14
	s_cselect_b32 s12, s18, 0
	s_and_saveexec_b32 s2, s0
	s_cbranch_execz .LBB122_100
.LBB122_96:
	v_cmp_le_i32_e32 vcc_lo, s12, v183
	s_cmp_lg_u32 s12, 0
	s_cselect_b32 s3, -1, 0
	s_delay_alu instid0(SALU_CYCLE_1) | instskip(NEXT) | instid1(SALU_CYCLE_1)
	s_and_b32 s3, s3, vcc_lo
	s_and_saveexec_b32 s13, s3
	s_delay_alu instid0(SALU_CYCLE_1)
	s_xor_b32 s3, exec_lo, s13
	s_cbranch_execz .LBB122_98
; %bb.97:
	v_dual_mov_b32 v5, v4 :: v_dual_add_nc_u32 v8, 0x4300, v185
	v_mov_b32_e32 v6, v4
	v_mov_b32_e32 v7, v4
	ds_store_b128 v8, v[4:7]
.LBB122_98:
	s_and_not1_saveexec_b32 s3, s3
	s_cbranch_execz .LBB122_100
; %bb.99:
	s_mul_i32 s3, s10, s37
	s_mul_hi_u32 s13, s10, s36
	s_ashr_i32 s15, s10, 31
	s_add_i32 s3, s13, s3
	s_mul_i32 s15, s15, s36
	s_mul_i32 s16, s10, s36
	s_add_i32 s17, s3, s15
	v_add_nc_u32_e32 v9, 0x4300, v185
	s_lshl_b64 s[16:17], s[16:17], 4
	s_delay_alu instid0(SALU_CYCLE_1)
	v_add_co_u32 v5, vcc_lo, v187, s16
	v_add_co_ci_u32_e32 v6, vcc_lo, s17, v188, vcc_lo
	global_load_b128 v[5:8], v[5:6], off
	s_waitcnt vmcnt(0)
	ds_store_2addr_b64 v9, v[5:6], v[7:8] offset1:1
.LBB122_100:                            ; =>This Inner Loop Header: Depth=1
	s_or_b32 exec_lo, exec_lo, s2
	s_cmp_eq_u32 s12, 0
	v_add_co_u32 v17, vcc_lo, v212, v185
	s_cselect_b32 s13, -1, 0
	s_cmp_lg_u32 s12, 0
	v_add_co_ci_u32_e32 v18, vcc_lo, 0, v213, vcc_lo
	s_cselect_b32 s15, -1, 0
	s_waitcnt lgkmcnt(0)
	s_waitcnt_vscnt null, 0x0
	s_and_b32 vcc_lo, exec_lo, s15
	s_barrier
	buffer_gl0_inv
	s_cbranch_vccz .LBB122_108
; %bb.101:                              ;   in Loop: Header=BB122_100 Depth=1
	v_mov_b32_e32 v5, 0
	v_mov_b32_e32 v6, 0
	s_mov_b32 s2, exec_lo
	s_delay_alu instid0(VALU_DEP_1)
	v_dual_mov_b32 v10, v6 :: v_dual_mov_b32 v9, v5
	v_dual_mov_b32 v12, v6 :: v_dual_mov_b32 v11, v5
	v_cmpx_gt_i32_e64 s12, v186
	s_cbranch_execz .LBB122_103
; %bb.102:                              ;   in Loop: Header=BB122_100 Depth=1
	global_load_b128 v[9:12], v[17:18], off offset:-8
.LBB122_103:                            ;   in Loop: Header=BB122_100 Depth=1
	s_or_b32 exec_lo, exec_lo, s2
	v_dual_mov_b32 v8, v6 :: v_dual_mov_b32 v7, v5
	s_mov_b32 s2, exec_lo
	v_cmpx_gt_i32_e64 s12, v189
	s_cbranch_execz .LBB122_105
; %bb.104:                              ;   in Loop: Header=BB122_100 Depth=1
	v_add_co_u32 v5, vcc_lo, v220, v185
	v_add_co_ci_u32_e32 v6, vcc_lo, 0, v221, vcc_lo
	global_load_b128 v[5:8], v[5:6], off offset:-8
.LBB122_105:                            ;   in Loop: Header=BB122_100 Depth=1
	s_or_b32 exec_lo, exec_lo, s2
	v_mov_b32_e32 v13, 0
	v_mov_b32_e32 v14, 0
	s_mov_b64 s[2:3], 0
	s_mov_b32 s16, exec_lo
	s_delay_alu instid0(VALU_DEP_1)
	v_dual_mov_b32 v16, v14 :: v_dual_mov_b32 v15, v13
	v_cmpx_gt_i32_e64 s12, v192
	s_cbranch_execz .LBB122_107
; %bb.106:                              ;   in Loop: Header=BB122_100 Depth=1
	v_add_co_u32 v13, vcc_lo, v216, v185
	v_add_co_ci_u32_e32 v14, vcc_lo, 0, v217, vcc_lo
	global_load_b128 v[13:16], v[13:14], off
.LBB122_107:                            ;   in Loop: Header=BB122_100 Depth=1
	s_or_b32 exec_lo, exec_lo, s16
	v_cmp_gt_i32_e64 s16, s12, v196
	s_branch .LBB122_110
.LBB122_108:                            ;   in Loop: Header=BB122_100 Depth=1
	s_mov_b32 s16, 0
                                        ; implicit-def: $sgpr2_sgpr3
                                        ; implicit-def: $vgpr15_vgpr16
                                        ; implicit-def: $vgpr7_vgpr8
                                        ; implicit-def: $vgpr11_vgpr12
	s_cbranch_execz .LBB122_110
; %bb.109:                              ;   in Loop: Header=BB122_100 Depth=1
	s_waitcnt vmcnt(0)
	v_add_co_u32 v5, vcc_lo, v220, v185
	v_add_co_ci_u32_e32 v6, vcc_lo, 0, v221, vcc_lo
	v_add_co_u32 v13, vcc_lo, v216, v185
	v_add_co_ci_u32_e32 v14, vcc_lo, 0, v217, vcc_lo
	global_load_b128 v[9:12], v[17:18], off offset:-8
	global_load_b128 v[5:8], v[5:6], off offset:-8
	global_load_b128 v[13:16], v[13:14], off
	s_or_b32 s16, s16, exec_lo
                                        ; implicit-def: $sgpr2_sgpr3
.LBB122_110:                            ;   in Loop: Header=BB122_100 Depth=1
	v_dual_mov_b32 v18, s3 :: v_dual_mov_b32 v17, s2
	v_dual_mov_b32 v20, s3 :: v_dual_mov_b32 v19, s2
	s_delay_alu instid0(VALU_DEP_3)
	s_and_saveexec_b32 s2, s16
	s_cbranch_execz .LBB122_112
; %bb.111:                              ;   in Loop: Header=BB122_100 Depth=1
	v_add_co_u32 v17, vcc_lo, v224, v185
	v_add_co_ci_u32_e32 v18, vcc_lo, 0, v225, vcc_lo
	global_load_b128 v[17:20], v[17:18], off offset:-8
.LBB122_112:                            ;   in Loop: Header=BB122_100 Depth=1
	s_or_b32 exec_lo, exec_lo, s2
	ds_load_b128 v[25:28], v190
	ds_load_b128 v[21:24], v197
	v_add_co_u32 v49, vcc_lo, v228, v185
	v_cndmask_b32_e64 v117, 0, 1, s15
	v_add_co_ci_u32_e32 v50, vcc_lo, 0, v229, vcc_lo
	s_and_not1_b32 vcc_lo, exec_lo, s15
	s_waitcnt vmcnt(0) lgkmcnt(1)
	v_mul_f64 v[29:30], v[11:12], v[27:28]
	v_mul_f64 v[31:32], v[9:10], v[27:28]
	;; [unrolled: 1-line block ×8, first 2 shown]
	v_fma_f64 v[27:28], v[9:10], v[25:26], -v[29:30]
	v_fma_f64 v[29:30], v[11:12], v[25:26], v[31:32]
	v_fma_f64 v[37:38], v[5:6], v[25:26], -v[33:34]
	v_fma_f64 v[39:40], v[7:8], v[25:26], v[35:36]
	;; [unrolled: 2-line block ×4, first 2 shown]
	ds_store_b128 v198, v[27:30]
	ds_load_b128 v[33:36], v197 offset:16
	ds_store_b128 v198, v[37:40] offset:1072
	ds_load_b128 v[29:32], v197 offset:32
	ds_store_b128 v198, v[41:44] offset:2144
	;; [unrolled: 2-line block ×3, first 2 shown]
	s_waitcnt lgkmcnt(0)
	s_barrier
	buffer_gl0_inv
	ds_load_b128 v[93:96], v193
	ds_load_b128 v[89:92], v193 offset:16
	ds_load_b128 v[81:84], v193 offset:32
	;; [unrolled: 1-line block ×3, first 2 shown]
	s_waitcnt lgkmcnt(0)
	s_barrier
	buffer_gl0_inv
	s_cbranch_vccnz .LBB122_120
; %bb.113:                              ;   in Loop: Header=BB122_100 Depth=1
	v_mov_b32_e32 v37, 0
	v_mov_b32_e32 v38, 0
	s_mov_b32 s2, exec_lo
	s_delay_alu instid0(VALU_DEP_1)
	v_dual_mov_b32 v42, v38 :: v_dual_mov_b32 v41, v37
	v_dual_mov_b32 v44, v38 :: v_dual_mov_b32 v43, v37
	v_cmpx_gt_i32_e64 s12, v253
	s_cbranch_execz .LBB122_115
; %bb.114:                              ;   in Loop: Header=BB122_100 Depth=1
	global_load_b128 v[41:44], v[49:50], off offset:-8
.LBB122_115:                            ;   in Loop: Header=BB122_100 Depth=1
	s_or_b32 exec_lo, exec_lo, s2
	v_dual_mov_b32 v40, v38 :: v_dual_mov_b32 v39, v37
	s_mov_b32 s2, exec_lo
	v_cmpx_gt_i32_e64 s12, v254
	s_cbranch_execz .LBB122_117
; %bb.116:                              ;   in Loop: Header=BB122_100 Depth=1
	v_add_co_u32 v37, vcc_lo, v232, v185
	v_add_co_ci_u32_e32 v38, vcc_lo, 0, v233, vcc_lo
	global_load_b128 v[37:40], v[37:38], off offset:-8
.LBB122_117:                            ;   in Loop: Header=BB122_100 Depth=1
	s_or_b32 exec_lo, exec_lo, s2
	v_mov_b32_e32 v45, 0
	v_mov_b32_e32 v46, 0
	s_mov_b64 s[2:3], 0
	s_mov_b32 s15, exec_lo
	s_delay_alu instid0(VALU_DEP_1)
	v_dual_mov_b32 v48, v46 :: v_dual_mov_b32 v47, v45
	v_cmpx_gt_i32_e64 s12, v255
	s_cbranch_execz .LBB122_119
; %bb.118:                              ;   in Loop: Header=BB122_100 Depth=1
	v_add_co_u32 v45, vcc_lo, v236, v185
	v_add_co_ci_u32_e32 v46, vcc_lo, 0, v237, vcc_lo
	global_load_b128 v[45:48], v[45:46], off offset:-8
.LBB122_119:                            ;   in Loop: Header=BB122_100 Depth=1
	s_or_b32 exec_lo, exec_lo, s15
	v_cmp_gt_i32_e64 s15, s12, v184
	s_branch .LBB122_122
.LBB122_120:                            ;   in Loop: Header=BB122_100 Depth=1
	s_mov_b32 s15, 0
                                        ; implicit-def: $sgpr2_sgpr3
                                        ; implicit-def: $vgpr47_vgpr48
                                        ; implicit-def: $vgpr39_vgpr40
                                        ; implicit-def: $vgpr43_vgpr44
	s_cbranch_execz .LBB122_122
; %bb.121:                              ;   in Loop: Header=BB122_100 Depth=1
	s_waitcnt vmcnt(0)
	v_add_co_u32 v37, vcc_lo, v232, v185
	v_add_co_ci_u32_e32 v38, vcc_lo, 0, v233, vcc_lo
	v_add_co_u32 v45, vcc_lo, v236, v185
	v_add_co_ci_u32_e32 v46, vcc_lo, 0, v237, vcc_lo
	global_load_b128 v[41:44], v[49:50], off offset:-8
	global_load_b128 v[37:40], v[37:38], off offset:-8
	global_load_b128 v[45:48], v[45:46], off offset:-8
	s_or_b32 s15, s15, exec_lo
                                        ; implicit-def: $sgpr2_sgpr3
.LBB122_122:                            ;   in Loop: Header=BB122_100 Depth=1
	v_dual_mov_b32 v50, s3 :: v_dual_mov_b32 v49, s2
	v_dual_mov_b32 v52, s3 :: v_dual_mov_b32 v51, s2
	s_delay_alu instid0(VALU_DEP_3)
	s_and_saveexec_b32 s2, s15
	s_cbranch_execz .LBB122_124
; %bb.123:                              ;   in Loop: Header=BB122_100 Depth=1
	v_add_co_u32 v49, vcc_lo, v240, v185
	v_add_co_ci_u32_e32 v50, vcc_lo, 0, v241, vcc_lo
	global_load_b128 v[49:52], v[49:50], off offset:-8
.LBB122_124:                            ;   in Loop: Header=BB122_100 Depth=1
	s_or_b32 exec_lo, exec_lo, s2
	ds_load_b128 v[57:60], v190
	ds_load_b128 v[53:56], v197 offset:256
	v_cmp_ne_u32_e32 vcc_lo, 1, v117
	v_add_co_u32 v97, s2, v242, v185
	s_delay_alu instid0(VALU_DEP_1)
	v_add_co_ci_u32_e64 v98, s2, 0, v243, s2
	s_and_b32 vcc_lo, exec_lo, vcc_lo
	s_waitcnt vmcnt(0) lgkmcnt(1)
	v_mul_f64 v[61:62], v[43:44], v[59:60]
	v_mul_f64 v[63:64], v[41:42], v[59:60]
	;; [unrolled: 1-line block ×8, first 2 shown]
	v_fma_f64 v[59:60], v[41:42], v[57:58], -v[61:62]
	v_fma_f64 v[61:62], v[43:44], v[57:58], v[63:64]
	v_fma_f64 v[69:70], v[37:38], v[57:58], -v[65:66]
	v_fma_f64 v[71:72], v[39:40], v[57:58], v[67:68]
	;; [unrolled: 2-line block ×4, first 2 shown]
	ds_store_b128 v198, v[59:62]
	ds_load_b128 v[65:68], v197 offset:272
	ds_store_b128 v198, v[69:72] offset:1072
	ds_load_b128 v[61:64], v197 offset:288
	ds_store_b128 v198, v[73:76] offset:2144
	;; [unrolled: 2-line block ×3, first 2 shown]
	s_waitcnt lgkmcnt(0)
	s_barrier
	buffer_gl0_inv
	ds_load_b128 v[141:144], v193
	ds_load_b128 v[137:140], v193 offset:16
	ds_load_b128 v[133:136], v193 offset:32
	;; [unrolled: 1-line block ×3, first 2 shown]
	s_waitcnt lgkmcnt(0)
	s_barrier
	buffer_gl0_inv
	s_cbranch_vccnz .LBB122_132
; %bb.125:                              ;   in Loop: Header=BB122_100 Depth=1
	v_mov_b32_e32 v69, 0
	v_mov_b32_e32 v70, 0
	s_mov_b32 s2, exec_lo
	s_delay_alu instid0(VALU_DEP_1)
	v_dual_mov_b32 v74, v70 :: v_dual_mov_b32 v73, v69
	v_dual_mov_b32 v76, v70 :: v_dual_mov_b32 v75, v69
	v_cmpx_gt_i32_e64 s12, v203
	s_cbranch_execz .LBB122_127
; %bb.126:                              ;   in Loop: Header=BB122_100 Depth=1
	global_load_b128 v[73:76], v[97:98], off offset:-8
.LBB122_127:                            ;   in Loop: Header=BB122_100 Depth=1
	s_or_b32 exec_lo, exec_lo, s2
	v_dual_mov_b32 v72, v70 :: v_dual_mov_b32 v71, v69
	s_mov_b32 s2, exec_lo
	v_cmpx_gt_i32_e64 s12, v204
	s_cbranch_execz .LBB122_129
; %bb.128:                              ;   in Loop: Header=BB122_100 Depth=1
	v_add_co_u32 v69, vcc_lo, v238, v185
	v_add_co_ci_u32_e32 v70, vcc_lo, 0, v239, vcc_lo
	global_load_b128 v[69:72], v[69:70], off
.LBB122_129:                            ;   in Loop: Header=BB122_100 Depth=1
	s_or_b32 exec_lo, exec_lo, s2
	v_mov_b32_e32 v85, 0
	v_mov_b32_e32 v86, 0
	s_mov_b64 s[2:3], 0
	s_mov_b32 s15, exec_lo
	s_delay_alu instid0(VALU_DEP_1)
	v_dual_mov_b32 v88, v86 :: v_dual_mov_b32 v87, v85
	v_cmpx_gt_i32_e64 s12, v205
	s_cbranch_execz .LBB122_131
; %bb.130:                              ;   in Loop: Header=BB122_100 Depth=1
	v_add_co_u32 v85, vcc_lo, v234, v185
	v_add_co_ci_u32_e32 v86, vcc_lo, 0, v235, vcc_lo
	global_load_b128 v[85:88], v[85:86], off
.LBB122_131:                            ;   in Loop: Header=BB122_100 Depth=1
	s_or_b32 exec_lo, exec_lo, s15
	v_cmp_gt_i32_e64 s15, s12, v206
	s_branch .LBB122_134
.LBB122_132:                            ;   in Loop: Header=BB122_100 Depth=1
	s_mov_b32 s15, 0
                                        ; implicit-def: $sgpr2_sgpr3
                                        ; implicit-def: $vgpr87_vgpr88
                                        ; implicit-def: $vgpr71_vgpr72
                                        ; implicit-def: $vgpr75_vgpr76
	s_cbranch_execz .LBB122_134
; %bb.133:                              ;   in Loop: Header=BB122_100 Depth=1
	s_waitcnt vmcnt(0)
	v_add_co_u32 v69, vcc_lo, v238, v185
	v_add_co_ci_u32_e32 v70, vcc_lo, 0, v239, vcc_lo
	v_add_co_u32 v85, vcc_lo, v234, v185
	v_add_co_ci_u32_e32 v86, vcc_lo, 0, v235, vcc_lo
	global_load_b128 v[73:76], v[97:98], off offset:-8
	global_load_b128 v[69:72], v[69:70], off
	global_load_b128 v[85:88], v[85:86], off
	s_or_b32 s15, s15, exec_lo
                                        ; implicit-def: $sgpr2_sgpr3
.LBB122_134:                            ;   in Loop: Header=BB122_100 Depth=1
	v_dual_mov_b32 v98, s3 :: v_dual_mov_b32 v97, s2
	v_dual_mov_b32 v100, s3 :: v_dual_mov_b32 v99, s2
	s_delay_alu instid0(VALU_DEP_3)
	s_and_saveexec_b32 s2, s15
	s_cbranch_execz .LBB122_136
; %bb.135:                              ;   in Loop: Header=BB122_100 Depth=1
	v_add_co_u32 v97, vcc_lo, v230, v185
	v_add_co_ci_u32_e32 v98, vcc_lo, 0, v231, vcc_lo
	global_load_b128 v[97:100], v[97:98], off
.LBB122_136:                            ;   in Loop: Header=BB122_100 Depth=1
	s_or_b32 exec_lo, exec_lo, s2
	ds_load_b128 v[105:108], v190
	ds_load_b128 v[101:104], v197 offset:512
	v_cmp_ne_u32_e32 vcc_lo, 1, v117
	s_and_b32 vcc_lo, exec_lo, vcc_lo
	s_waitcnt vmcnt(0) lgkmcnt(1)
	v_mul_f64 v[109:110], v[75:76], v[107:108]
	v_mul_f64 v[111:112], v[73:74], v[107:108]
	;; [unrolled: 1-line block ×8, first 2 shown]
	v_fma_f64 v[107:108], v[73:74], v[105:106], -v[109:110]
	v_fma_f64 v[109:110], v[75:76], v[105:106], v[111:112]
	v_fma_f64 v[118:119], v[69:70], v[105:106], -v[113:114]
	v_fma_f64 v[120:121], v[71:72], v[105:106], v[115:116]
	;; [unrolled: 2-line block ×4, first 2 shown]
	ds_store_b128 v198, v[107:110]
	ds_load_b128 v[113:116], v197 offset:528
	ds_store_b128 v198, v[118:121] offset:1072
	ds_load_b128 v[109:112], v197 offset:544
	ds_store_b128 v198, v[122:125] offset:2144
	;; [unrolled: 2-line block ×3, first 2 shown]
	s_waitcnt lgkmcnt(0)
	s_barrier
	buffer_gl0_inv
	ds_load_b128 v[177:180], v193
	ds_load_b128 v[173:176], v193 offset:16
	ds_load_b128 v[169:172], v193 offset:32
	ds_load_b128 v[165:168], v193 offset:48
	v_add_co_u32 v145, s2, v226, v185
	s_delay_alu instid0(VALU_DEP_1)
	v_add_co_ci_u32_e64 v146, s2, 0, v227, s2
	s_waitcnt lgkmcnt(0)
	s_barrier
	buffer_gl0_inv
	s_cbranch_vccnz .LBB122_144
; %bb.137:                              ;   in Loop: Header=BB122_100 Depth=1
	v_mov_b32_e32 v117, 0
	v_mov_b32_e32 v118, 0
	s_mov_b32 s2, exec_lo
	s_delay_alu instid0(VALU_DEP_1)
	v_dual_mov_b32 v122, v118 :: v_dual_mov_b32 v121, v117
	v_dual_mov_b32 v124, v118 :: v_dual_mov_b32 v123, v117
	v_cmpx_gt_i32_e64 s12, v207
	s_cbranch_execz .LBB122_139
; %bb.138:                              ;   in Loop: Header=BB122_100 Depth=1
	global_load_b128 v[121:124], v[145:146], off
.LBB122_139:                            ;   in Loop: Header=BB122_100 Depth=1
	s_or_b32 exec_lo, exec_lo, s2
	v_dual_mov_b32 v120, v118 :: v_dual_mov_b32 v119, v117
	s_mov_b32 s2, exec_lo
	v_cmpx_gt_i32_e64 s12, v208
	s_cbranch_execz .LBB122_141
; %bb.140:                              ;   in Loop: Header=BB122_100 Depth=1
	v_add_co_u32 v117, vcc_lo, v222, v185
	v_add_co_ci_u32_e32 v118, vcc_lo, 0, v223, vcc_lo
	global_load_b128 v[117:120], v[117:118], off
.LBB122_141:                            ;   in Loop: Header=BB122_100 Depth=1
	s_or_b32 exec_lo, exec_lo, s2
	v_mov_b32_e32 v125, 0
	v_mov_b32_e32 v126, 0
	s_mov_b64 s[2:3], 0
	s_mov_b32 s15, exec_lo
	s_delay_alu instid0(VALU_DEP_1)
	v_dual_mov_b32 v128, v126 :: v_dual_mov_b32 v127, v125
	v_cmpx_gt_i32_e64 s12, v209
	s_cbranch_execz .LBB122_143
; %bb.142:                              ;   in Loop: Header=BB122_100 Depth=1
	v_add_co_u32 v125, vcc_lo, v218, v185
	v_add_co_ci_u32_e32 v126, vcc_lo, 0, v219, vcc_lo
	global_load_b128 v[125:128], v[125:126], off
.LBB122_143:                            ;   in Loop: Header=BB122_100 Depth=1
	s_or_b32 exec_lo, exec_lo, s15
	v_cmp_gt_i32_e64 s15, s12, v210
	s_branch .LBB122_146
.LBB122_144:                            ;   in Loop: Header=BB122_100 Depth=1
	s_mov_b32 s15, 0
                                        ; implicit-def: $sgpr2_sgpr3
                                        ; implicit-def: $vgpr127_vgpr128
                                        ; implicit-def: $vgpr119_vgpr120
                                        ; implicit-def: $vgpr123_vgpr124
	s_cbranch_execz .LBB122_146
; %bb.145:                              ;   in Loop: Header=BB122_100 Depth=1
	s_waitcnt vmcnt(0)
	v_add_co_u32 v117, vcc_lo, v222, v185
	v_add_co_ci_u32_e32 v118, vcc_lo, 0, v223, vcc_lo
	v_add_co_u32 v125, vcc_lo, v218, v185
	v_add_co_ci_u32_e32 v126, vcc_lo, 0, v219, vcc_lo
	global_load_b128 v[121:124], v[145:146], off
	global_load_b128 v[117:120], v[117:118], off
	;; [unrolled: 1-line block ×3, first 2 shown]
	s_or_b32 s15, s15, exec_lo
                                        ; implicit-def: $sgpr2_sgpr3
.LBB122_146:                            ;   in Loop: Header=BB122_100 Depth=1
	v_dual_mov_b32 v146, s3 :: v_dual_mov_b32 v145, s2
	v_dual_mov_b32 v148, s3 :: v_dual_mov_b32 v147, s2
	s_delay_alu instid0(VALU_DEP_3)
	s_and_saveexec_b32 s2, s15
	s_cbranch_execz .LBB122_148
; %bb.147:                              ;   in Loop: Header=BB122_100 Depth=1
	v_add_co_u32 v145, vcc_lo, v214, v185
	v_add_co_ci_u32_e32 v146, vcc_lo, 0, v215, vcc_lo
	global_load_b128 v[145:148], v[145:146], off
.LBB122_148:                            ;   in Loop: Header=BB122_100 Depth=1
	s_or_b32 exec_lo, exec_lo, s2
	ds_load_b128 v[153:156], v190
	ds_load_b128 v[149:152], v197 offset:768
	v_add_f64 v[141:142], v[141:142], 0
	v_add_f64 v[143:144], v[143:144], 0
	v_add_f64 v[177:178], v[177:178], 0
	v_add_f64 v[179:180], v[179:180], 0
	v_cmp_gt_i32_e32 vcc_lo, s12, v183
	s_or_b32 s2, s13, vcc_lo
	s_delay_alu instid0(SALU_CYCLE_1)
	s_and_b32 s3, s1, s2
	s_waitcnt vmcnt(0) lgkmcnt(1)
	v_mul_f64 v[157:158], v[123:124], v[155:156]
	v_mul_f64 v[159:160], v[121:122], v[155:156]
	;; [unrolled: 1-line block ×8, first 2 shown]
	v_add_f64 v[137:138], v[141:142], v[137:138]
	v_add_f64 v[139:140], v[143:144], v[139:140]
	;; [unrolled: 1-line block ×4, first 2 shown]
	v_fma_f64 v[155:156], v[121:122], v[153:154], -v[157:158]
	v_fma_f64 v[157:158], v[123:124], v[153:154], v[159:160]
	v_fma_f64 v[245:246], v[117:118], v[153:154], -v[161:162]
	v_fma_f64 v[247:248], v[119:120], v[153:154], v[163:164]
	;; [unrolled: 2-line block ×4, first 2 shown]
	v_add_f64 v[181:182], v[93:94], 0
	v_add_f64 v[194:195], v[95:96], 0
	;; [unrolled: 1-line block ×6, first 2 shown]
	ds_store_b128 v198, v[155:158]
	ds_load_b128 v[161:164], v197 offset:784
	ds_store_b128 v198, v[245:248] offset:1072
	ds_load_b128 v[157:160], v197 offset:800
	ds_store_b128 v198, v[249:252] offset:2144
	;; [unrolled: 2-line block ×3, first 2 shown]
	s_waitcnt lgkmcnt(0)
	s_barrier
	buffer_gl0_inv
	ds_load_b128 v[199:202], v193
	ds_load_b128 v[93:96], v193 offset:16
	v_add_f64 v[141:142], v[181:182], v[89:90]
	v_add_f64 v[143:144], v[194:195], v[91:92]
	ds_load_b128 v[89:92], v193 offset:32
	s_waitcnt lgkmcnt(2)
	v_add_f64 v[199:200], v[199:200], 0
	v_add_f64 v[201:202], v[201:202], 0
	;; [unrolled: 1-line block ×4, first 2 shown]
	ds_load_b128 v[81:84], v193 offset:48
	s_waitcnt lgkmcnt(0)
	s_barrier
	buffer_gl0_inv
	v_add_f64 v[93:94], v[199:200], v[93:94]
	v_add_f64 v[95:96], v[201:202], v[95:96]
	;; [unrolled: 1-line block ×4, first 2 shown]
	s_delay_alu instid0(VALU_DEP_4) | instskip(NEXT) | instid1(VALU_DEP_4)
	v_add_f64 v[141:142], v[93:94], v[89:90]
	v_add_f64 v[143:144], v[95:96], v[91:92]
	;; [unrolled: 1-line block ×8, first 2 shown]
	ds_store_b128 v244, v[77:80]
	ds_store_b128 v244, v[93:96] offset:256
	ds_store_b128 v244, v[89:92] offset:512
	;; [unrolled: 1-line block ×3, first 2 shown]
	s_waitcnt lgkmcnt(0)
	s_barrier
	buffer_gl0_inv
	s_and_saveexec_b32 s2, s3
	s_cbranch_execz .LBB122_150
; %bb.149:                              ;   in Loop: Header=BB122_100 Depth=1
	ds_load_b128 v[77:80], v191
	ds_load_b128 v[81:84], v191 offset:16
	s_waitcnt lgkmcnt(0)
	v_add_f64 v[89:90], v[81:82], v[77:78]
	v_add_f64 v[91:92], v[83:84], v[79:80]
	ds_load_b128 v[77:80], v191 offset:32
	ds_load_b128 v[81:84], v191 offset:48
	s_waitcnt lgkmcnt(1)
	v_add_f64 v[77:78], v[89:90], v[77:78]
	v_add_f64 v[79:80], v[91:92], v[79:80]
	s_waitcnt lgkmcnt(0)
	s_delay_alu instid0(VALU_DEP_2) | instskip(NEXT) | instid1(VALU_DEP_2)
	v_add_f64 v[89:90], v[77:78], v[81:82]
	v_add_f64 v[91:92], v[79:80], v[83:84]
	ds_load_b128 v[77:80], v191 offset:64
	ds_load_b128 v[81:84], v191 offset:80
	s_waitcnt lgkmcnt(1)
	v_add_f64 v[77:78], v[89:90], v[77:78]
	v_add_f64 v[79:80], v[91:92], v[79:80]
	s_waitcnt lgkmcnt(0)
	s_delay_alu instid0(VALU_DEP_2) | instskip(NEXT) | instid1(VALU_DEP_2)
	;; [unrolled: 9-line block ×5, first 2 shown]
	v_add_f64 v[89:90], v[77:78], v[81:82]
	v_add_f64 v[91:92], v[79:80], v[83:84]
	ds_load_b128 v[77:80], v191 offset:192
	ds_load_b128 v[81:84], v191 offset:208
	s_waitcnt lgkmcnt(1)
	v_add_f64 v[77:78], v[89:90], v[77:78]
	v_add_f64 v[79:80], v[91:92], v[79:80]
	s_waitcnt lgkmcnt(0)
	s_delay_alu instid0(VALU_DEP_2)
	v_add_f64 v[89:90], v[77:78], v[81:82]
	scratch_load_b32 v81, off, off          ; 4-byte Folded Reload
	v_add_f64 v[91:92], v[79:80], v[83:84]
	ds_load_b128 v[77:80], v191 offset:224
	s_waitcnt vmcnt(0)
	ds_load_b128 v[81:84], v81
	s_waitcnt lgkmcnt(1)
	v_add_f64 v[77:78], v[89:90], v[77:78]
	v_add_f64 v[79:80], v[91:92], v[79:80]
	s_waitcnt lgkmcnt(0)
	s_delay_alu instid0(VALU_DEP_2) | instskip(NEXT) | instid1(VALU_DEP_2)
	v_add_f64 v[77:78], v[77:78], v[81:82]
	v_add_f64 v[79:80], v[79:80], v[83:84]
	v_add_nc_u32_e32 v81, s10, v211
	s_delay_alu instid0(VALU_DEP_1) | instskip(NEXT) | instid1(VALU_DEP_1)
	v_ashrrev_i32_e32 v82, 31, v81
	v_lshlrev_b64 v[81:82], 4, v[81:82]
	s_delay_alu instid0(VALU_DEP_1) | instskip(NEXT) | instid1(VALU_DEP_2)
	v_add_co_u32 v81, vcc_lo, s6, v81
	v_add_co_ci_u32_e32 v82, vcc_lo, s9, v82, vcc_lo
	global_store_b128 v[81:82], v[77:80], off
.LBB122_150:                            ;   in Loop: Header=BB122_100 Depth=1
	s_or_b32 exec_lo, exec_lo, s2
	v_mul_f64 v[77:78], v[11:12], v[23:24]
	v_mul_f64 v[23:24], v[9:10], v[23:24]
	;; [unrolled: 1-line block ×4, first 2 shown]
	v_add_co_u32 v212, vcc_lo, v212, s4
	v_add_co_ci_u32_e32 v213, vcc_lo, s5, v213, vcc_lo
	v_add_co_u32 v214, vcc_lo, v214, s4
	v_add_co_ci_u32_e32 v215, vcc_lo, s5, v215, vcc_lo
	;; [unrolled: 2-line block ×8, first 2 shown]
	v_add_co_u32 v228, vcc_lo, v228, s4
	v_fma_f64 v[9:10], v[9:10], v[21:22], -v[77:78]
	v_fma_f64 v[11:12], v[11:12], v[21:22], v[23:24]
	v_mul_f64 v[21:22], v[15:16], v[31:32]
	v_mul_f64 v[23:24], v[13:14], v[31:32]
	v_fma_f64 v[5:6], v[5:6], v[33:34], -v[79:80]
	v_fma_f64 v[7:8], v[7:8], v[33:34], v[35:36]
	v_add_co_ci_u32_e32 v229, vcc_lo, s5, v229, vcc_lo
	v_add_co_u32 v230, vcc_lo, v230, s4
	v_add_co_ci_u32_e32 v231, vcc_lo, s5, v231, vcc_lo
	v_add_co_u32 v232, vcc_lo, v232, s4
	;; [unrolled: 2-line block ×7, first 2 shown]
	v_add_co_ci_u32_e32 v243, vcc_lo, s5, v243, vcc_lo
	s_add_i32 s3, s14, 2
	s_add_i32 s2, s14, 1
	v_add_f64 v[0:1], v[0:1], v[9:10]
	v_add_f64 v[2:3], v[2:3], v[11:12]
	v_mul_f64 v[9:10], v[19:20], v[27:28]
	v_mul_f64 v[11:12], v[17:18], v[27:28]
	v_fma_f64 v[13:14], v[13:14], v[29:30], -v[21:22]
	v_fma_f64 v[15:16], v[15:16], v[29:30], v[23:24]
	s_add_i32 s10, s10, 64
	s_cmp_ge_u32 s3, s7
	s_waitcnt_vscnt null, 0x0
	s_barrier
	buffer_gl0_inv
	v_add_f64 v[0:1], v[0:1], v[5:6]
	v_add_f64 v[2:3], v[2:3], v[7:8]
	v_mul_f64 v[5:6], v[43:44], v[55:56]
	v_mul_f64 v[7:8], v[41:42], v[55:56]
	v_fma_f64 v[9:10], v[17:18], v[25:26], -v[9:10]
	v_fma_f64 v[11:12], v[19:20], v[25:26], v[11:12]
	v_add_f64 v[0:1], v[0:1], v[13:14]
	v_add_f64 v[2:3], v[2:3], v[15:16]
	v_mul_f64 v[13:14], v[39:40], v[67:68]
	v_mul_f64 v[15:16], v[37:38], v[67:68]
	v_fma_f64 v[5:6], v[41:42], v[53:54], -v[5:6]
	v_fma_f64 v[7:8], v[43:44], v[53:54], v[7:8]
	;; [unrolled: 6-line block ×12, first 2 shown]
	v_add_f64 v[0:1], v[0:1], v[5:6]
	v_add_f64 v[2:3], v[2:3], v[7:8]
	v_fma_f64 v[5:6], v[145:146], v[153:154], -v[9:10]
	v_fma_f64 v[7:8], v[147:148], v[153:154], v[11:12]
	s_delay_alu instid0(VALU_DEP_4) | instskip(NEXT) | instid1(VALU_DEP_4)
	v_add_f64 v[0:1], v[0:1], v[13:14]
	v_add_f64 v[2:3], v[2:3], v[15:16]
	s_delay_alu instid0(VALU_DEP_2) | instskip(NEXT) | instid1(VALU_DEP_2)
	v_add_f64 v[0:1], v[0:1], v[5:6]
	v_add_f64 v[2:3], v[2:3], v[7:8]
	s_cbranch_scc1 .LBB122_152
; %bb.151:                              ;   in Loop: Header=BB122_100 Depth=1
	s_mov_b32 s14, s2
	s_delay_alu instid0(SALU_CYCLE_1)
	s_cmp_eq_u32 s11, s14
	s_cselect_b32 s12, s18, 0
	s_and_saveexec_b32 s2, s0
	s_cbranch_execnz .LBB122_96
	s_branch .LBB122_100
.LBB122_152:
	scratch_load_b32 v4, off, off offset:4  ; 4-byte Folded Reload
	v_cmp_gt_i32_e32 vcc_lo, s8, v183
	s_or_b32 s1, s19, vcc_lo
	s_delay_alu instid0(SALU_CYCLE_1)
	s_and_b32 s0, s0, s1
	s_waitcnt vmcnt(0)
	v_mad_u32_u24 v4, 0x430, v4, v185
	ds_store_b128 v4, v[0:3]
	s_waitcnt lgkmcnt(0)
	s_barrier
	buffer_gl0_inv
	s_and_saveexec_b32 s1, s0
	s_cbranch_execz .LBB122_154
; %bb.153:
	ds_load_b128 v[0:3], v185 offset:1072
	ds_load_b128 v[4:7], v185
	s_waitcnt lgkmcnt(0)
	v_add_f64 v[8:9], v[0:1], v[4:5]
	v_add_f64 v[10:11], v[2:3], v[6:7]
	ds_load_b128 v[0:3], v185 offset:2144
	ds_load_b128 v[4:7], v185 offset:3216
	s_waitcnt lgkmcnt(1)
	v_add_f64 v[0:1], v[8:9], v[0:1]
	v_add_f64 v[2:3], v[10:11], v[2:3]
	s_waitcnt lgkmcnt(0)
	s_delay_alu instid0(VALU_DEP_2) | instskip(SKIP_4) | instid1(VALU_DEP_1)
	v_add_f64 v[0:1], v[0:1], v[4:5]
	scratch_load_b64 v[4:5], off, off offset:8 ; 8-byte Folded Reload
	v_add_f64 v[2:3], v[2:3], v[6:7]
	s_waitcnt vmcnt(0)
	v_lshlrev_b64 v[4:5], 4, v[4:5]
	v_add_co_u32 v4, vcc_lo, s6, v4
	s_delay_alu instid0(VALU_DEP_2)
	v_add_co_ci_u32_e32 v5, vcc_lo, s9, v5, vcc_lo
	global_store_b128 v[4:5], v[0:3], off
.LBB122_154:
	s_nop 0
	s_sendmsg sendmsg(MSG_DEALLOC_VGPRS)
	s_endpgm
	.section	.rodata,"a",@progbits
	.p2align	6, 0x0
	.amdhsa_kernel _ZL26rocblas_hemvn_kernel_upperILb0ELi64ELi4ELi33ELi32ELi16ElPK19rocblas_complex_numIdES3_PS1_EviT6_lT7_lT5_lS6_lS7_lS5_lT8_i
		.amdhsa_group_segment_fixed_size 19200
		.amdhsa_private_segment_fixed_size 20
		.amdhsa_kernarg_size 376
		.amdhsa_user_sgpr_count 14
		.amdhsa_user_sgpr_dispatch_ptr 0
		.amdhsa_user_sgpr_queue_ptr 0
		.amdhsa_user_sgpr_kernarg_segment_ptr 1
		.amdhsa_user_sgpr_dispatch_id 0
		.amdhsa_user_sgpr_private_segment_size 0
		.amdhsa_wavefront_size32 1
		.amdhsa_uses_dynamic_stack 0
		.amdhsa_enable_private_segment 1
		.amdhsa_system_sgpr_workgroup_id_x 1
		.amdhsa_system_sgpr_workgroup_id_y 0
		.amdhsa_system_sgpr_workgroup_id_z 1
		.amdhsa_system_sgpr_workgroup_info 0
		.amdhsa_system_vgpr_workitem_id 1
		.amdhsa_next_free_vgpr 256
		.amdhsa_next_free_sgpr 44
		.amdhsa_reserve_vcc 1
		.amdhsa_float_round_mode_32 0
		.amdhsa_float_round_mode_16_64 0
		.amdhsa_float_denorm_mode_32 3
		.amdhsa_float_denorm_mode_16_64 3
		.amdhsa_dx10_clamp 1
		.amdhsa_ieee_mode 1
		.amdhsa_fp16_overflow 0
		.amdhsa_workgroup_processor_mode 1
		.amdhsa_memory_ordered 1
		.amdhsa_forward_progress 0
		.amdhsa_shared_vgpr_count 0
		.amdhsa_exception_fp_ieee_invalid_op 0
		.amdhsa_exception_fp_denorm_src 0
		.amdhsa_exception_fp_ieee_div_zero 0
		.amdhsa_exception_fp_ieee_overflow 0
		.amdhsa_exception_fp_ieee_underflow 0
		.amdhsa_exception_fp_ieee_inexact 0
		.amdhsa_exception_int_div_zero 0
	.end_amdhsa_kernel
	.section	.text._ZL26rocblas_hemvn_kernel_upperILb0ELi64ELi4ELi33ELi32ELi16ElPK19rocblas_complex_numIdES3_PS1_EviT6_lT7_lT5_lS6_lS7_lS5_lT8_i,"axG",@progbits,_ZL26rocblas_hemvn_kernel_upperILb0ELi64ELi4ELi33ELi32ELi16ElPK19rocblas_complex_numIdES3_PS1_EviT6_lT7_lT5_lS6_lS7_lS5_lT8_i,comdat
.Lfunc_end122:
	.size	_ZL26rocblas_hemvn_kernel_upperILb0ELi64ELi4ELi33ELi32ELi16ElPK19rocblas_complex_numIdES3_PS1_EviT6_lT7_lT5_lS6_lS7_lS5_lT8_i, .Lfunc_end122-_ZL26rocblas_hemvn_kernel_upperILb0ELi64ELi4ELi33ELi32ELi16ElPK19rocblas_complex_numIdES3_PS1_EviT6_lT7_lT5_lS6_lS7_lS5_lT8_i
                                        ; -- End function
	.section	.AMDGPU.csdata,"",@progbits
; Kernel info:
; codeLenInByte = 12368
; NumSgprs: 46
; NumVgprs: 256
; ScratchSize: 20
; MemoryBound: 1
; FloatMode: 240
; IeeeMode: 1
; LDSByteSize: 19200 bytes/workgroup (compile time only)
; SGPRBlocks: 5
; VGPRBlocks: 31
; NumSGPRsForWavesPerEU: 46
; NumVGPRsForWavesPerEU: 256
; Occupancy: 5
; WaveLimiterHint : 0
; COMPUTE_PGM_RSRC2:SCRATCH_EN: 1
; COMPUTE_PGM_RSRC2:USER_SGPR: 14
; COMPUTE_PGM_RSRC2:TRAP_HANDLER: 0
; COMPUTE_PGM_RSRC2:TGID_X_EN: 1
; COMPUTE_PGM_RSRC2:TGID_Y_EN: 0
; COMPUTE_PGM_RSRC2:TGID_Z_EN: 1
; COMPUTE_PGM_RSRC2:TIDIG_COMP_CNT: 1
	.section	.text._ZL26rocblas_hemvn_kernel_upperILb0ELi64ELi4ELi33ELi32ELi16EiPK19rocblas_complex_numIdES3_PS1_EviT6_lT7_lT5_lS6_lS7_lS5_lT8_i,"axG",@progbits,_ZL26rocblas_hemvn_kernel_upperILb0ELi64ELi4ELi33ELi32ELi16EiPK19rocblas_complex_numIdES3_PS1_EviT6_lT7_lT5_lS6_lS7_lS5_lT8_i,comdat
	.globl	_ZL26rocblas_hemvn_kernel_upperILb0ELi64ELi4ELi33ELi32ELi16EiPK19rocblas_complex_numIdES3_PS1_EviT6_lT7_lT5_lS6_lS7_lS5_lT8_i ; -- Begin function _ZL26rocblas_hemvn_kernel_upperILb0ELi64ELi4ELi33ELi32ELi16EiPK19rocblas_complex_numIdES3_PS1_EviT6_lT7_lT5_lS6_lS7_lS5_lT8_i
	.p2align	8
	.type	_ZL26rocblas_hemvn_kernel_upperILb0ELi64ELi4ELi33ELi32ELi16EiPK19rocblas_complex_numIdES3_PS1_EviT6_lT7_lT5_lS6_lS7_lS5_lT8_i,@function
_ZL26rocblas_hemvn_kernel_upperILb0ELi64ELi4ELi33ELi32ELi16EiPK19rocblas_complex_numIdES3_PS1_EviT6_lT7_lT5_lS6_lS7_lS5_lT8_i: ; @_ZL26rocblas_hemvn_kernel_upperILb0ELi64ELi4ELi33ELi32ELi16EiPK19rocblas_complex_numIdES3_PS1_EviT6_lT7_lT5_lS6_lS7_lS5_lT8_i
; %bb.0:
	s_load_b64 s[4:5], s[0:1], 0x84
	s_add_u32 s2, s0, 0x78
	s_addc_u32 s3, s1, 0
	s_waitcnt lgkmcnt(0)
	s_lshr_b32 s6, s4, 16
	s_and_b32 s4, s4, 0xffff
	s_and_b32 s5, s5, 0xffff
	s_mul_i32 s4, s6, s4
	s_delay_alu instid0(SALU_CYCLE_1) | instskip(NEXT) | instid1(SALU_CYCLE_1)
	s_mul_i32 s4, s4, s5
	s_cmpk_lg_i32 s4, 0x100
	s_cbranch_scc1 .LBB123_154
; %bb.1:
	s_load_b256 s[16:23], s[0:1], 0x8
	s_waitcnt lgkmcnt(0)
	s_mul_i32 s5, s15, s19
	s_mul_hi_u32 s6, s15, s18
	s_mul_i32 s4, s15, s18
	s_add_i32 s5, s6, s5
	s_delay_alu instid0(SALU_CYCLE_1) | instskip(NEXT) | instid1(SALU_CYCLE_1)
	s_lshl_b64 s[4:5], s[4:5], 4
	s_add_u32 s4, s16, s4
	s_addc_u32 s5, s17, s5
	s_load_b128 s[4:7], s[4:5], 0x0
	s_waitcnt lgkmcnt(0)
	v_cmp_neq_f64_e64 s12, s[4:5], 0
	v_cmp_neq_f64_e64 s13, s[6:7], 0
	s_load_b256 s[4:11], s[0:1], 0x50
	s_delay_alu instid0(VALU_DEP_1)
	s_or_b32 s12, s12, s13
	s_mov_b32 s13, -1
	s_and_b32 vcc_lo, exec_lo, s12
	s_cbranch_vccnz .LBB123_3
; %bb.2:
	s_waitcnt lgkmcnt(0)
	s_mul_i32 s9, s15, s9
	s_mul_hi_u32 s13, s15, s8
	s_mul_i32 s8, s15, s8
	s_add_i32 s9, s13, s9
	s_delay_alu instid0(SALU_CYCLE_1) | instskip(NEXT) | instid1(SALU_CYCLE_1)
	s_lshl_b64 s[8:9], s[8:9], 4
	s_add_u32 s6, s6, s8
	s_addc_u32 s7, s7, s9
	s_load_b128 s[16:19], s[6:7], 0x0
	s_waitcnt lgkmcnt(0)
	v_cmp_neq_f64_e64 s6, s[16:17], 1.0
	v_cmp_neq_f64_e64 s7, s[18:19], 0
	s_delay_alu instid0(VALU_DEP_1)
	s_or_b32 s13, s6, s7
.LBB123_3:
	s_delay_alu instid0(SALU_CYCLE_1)
	s_and_not1_b32 vcc_lo, exec_lo, s13
	s_cbranch_vccnz .LBB123_154
; %bb.4:
	s_and_not1_b32 vcc_lo, exec_lo, s12
	s_cbranch_vccnz .LBB123_154
; %bb.5:
	s_load_b128 s[16:19], s[0:1], 0x30
	s_waitcnt lgkmcnt(0)
	s_clause 0x1
	s_load_b64 s[8:9], s[0:1], 0x40
	s_load_b32 s7, s[0:1], 0x48
	s_mul_i32 s5, s15, s5
	s_mul_hi_u32 s6, s15, s4
	s_mul_i32 s4, s15, s4
	s_add_i32 s5, s6, s5
	v_and_b32_e32 v170, 0x3ff, v0
	s_lshl_b64 s[4:5], s[4:5], 4
	s_load_b32 s24, s[0:1], 0x0
	s_load_b32 s26, s[2:3], 0x0
	v_bfe_u32 v0, v0, 10, 10
	scratch_store_b32 off, v0, off offset:8 ; 4-byte Folded Spill
	s_add_u32 s6, s18, s4
	s_addc_u32 s12, s19, s5
	s_waitcnt lgkmcnt(0)
	s_lshl_b64 s[4:5], s[8:9], 4
	s_delay_alu instid0(SALU_CYCLE_1) | instskip(SKIP_2) | instid1(SALU_CYCLE_1)
	s_add_u32 s4, s6, s4
	s_addc_u32 s5, s12, s5
	s_lshl_b32 s12, s14, 6
	v_add_nc_u32_e32 v2, s12, v170
	s_ashr_i32 s25, s24, 31
	s_add_i32 s3, s26, -1
	s_lshr_b32 s2, s25, 26
	s_delay_alu instid0(VALU_DEP_1) | instskip(SKIP_1) | instid1(SALU_CYCLE_1)
	v_mov_b32_e32 v1, v2
	s_add_i32 s2, s24, s2
	s_and_not1_b32 s2, s2, 63
	scratch_store_b64 off, v[1:2], off offset:12 ; 8-byte Folded Spill
	v_mul_lo_u32 v1, v2, s7
	s_sub_i32 s27, s24, s2
	v_cmp_eq_u32_e64 s2, 0, v0
	s_cmp_eq_u32 s14, s3
	s_mov_b32 s3, -1
	s_cselect_b32 s8, s27, 0
	s_delay_alu instid0(VALU_DEP_2) | instskip(NEXT) | instid1(VALU_DEP_1)
	v_ashrrev_i32_e32 v2, 31, v1
	v_lshlrev_b64 v[1:2], 4, v[1:2]
	s_delay_alu instid0(VALU_DEP_1) | instskip(NEXT) | instid1(VALU_DEP_2)
	v_add_co_u32 v36, vcc_lo, s4, v1
	v_add_co_ci_u32_e32 v37, vcc_lo, s5, v2, vcc_lo
	s_and_saveexec_b32 s4, s2
	s_cbranch_execz .LBB123_10
; %bb.6:
	v_cmp_le_i32_e32 vcc_lo, s8, v170
	s_cmp_lg_u32 s8, 0
	v_lshl_add_u32 v0, v170, 4, 0x4700
	s_cselect_b32 s5, -1, 0
	s_delay_alu instid0(SALU_CYCLE_1) | instskip(NEXT) | instid1(SALU_CYCLE_1)
	s_and_b32 s5, s5, vcc_lo
	s_and_saveexec_b32 s6, s5
	s_delay_alu instid0(SALU_CYCLE_1)
	s_xor_b32 s5, exec_lo, s6
	s_cbranch_execz .LBB123_8
; %bb.7:
	v_mov_b32_e32 v1, 0
	s_delay_alu instid0(VALU_DEP_1)
	v_mov_b32_e32 v2, v1
	v_mov_b32_e32 v3, v1
	;; [unrolled: 1-line block ×3, first 2 shown]
	ds_store_b128 v0, v[1:4]
                                        ; implicit-def: $vgpr0
.LBB123_8:
	s_and_not1_saveexec_b32 s5, s5
	s_cbranch_execz .LBB123_10
; %bb.9:
	global_load_b128 v[1:4], v[36:37], off
	s_waitcnt vmcnt(0)
	ds_store_2addr_b64 v0, v[1:2], v[3:4] offset1:1
.LBB123_10:
	s_or_b32 exec_lo, exec_lo, s4
	scratch_load_b32 v0, off, off offset:8  ; 4-byte Folded Reload
	s_load_b32 s18, s[0:1], 0x28
	v_and_b32_e32 v4, 31, v170
	s_mul_i32 s1, s15, s17
	s_mul_hi_u32 s4, s15, s16
	s_mul_i32 s0, s15, s16
	s_add_i32 s1, s4, s1
	v_lshlrev_b32_e32 v13, 4, v4
	s_lshl_b64 s[0:1], s[0:1], 4
	s_delay_alu instid0(SALU_CYCLE_1) | instskip(SKIP_2) | instid1(SALU_CYCLE_1)
	s_add_u32 s4, s20, s0
	s_addc_u32 s5, s21, s1
	s_lshl_b64 s[0:1], s[22:23], 4
	s_add_u32 s4, s4, s0
	s_addc_u32 s5, s5, s1
	s_ashr_i32 s13, s12, 31
	s_delay_alu instid0(SALU_CYCLE_1) | instskip(NEXT) | instid1(SALU_CYCLE_1)
	s_lshl_b64 s[0:1], s[12:13], 4
	s_add_u32 s4, s4, s0
	s_waitcnt lgkmcnt(0)
	s_mul_i32 s0, s12, s18
	s_addc_u32 s5, s5, s1
	s_ashr_i32 s1, s0, 31
	s_delay_alu instid0(SALU_CYCLE_1) | instskip(NEXT) | instid1(SALU_CYCLE_1)
	s_lshl_b64 s[0:1], s[0:1], 4
	s_add_u32 s4, s0, s4
	s_addc_u32 s5, s1, s5
	s_cmp_eq_u32 s8, 0
	v_cmp_gt_i32_e64 s0, s8, v4
	s_cselect_b32 s28, -1, 0
	s_cmp_lg_u32 s8, 0
	s_cselect_b32 s13, -1, 0
	s_delay_alu instid0(SALU_CYCLE_1) | instskip(SKIP_2) | instid1(VALU_DEP_1)
	s_and_b32 vcc_lo, exec_lo, s13
	s_waitcnt vmcnt(0)
	v_lshl_add_u32 v42, v0, 6, v170
	v_lshrrev_b32_e32 v11, 5, v42
	s_delay_alu instid0(VALU_DEP_1) | instskip(SKIP_1) | instid1(VALU_DEP_2)
	v_mad_u64_u32 v[0:1], null, v11, s18, v[4:5]
	v_mul_u32_u24_e32 v12, 33, v11
	v_ashrrev_i32_e32 v1, 31, v0
	s_delay_alu instid0(VALU_DEP_1) | instskip(NEXT) | instid1(VALU_DEP_1)
	v_lshlrev_b64 v[38:39], 4, v[0:1]
	v_add_co_u32 v0, s1, s4, v38
	s_delay_alu instid0(VALU_DEP_1)
	v_add_co_ci_u32_e64 v1, s1, s5, v39, s1
	s_cbranch_vccz .LBB123_28
; %bb.11:
	s_delay_alu instid0(VALU_DEP_2) | instskip(SKIP_1) | instid1(VALU_DEP_2)
	v_sub_co_u32 v2, vcc_lo, v0, v13
	s_ashr_i32 s9, s8, 31
	v_subrev_co_ci_u32_e32 v3, vcc_lo, 0, v1, vcc_lo
	s_lshl_b64 s[4:5], s[8:9], 4
	v_add_lshl_u32 v5, v12, v4, 4
	v_add_co_u32 v2, vcc_lo, v2, s4
	s_delay_alu instid0(VALU_DEP_3) | instskip(SKIP_1) | instid1(VALU_DEP_2)
	v_add_co_ci_u32_e32 v3, vcc_lo, s5, v3, vcc_lo
	s_mov_b32 s1, exec_lo
	v_add_co_u32 v2, vcc_lo, v2, -16
	s_delay_alu instid0(VALU_DEP_2) | instskip(NEXT) | instid1(VALU_DEP_2)
	v_add_co_ci_u32_e32 v3, vcc_lo, -1, v3, vcc_lo
	v_cndmask_b32_e64 v2, v2, v0, s0
	s_delay_alu instid0(VALU_DEP_2)
	v_cndmask_b32_e64 v3, v3, v1, s0
	v_cmpx_le_i32_e64 s8, v11
	s_xor_b32 s1, exec_lo, s1
	s_cbranch_execz .LBB123_13
; %bb.12:
	v_mov_b32_e32 v6, 0
	s_delay_alu instid0(VALU_DEP_1)
	v_mov_b32_e32 v7, v6
	v_mov_b32_e32 v8, v6
	;; [unrolled: 1-line block ×3, first 2 shown]
	ds_store_b128 v5, v[6:9]
.LBB123_13:
	s_and_not1_saveexec_b32 s1, s1
	s_cbranch_execz .LBB123_15
; %bb.14:
	global_load_b128 v[6:9], v[2:3], off
	s_waitcnt vmcnt(0)
	ds_store_2addr_b64 v5, v[6:7], v[8:9] offset1:1
.LBB123_15:
	s_or_b32 exec_lo, exec_lo, s1
	v_add_nc_u32_e32 v6, 8, v11
	s_mov_b32 s1, exec_lo
	s_delay_alu instid0(VALU_DEP_1)
	v_cmpx_le_i32_e64 s8, v6
	s_xor_b32 s1, exec_lo, s1
	s_cbranch_execz .LBB123_17
; %bb.16:
	v_mul_u32_u24_e32 v7, 33, v6
	v_mov_b32_e32 v6, 0
	s_delay_alu instid0(VALU_DEP_2) | instskip(NEXT) | instid1(VALU_DEP_2)
	v_add_lshl_u32 v10, v7, v4, 4
	v_mov_b32_e32 v7, v6
	v_mov_b32_e32 v8, v6
	;; [unrolled: 1-line block ×3, first 2 shown]
	ds_store_b128 v10, v[6:9]
.LBB123_17:
	s_and_not1_saveexec_b32 s1, s1
	s_cbranch_execz .LBB123_19
; %bb.18:
	s_lshl_b32 s16, s18, 3
	v_add_nc_u32_e32 v10, 0x1080, v5
	s_ashr_i32 s17, s16, 31
	s_delay_alu instid0(SALU_CYCLE_1) | instskip(NEXT) | instid1(SALU_CYCLE_1)
	s_lshl_b64 s[16:17], s[16:17], 4
	v_add_co_u32 v6, vcc_lo, v2, s16
	v_add_co_ci_u32_e32 v7, vcc_lo, s17, v3, vcc_lo
	global_load_b128 v[6:9], v[6:7], off
	s_waitcnt vmcnt(0)
	ds_store_2addr_b64 v10, v[6:7], v[8:9] offset1:1
.LBB123_19:
	s_or_b32 exec_lo, exec_lo, s1
	v_add_nc_u32_e32 v6, 16, v11
	s_mov_b32 s1, exec_lo
	s_delay_alu instid0(VALU_DEP_1)
	v_cmpx_le_i32_e64 s8, v6
	s_xor_b32 s1, exec_lo, s1
	s_cbranch_execz .LBB123_21
; %bb.20:
	v_mul_u32_u24_e32 v7, 33, v6
	v_mov_b32_e32 v6, 0
	s_delay_alu instid0(VALU_DEP_2) | instskip(NEXT) | instid1(VALU_DEP_2)
	v_add_lshl_u32 v10, v7, v4, 4
	v_mov_b32_e32 v7, v6
	v_mov_b32_e32 v8, v6
	;; [unrolled: 1-line block ×3, first 2 shown]
	ds_store_b128 v10, v[6:9]
.LBB123_21:
	s_and_not1_saveexec_b32 s1, s1
	s_cbranch_execz .LBB123_23
; %bb.22:
	s_lshl_b32 s16, s18, 4
	v_add_nc_u32_e32 v10, 0x2100, v5
	s_ashr_i32 s17, s16, 31
	s_delay_alu instid0(SALU_CYCLE_1) | instskip(NEXT) | instid1(SALU_CYCLE_1)
	s_lshl_b64 s[16:17], s[16:17], 4
	v_add_co_u32 v6, vcc_lo, v2, s16
	v_add_co_ci_u32_e32 v7, vcc_lo, s17, v3, vcc_lo
	global_load_b128 v[6:9], v[6:7], off
	s_waitcnt vmcnt(0)
	ds_store_2addr_b64 v10, v[6:7], v[8:9] offset1:1
.LBB123_23:
	s_or_b32 exec_lo, exec_lo, s1
	v_add_nc_u32_e32 v6, 24, v11
	s_mov_b32 s1, exec_lo
	s_delay_alu instid0(VALU_DEP_1)
	v_cmpx_le_i32_e64 s8, v6
	s_xor_b32 s1, exec_lo, s1
	s_cbranch_execz .LBB123_25
; %bb.24:
	v_mov_b32_e32 v6, 0
	s_delay_alu instid0(VALU_DEP_1)
	v_mov_b32_e32 v7, v6
	v_mov_b32_e32 v8, v6
	;; [unrolled: 1-line block ×3, first 2 shown]
	ds_store_b128 v5, v[6:9] offset:12672
                                        ; implicit-def: $vgpr5
.LBB123_25:
	s_and_not1_saveexec_b32 s1, s1
	s_cbranch_execz .LBB123_27
; %bb.26:
	s_mul_i32 s16, s18, 24
	v_add_nc_u32_e32 v5, 0x3180, v5
	s_ashr_i32 s17, s16, 31
	s_delay_alu instid0(SALU_CYCLE_1) | instskip(NEXT) | instid1(SALU_CYCLE_1)
	s_lshl_b64 s[16:17], s[16:17], 4
	v_add_co_u32 v6, vcc_lo, v2, s16
	v_add_co_ci_u32_e32 v7, vcc_lo, s17, v3, vcc_lo
	global_load_b128 v[6:9], v[6:7], off
	s_waitcnt vmcnt(0)
	ds_store_2addr_b64 v5, v[6:7], v[8:9] offset1:1
.LBB123_27:
	s_or_b32 exec_lo, exec_lo, s1
	v_add_co_u32 v2, vcc_lo, v2, v13
	v_add_co_ci_u32_e32 v3, vcc_lo, 0, v3, vcc_lo
	s_delay_alu instid0(VALU_DEP_2) | instskip(NEXT) | instid1(VALU_DEP_2)
	v_sub_co_u32 v2, vcc_lo, v2, s4
	v_subrev_co_ci_u32_e32 v3, vcc_lo, s5, v3, vcc_lo
	s_delay_alu instid0(VALU_DEP_2) | instskip(NEXT) | instid1(VALU_DEP_2)
	v_add_co_u32 v2, vcc_lo, v2, 16
	v_add_co_ci_u32_e32 v3, vcc_lo, 0, v3, vcc_lo
	s_delay_alu instid0(VALU_DEP_2) | instskip(NEXT) | instid1(VALU_DEP_2)
	v_cndmask_b32_e64 v5, v2, v0, s0
	v_cndmask_b32_e64 v6, v3, v1, s0
	s_branch .LBB123_30
.LBB123_28:
                                        ; implicit-def: $vgpr5_vgpr6
	s_and_b32 vcc_lo, exec_lo, s3
	s_cbranch_vccz .LBB123_30
; %bb.29:
	s_lshl_b32 s0, s18, 3
	s_ashr_i32 s19, s18, 31
	s_ashr_i32 s1, s0, 31
	s_delay_alu instid0(SALU_CYCLE_1) | instskip(NEXT) | instid1(SALU_CYCLE_1)
	s_lshl_b64 s[0:1], s[0:1], 4
	v_add_co_u32 v2, vcc_lo, v0, s0
	v_add_co_ci_u32_e32 v3, vcc_lo, s1, v1, vcc_lo
	s_lshl_b64 s[0:1], s[18:19], 7
	s_delay_alu instid0(VALU_DEP_2) | instid1(SALU_CYCLE_1)
	v_add_co_u32 v5, vcc_lo, v2, s0
	s_delay_alu instid0(VALU_DEP_2) | instskip(NEXT) | instid1(VALU_DEP_2)
	v_add_co_ci_u32_e32 v6, vcc_lo, s1, v3, vcc_lo
	v_add_co_u32 v22, vcc_lo, v5, s0
	s_delay_alu instid0(VALU_DEP_2)
	v_add_co_ci_u32_e32 v23, vcc_lo, s1, v6, vcc_lo
	s_clause 0x1
	global_load_b128 v[7:10], v[0:1], off
	global_load_b128 v[14:17], v[2:3], off
	;; [unrolled: 1-line block ×4, first 2 shown]
	v_add_lshl_u32 v2, v12, v4, 4
	v_dual_mov_b32 v6, v1 :: v_dual_mov_b32 v5, v0
	s_delay_alu instid0(VALU_DEP_2)
	v_add_nc_u32_e32 v3, 0x1080, v2
	v_add_nc_u32_e32 v26, 0x2100, v2
	;; [unrolled: 1-line block ×3, first 2 shown]
	s_waitcnt vmcnt(3)
	ds_store_2addr_b64 v2, v[7:8], v[9:10] offset1:1
	s_waitcnt vmcnt(2)
	ds_store_2addr_b64 v3, v[14:15], v[16:17] offset1:1
	;; [unrolled: 2-line block ×4, first 2 shown]
.LBB123_30:
	v_lshlrev_b32_e32 v0, 2, v11
	v_mul_u32_u24_e32 v14, 33, v4
	v_mul_u32_u24_e32 v1, 0x84, v11
	s_waitcnt lgkmcnt(0)
	s_waitcnt_vscnt null, 0x0
	s_barrier
	v_cmp_gt_u32_e64 s1, v0, v4
	v_add_lshl_u32 v9, v0, v14, 4
	buffer_gl0_inv
	s_and_saveexec_b32 s0, s1
	s_cbranch_execz .LBB123_32
; %bb.31:
	v_add_lshl_u32 v2, v1, v4, 4
	ds_load_b128 v[15:18], v2
	s_waitcnt lgkmcnt(0)
	ds_store_b128 v9, v[15:18]
.LBB123_32:
	s_or_b32 exec_lo, exec_lo, s0
	v_cmp_ge_u32_e64 s3, v0, v4
	s_delay_alu instid0(VALU_DEP_1)
	s_and_saveexec_b32 s0, s3
	s_cbranch_execz .LBB123_34
; %bb.33:
	v_or_b32_e32 v2, 1, v0
	s_delay_alu instid0(VALU_DEP_1) | instskip(NEXT) | instid1(VALU_DEP_1)
	v_mul_u32_u24_e32 v2, 33, v2
	v_add_lshl_u32 v2, v2, v4, 4
	ds_load_b128 v[15:18], v2
	s_waitcnt lgkmcnt(0)
	ds_store_b128 v9, v[15:18] offset:16
.LBB123_34:
	s_or_b32 exec_lo, exec_lo, s0
	v_or_b32_e32 v2, 2, v0
	s_delay_alu instid0(VALU_DEP_1) | instskip(NEXT) | instid1(VALU_DEP_1)
	v_cmp_gt_u32_e64 s4, v2, v4
	s_and_saveexec_b32 s0, s4
	s_cbranch_execz .LBB123_36
; %bb.35:
	v_mul_u32_u24_e32 v2, 33, v2
	s_delay_alu instid0(VALU_DEP_1)
	v_add_lshl_u32 v2, v2, v4, 4
	ds_load_b128 v[15:18], v2
	s_waitcnt lgkmcnt(0)
	ds_store_b128 v9, v[15:18] offset:32
.LBB123_36:
	s_or_b32 exec_lo, exec_lo, s0
	v_or_b32_e32 v2, 3, v0
	s_delay_alu instid0(VALU_DEP_1) | instskip(SKIP_1) | instid1(VALU_DEP_2)
	v_mad_u32_u24 v3, v2, 33, v4
	v_cmp_gt_u32_e64 s5, v2, v4
	v_lshlrev_b32_e32 v16, 4, v3
	s_delay_alu instid0(VALU_DEP_2)
	s_and_saveexec_b32 s0, s5
	s_cbranch_execz .LBB123_38
; %bb.37:
	ds_load_b128 v[17:20], v16
	s_waitcnt lgkmcnt(0)
	ds_store_b128 v9, v[17:20] offset:48
.LBB123_38:
	s_or_b32 exec_lo, exec_lo, s0
	v_lshlrev_b32_e32 v10, 4, v0
	v_add_lshl_u32 v15, v1, v4, 4
	s_waitcnt lgkmcnt(0)
	s_barrier
	buffer_gl0_inv
	ds_load_b128 v[0:3], v10 offset:18176
	ds_load_b128 v[17:20], v15
	v_add_nc_u32_e32 v24, 0xfffffbe0, v16
	ds_load_b128 v[25:28], v24
	ds_load_b128 v[29:32], v24 offset:528
	v_cmp_gt_u32_e64 s0, 32, v42
	s_waitcnt lgkmcnt(2)
	v_mul_f64 v[7:8], v[2:3], v[19:20]
	v_mul_f64 v[33:34], v[0:1], v[19:20]
	ds_load_b128 v[19:22], v10 offset:18192
	ds_load_b128 v[43:46], v10 offset:18208
	s_waitcnt lgkmcnt(1)
	v_mul_f64 v[40:41], v[21:22], v[27:28]
	v_mul_f64 v[27:28], v[19:20], v[27:28]
	v_fma_f64 v[0:1], v[0:1], v[17:18], -v[7:8]
	v_fma_f64 v[2:3], v[2:3], v[17:18], v[33:34]
	s_waitcnt lgkmcnt(0)
	v_mul_f64 v[7:8], v[45:46], v[31:32]
	v_mul_f64 v[31:32], v[43:44], v[31:32]
	v_fma_f64 v[33:34], v[19:20], v[25:26], -v[40:41]
	v_fma_f64 v[21:22], v[21:22], v[25:26], v[27:28]
	v_add_f64 v[25:26], v[0:1], 0
	v_add_f64 v[27:28], v[2:3], 0
	ds_load_b128 v[0:3], v10 offset:18224
	ds_load_b128 v[17:20], v16
	v_fma_f64 v[7:8], v[43:44], v[29:30], -v[7:8]
	v_fma_f64 v[29:30], v[45:46], v[29:30], v[31:32]
	v_add_lshl_u32 v44, v11, v14, 4
	s_waitcnt lgkmcnt(0)
	s_barrier
	buffer_gl0_inv
	v_lshlrev_b32_e32 v43, 4, v14
	v_mul_f64 v[40:41], v[2:3], v[19:20]
	v_mul_f64 v[19:20], v[0:1], v[19:20]
	v_add_f64 v[25:26], v[25:26], v[33:34]
	v_add_f64 v[21:22], v[27:28], v[21:22]
	s_delay_alu instid0(VALU_DEP_4) | instskip(NEXT) | instid1(VALU_DEP_4)
	v_fma_f64 v[0:1], v[0:1], v[17:18], -v[40:41]
	v_fma_f64 v[2:3], v[2:3], v[17:18], v[19:20]
	s_delay_alu instid0(VALU_DEP_4) | instskip(NEXT) | instid1(VALU_DEP_4)
	v_add_f64 v[7:8], v[25:26], v[7:8]
	v_add_f64 v[19:20], v[21:22], v[29:30]
	s_delay_alu instid0(VALU_DEP_2) | instskip(NEXT) | instid1(VALU_DEP_2)
	v_add_f64 v[17:18], v[7:8], v[0:1]
	v_add_f64 v[19:20], v[19:20], v[2:3]
	v_mov_b32_e32 v0, 0
	v_mov_b32_e32 v1, 0
	s_delay_alu instid0(VALU_DEP_1)
	v_dual_mov_b32 v3, v1 :: v_dual_mov_b32 v2, v0
	ds_store_b128 v44, v[17:20]
	s_waitcnt lgkmcnt(0)
	s_barrier
	buffer_gl0_inv
	s_and_saveexec_b32 s6, s0
	s_cbranch_execz .LBB123_40
; %bb.39:
	ds_load_b128 v[0:3], v43
	ds_load_b128 v[17:20], v43 offset:16
	s_waitcnt lgkmcnt(0)
	v_add_f64 v[7:8], v[17:18], v[0:1]
	v_add_f64 v[21:22], v[19:20], v[2:3]
	ds_load_b128 v[0:3], v43 offset:32
	ds_load_b128 v[17:20], v43 offset:48
	s_waitcnt lgkmcnt(1)
	v_add_f64 v[0:1], v[7:8], v[0:1]
	v_add_f64 v[2:3], v[21:22], v[2:3]
	s_waitcnt lgkmcnt(0)
	s_delay_alu instid0(VALU_DEP_2) | instskip(NEXT) | instid1(VALU_DEP_2)
	v_add_f64 v[7:8], v[0:1], v[17:18]
	v_add_f64 v[21:22], v[2:3], v[19:20]
	ds_load_b128 v[0:3], v43 offset:64
	ds_load_b128 v[17:20], v43 offset:80
	s_waitcnt lgkmcnt(1)
	v_add_f64 v[0:1], v[7:8], v[0:1]
	v_add_f64 v[2:3], v[21:22], v[2:3]
	s_waitcnt lgkmcnt(0)
	s_delay_alu instid0(VALU_DEP_2) | instskip(NEXT) | instid1(VALU_DEP_2)
	v_add_f64 v[7:8], v[0:1], v[17:18]
	v_add_f64 v[21:22], v[2:3], v[19:20]
	ds_load_b128 v[0:3], v43 offset:96
	ds_load_b128 v[17:20], v43 offset:112
	s_waitcnt lgkmcnt(1)
	v_add_f64 v[0:1], v[7:8], v[0:1]
	v_add_f64 v[2:3], v[21:22], v[2:3]
	s_waitcnt lgkmcnt(0)
	s_delay_alu instid0(VALU_DEP_2) | instskip(NEXT) | instid1(VALU_DEP_2)
	v_add_f64 v[0:1], v[0:1], v[17:18]
	v_add_f64 v[2:3], v[2:3], v[19:20]
.LBB123_40:
	s_or_b32 exec_lo, exec_lo, s6
	s_lshl_b32 s20, s18, 5
	s_delay_alu instid0(SALU_CYCLE_1)
	s_ashr_i32 s21, s20, 31
	s_barrier
	s_lshl_b64 s[16:17], s[20:21], 4
	buffer_gl0_inv
	v_add_co_u32 v17, vcc_lo, v5, s16
	v_add_co_ci_u32_e32 v18, vcc_lo, s17, v6, vcc_lo
	s_delay_alu instid0(VALU_DEP_2) | instskip(NEXT) | instid1(VALU_DEP_2)
	v_add_co_u32 v7, vcc_lo, 0x200, v17
	v_add_co_ci_u32_e32 v8, vcc_lo, 0, v18, vcc_lo
	s_and_b32 vcc_lo, exec_lo, s13
	s_cbranch_vccz .LBB123_58
; %bb.41:
	s_delay_alu instid0(VALU_DEP_2)
	v_sub_co_u32 v5, vcc_lo, v7, v13
	s_ashr_i32 s9, s8, 31
	v_subrev_co_ci_u32_e32 v6, vcc_lo, 0, v8, vcc_lo
	s_lshl_b64 s[22:23], s[8:9], 4
	v_or_b32_e32 v19, 32, v4
	v_add_co_u32 v5, vcc_lo, v5, s22
	s_delay_alu instid0(VALU_DEP_3) | instskip(SKIP_1) | instid1(VALU_DEP_2)
	v_add_co_ci_u32_e32 v6, vcc_lo, s23, v6, vcc_lo
	s_sub_i32 s9, s8, 32
	v_add_co_u32 v5, vcc_lo, 0xfffffdf0, v5
	s_delay_alu instid0(VALU_DEP_2) | instskip(SKIP_3) | instid1(VALU_DEP_4)
	v_add_co_ci_u32_e32 v6, vcc_lo, -1, v6, vcc_lo
	v_cmp_gt_i32_e32 vcc_lo, s8, v19
	v_cmp_le_i32_e64 s6, s9, v11
	v_add_lshl_u32 v19, v12, v4, 4
	v_dual_cndmask_b32 v6, v6, v8 :: v_dual_cndmask_b32 v5, v5, v7
	s_delay_alu instid0(VALU_DEP_3) | instskip(NEXT) | instid1(SALU_CYCLE_1)
	s_and_saveexec_b32 s19, s6
	s_xor_b32 s6, exec_lo, s19
	s_cbranch_execz .LBB123_43
; %bb.42:
	v_mov_b32_e32 v20, 0
	s_delay_alu instid0(VALU_DEP_1)
	v_mov_b32_e32 v21, v20
	v_mov_b32_e32 v22, v20
	;; [unrolled: 1-line block ×3, first 2 shown]
	ds_store_b128 v19, v[20:23]
.LBB123_43:
	s_and_not1_saveexec_b32 s6, s6
	s_cbranch_execz .LBB123_45
; %bb.44:
	global_load_b128 v[20:23], v[5:6], off
	s_waitcnt vmcnt(0)
	ds_store_2addr_b64 v19, v[20:21], v[22:23] offset1:1
.LBB123_45:
	s_or_b32 exec_lo, exec_lo, s6
	v_add_nc_u32_e32 v20, 8, v11
	s_delay_alu instid0(VALU_DEP_1) | instskip(NEXT) | instid1(VALU_DEP_1)
	v_cmp_le_i32_e64 s6, s9, v20
	s_and_saveexec_b32 s19, s6
	s_delay_alu instid0(SALU_CYCLE_1)
	s_xor_b32 s6, exec_lo, s19
	s_cbranch_execz .LBB123_47
; %bb.46:
	v_mul_u32_u24_e32 v21, 33, v20
	v_mov_b32_e32 v20, 0
	s_delay_alu instid0(VALU_DEP_2) | instskip(NEXT) | instid1(VALU_DEP_2)
	v_add_lshl_u32 v25, v21, v4, 4
	v_mov_b32_e32 v21, v20
	v_mov_b32_e32 v22, v20
	v_mov_b32_e32 v23, v20
	ds_store_b128 v25, v[20:23]
.LBB123_47:
	s_and_not1_saveexec_b32 s19, s6
	s_cbranch_execz .LBB123_49
; %bb.48:
	s_lshl_b32 s30, s18, 3
	v_add_nc_u32_e32 v25, 0x1080, v19
	s_ashr_i32 s31, s30, 31
	s_delay_alu instid0(SALU_CYCLE_1) | instskip(NEXT) | instid1(SALU_CYCLE_1)
	s_lshl_b64 s[30:31], s[30:31], 4
	v_add_co_u32 v20, s6, v5, s30
	s_delay_alu instid0(VALU_DEP_1)
	v_add_co_ci_u32_e64 v21, s6, s31, v6, s6
	global_load_b128 v[20:23], v[20:21], off
	s_waitcnt vmcnt(0)
	ds_store_2addr_b64 v25, v[20:21], v[22:23] offset1:1
.LBB123_49:
	s_or_b32 exec_lo, exec_lo, s19
	v_add_nc_u32_e32 v20, 16, v11
	s_delay_alu instid0(VALU_DEP_1) | instskip(NEXT) | instid1(VALU_DEP_1)
	v_cmp_le_i32_e64 s6, s9, v20
	s_and_saveexec_b32 s19, s6
	s_delay_alu instid0(SALU_CYCLE_1)
	s_xor_b32 s6, exec_lo, s19
	s_cbranch_execz .LBB123_51
; %bb.50:
	v_mul_u32_u24_e32 v21, 33, v20
	v_mov_b32_e32 v20, 0
	s_delay_alu instid0(VALU_DEP_2) | instskip(NEXT) | instid1(VALU_DEP_2)
	v_add_lshl_u32 v25, v21, v4, 4
	v_mov_b32_e32 v21, v20
	v_mov_b32_e32 v22, v20
	;; [unrolled: 1-line block ×3, first 2 shown]
	ds_store_b128 v25, v[20:23]
.LBB123_51:
	s_and_not1_saveexec_b32 s19, s6
	s_cbranch_execz .LBB123_53
; %bb.52:
	s_lshl_b32 s30, s18, 4
	v_add_nc_u32_e32 v25, 0x2100, v19
	s_ashr_i32 s31, s30, 31
	s_delay_alu instid0(SALU_CYCLE_1) | instskip(NEXT) | instid1(SALU_CYCLE_1)
	s_lshl_b64 s[30:31], s[30:31], 4
	v_add_co_u32 v20, s6, v5, s30
	s_delay_alu instid0(VALU_DEP_1)
	v_add_co_ci_u32_e64 v21, s6, s31, v6, s6
	global_load_b128 v[20:23], v[20:21], off
	s_waitcnt vmcnt(0)
	ds_store_2addr_b64 v25, v[20:21], v[22:23] offset1:1
.LBB123_53:
	s_or_b32 exec_lo, exec_lo, s19
	v_add_nc_u32_e32 v20, 24, v11
	s_delay_alu instid0(VALU_DEP_1) | instskip(NEXT) | instid1(VALU_DEP_1)
	v_cmp_le_i32_e64 s6, s9, v20
	s_and_saveexec_b32 s9, s6
	s_delay_alu instid0(SALU_CYCLE_1)
	s_xor_b32 s6, exec_lo, s9
	s_cbranch_execz .LBB123_55
; %bb.54:
	v_mov_b32_e32 v20, 0
	s_delay_alu instid0(VALU_DEP_1)
	v_mov_b32_e32 v21, v20
	v_mov_b32_e32 v22, v20
	;; [unrolled: 1-line block ×3, first 2 shown]
	ds_store_b128 v19, v[20:23] offset:12672
                                        ; implicit-def: $vgpr19
.LBB123_55:
	s_and_not1_saveexec_b32 s9, s6
	s_cbranch_execz .LBB123_57
; %bb.56:
	s_mul_i32 s30, s18, 24
	v_add_nc_u32_e32 v19, 0x3180, v19
	s_ashr_i32 s31, s30, 31
	s_delay_alu instid0(SALU_CYCLE_1) | instskip(NEXT) | instid1(SALU_CYCLE_1)
	s_lshl_b64 s[30:31], s[30:31], 4
	v_add_co_u32 v20, s6, v5, s30
	s_delay_alu instid0(VALU_DEP_1)
	v_add_co_ci_u32_e64 v21, s6, s31, v6, s6
	global_load_b128 v[20:23], v[20:21], off
	s_waitcnt vmcnt(0)
	ds_store_2addr_b64 v19, v[20:21], v[22:23] offset1:1
.LBB123_57:
	s_or_b32 exec_lo, exec_lo, s9
	v_add_co_u32 v5, s6, v5, v13
	s_delay_alu instid0(VALU_DEP_1) | instskip(NEXT) | instid1(VALU_DEP_2)
	v_add_co_ci_u32_e64 v6, s6, 0, v6, s6
	v_sub_co_u32 v5, s6, v5, s22
	s_delay_alu instid0(VALU_DEP_1) | instskip(NEXT) | instid1(VALU_DEP_2)
	v_subrev_co_ci_u32_e64 v6, s6, s23, v6, s6
	v_add_co_u32 v5, s6, 0x210, v5
	s_delay_alu instid0(VALU_DEP_1) | instskip(NEXT) | instid1(VALU_DEP_1)
	v_add_co_ci_u32_e64 v6, s6, 0, v6, s6
	v_dual_cndmask_b32 v5, v5, v7 :: v_dual_cndmask_b32 v6, v6, v8
	s_branch .LBB123_60
.LBB123_58:
                                        ; implicit-def: $vgpr5_vgpr6
	s_cbranch_execz .LBB123_60
; %bb.59:
	s_lshl_b32 s22, s18, 3
	s_ashr_i32 s19, s18, 31
	s_ashr_i32 s23, s22, 31
	s_delay_alu instid0(SALU_CYCLE_1) | instskip(NEXT) | instid1(SALU_CYCLE_1)
	s_lshl_b64 s[22:23], s[22:23], 4
	v_add_co_u32 v5, vcc_lo, v17, s22
	v_add_co_ci_u32_e32 v6, vcc_lo, s23, v18, vcc_lo
	s_lshl_b64 s[22:23], s[18:19], 7
	s_delay_alu instid0(VALU_DEP_2) | instid1(SALU_CYCLE_1)
	v_add_co_u32 v21, vcc_lo, v5, s22
	s_delay_alu instid0(VALU_DEP_2) | instskip(NEXT) | instid1(VALU_DEP_2)
	v_add_co_ci_u32_e32 v22, vcc_lo, s23, v6, vcc_lo
	v_add_co_u32 v33, vcc_lo, v21, s22
	s_delay_alu instid0(VALU_DEP_2)
	v_add_co_ci_u32_e32 v34, vcc_lo, s23, v22, vcc_lo
	s_clause 0x3
	global_load_b128 v[17:20], v[7:8], off
	global_load_b128 v[25:28], v[5:6], off offset:512
	global_load_b128 v[29:32], v[21:22], off offset:512
	;; [unrolled: 1-line block ×3, first 2 shown]
	v_add_lshl_u32 v21, v12, v4, 4
	v_dual_mov_b32 v5, v7 :: v_dual_mov_b32 v6, v8
	s_delay_alu instid0(VALU_DEP_2)
	v_add_nc_u32_e32 v22, 0x1080, v21
	v_add_nc_u32_e32 v23, 0x2100, v21
	;; [unrolled: 1-line block ×3, first 2 shown]
	s_waitcnt vmcnt(3)
	ds_store_2addr_b64 v21, v[17:18], v[19:20] offset1:1
	s_waitcnt vmcnt(2)
	ds_store_2addr_b64 v22, v[25:26], v[27:28] offset1:1
	;; [unrolled: 2-line block ×4, first 2 shown]
.LBB123_60:
	s_waitcnt lgkmcnt(0)
	s_barrier
	buffer_gl0_inv
	s_and_saveexec_b32 s6, s1
	s_cbranch_execnz .LBB123_85
; %bb.61:
	s_or_b32 exec_lo, exec_lo, s6
	s_and_saveexec_b32 s1, s3
	s_cbranch_execnz .LBB123_86
.LBB123_62:
	s_or_b32 exec_lo, exec_lo, s1
	s_and_saveexec_b32 s1, s4
	s_cbranch_execnz .LBB123_87
.LBB123_63:
	s_or_b32 exec_lo, exec_lo, s1
	v_add_nc_u32_e32 v25, 0x4700, v10
	s_and_saveexec_b32 s1, s5
	s_cbranch_execz .LBB123_65
.LBB123_64:
	ds_load_b128 v[17:20], v16
	s_waitcnt lgkmcnt(0)
	ds_store_b128 v9, v[17:20] offset:48
.LBB123_65:
	s_or_b32 exec_lo, exec_lo, s1
	s_waitcnt lgkmcnt(0)
	s_barrier
	buffer_gl0_inv
	ds_load_b128 v[7:10], v25 offset:512
	ds_load_b128 v[17:20], v15
	v_cmp_eq_u32_e64 s1, 1, v11
	s_waitcnt lgkmcnt(0)
	v_mul_f64 v[34:35], v[9:10], v[19:20]
	v_mul_f64 v[40:41], v[7:8], v[19:20]
	ds_load_b128 v[19:22], v24
	ds_load_b128 v[26:29], v25 offset:528
	ds_load_b128 v[30:33], v25 offset:544
	s_waitcnt lgkmcnt(1)
	v_mul_f64 v[49:50], v[28:29], v[21:22]
	v_mul_f64 v[21:22], v[26:27], v[21:22]
	v_fma_f64 v[34:35], v[7:8], v[17:18], -v[34:35]
	v_fma_f64 v[17:18], v[9:10], v[17:18], v[40:41]
	ds_load_b128 v[7:10], v24 offset:528
	ds_load_b128 v[45:48], v16
	s_waitcnt lgkmcnt(1)
	v_mul_f64 v[40:41], v[32:33], v[9:10]
	v_mul_f64 v[9:10], v[30:31], v[9:10]
	v_fma_f64 v[26:27], v[26:27], v[19:20], -v[49:50]
	v_fma_f64 v[21:22], v[28:29], v[19:20], v[21:22]
	v_add_f64 v[28:29], v[34:35], 0
	v_add_f64 v[34:35], v[17:18], 0
	ds_load_b128 v[17:20], v25 offset:560
	s_waitcnt lgkmcnt(0)
	s_barrier
	buffer_gl0_inv
	v_fma_f64 v[30:31], v[30:31], v[7:8], -v[40:41]
	v_mul_f64 v[49:50], v[19:20], v[47:48]
	v_mul_f64 v[47:48], v[17:18], v[47:48]
	v_fma_f64 v[7:8], v[32:33], v[7:8], v[9:10]
	v_add_f64 v[9:10], v[28:29], v[26:27]
	v_add_f64 v[21:22], v[34:35], v[21:22]
	v_fma_f64 v[17:18], v[17:18], v[45:46], -v[49:50]
	v_fma_f64 v[19:20], v[19:20], v[45:46], v[47:48]
	s_delay_alu instid0(VALU_DEP_4) | instskip(NEXT) | instid1(VALU_DEP_4)
	v_add_f64 v[9:10], v[9:10], v[30:31]
	v_add_f64 v[21:22], v[21:22], v[7:8]
	s_delay_alu instid0(VALU_DEP_2) | instskip(NEXT) | instid1(VALU_DEP_2)
	v_add_f64 v[7:8], v[9:10], v[17:18]
	v_add_f64 v[9:10], v[21:22], v[19:20]
	ds_store_b128 v44, v[7:10]
	s_waitcnt lgkmcnt(0)
	s_barrier
	buffer_gl0_inv
	s_and_saveexec_b32 s3, s1
	s_cbranch_execz .LBB123_67
; %bb.66:
	ds_load_b128 v[0:3], v43
	ds_load_b128 v[7:10], v43 offset:16
	s_waitcnt lgkmcnt(0)
	v_add_f64 v[17:18], v[7:8], v[0:1]
	v_add_f64 v[19:20], v[9:10], v[2:3]
	ds_load_b128 v[0:3], v43 offset:32
	ds_load_b128 v[7:10], v43 offset:48
	s_waitcnt lgkmcnt(1)
	v_add_f64 v[0:1], v[17:18], v[0:1]
	v_add_f64 v[2:3], v[19:20], v[2:3]
	s_waitcnt lgkmcnt(0)
	s_delay_alu instid0(VALU_DEP_2) | instskip(NEXT) | instid1(VALU_DEP_2)
	v_add_f64 v[17:18], v[0:1], v[7:8]
	v_add_f64 v[19:20], v[2:3], v[9:10]
	ds_load_b128 v[0:3], v43 offset:64
	ds_load_b128 v[7:10], v43 offset:80
	s_waitcnt lgkmcnt(1)
	v_add_f64 v[0:1], v[17:18], v[0:1]
	v_add_f64 v[2:3], v[19:20], v[2:3]
	s_waitcnt lgkmcnt(0)
	s_delay_alu instid0(VALU_DEP_2) | instskip(NEXT) | instid1(VALU_DEP_2)
	;; [unrolled: 9-line block ×3, first 2 shown]
	v_add_f64 v[0:1], v[0:1], v[7:8]
	v_add_f64 v[2:3], v[2:3], v[9:10]
.LBB123_67:
	s_or_b32 exec_lo, exec_lo, s3
	v_add_co_u32 v7, vcc_lo, 0xfffffe00, v5
	v_add_co_ci_u32_e32 v8, vcc_lo, -1, v6, vcc_lo
	s_and_b32 vcc_lo, exec_lo, s13
	s_barrier
	buffer_gl0_inv
	s_cbranch_vccz .LBB123_88
; %bb.68:
	v_sub_co_u32 v9, vcc_lo, v5, v13
	s_ashr_i32 s9, s8, 31
	v_subrev_co_ci_u32_e32 v10, vcc_lo, 0, v6, vcc_lo
	s_lshl_b64 s[4:5], s[8:9], 4
	s_sub_i32 s6, s8, 32
	v_add_co_u32 v9, vcc_lo, v9, s4
	s_delay_alu instid0(VALU_DEP_2) | instskip(SKIP_1) | instid1(VALU_DEP_3)
	v_add_co_ci_u32_e32 v10, vcc_lo, s5, v10, vcc_lo
	v_cmp_le_i32_e64 s3, s6, v11
	v_add_co_u32 v9, vcc_lo, 0xfffffdf0, v9
	s_delay_alu instid0(VALU_DEP_3) | instskip(SKIP_2) | instid1(VALU_DEP_3)
	v_add_co_ci_u32_e32 v10, vcc_lo, -1, v10, vcc_lo
	v_cmp_gt_i32_e32 vcc_lo, s8, v4
	v_add_lshl_u32 v20, v12, v4, 4
	v_dual_cndmask_b32 v10, v10, v8 :: v_dual_cndmask_b32 v9, v9, v7
	s_and_saveexec_b32 s9, s3
	s_delay_alu instid0(SALU_CYCLE_1)
	s_xor_b32 s3, exec_lo, s9
	s_cbranch_execz .LBB123_70
; %bb.69:
	v_mov_b32_e32 v26, 0
	s_delay_alu instid0(VALU_DEP_1)
	v_mov_b32_e32 v27, v26
	v_mov_b32_e32 v28, v26
	;; [unrolled: 1-line block ×3, first 2 shown]
	ds_store_b128 v20, v[26:29]
.LBB123_70:
	s_and_not1_saveexec_b32 s3, s3
	s_cbranch_execz .LBB123_72
; %bb.71:
	global_load_b128 v[26:29], v[9:10], off
	s_waitcnt vmcnt(0)
	ds_store_2addr_b64 v20, v[26:27], v[28:29] offset1:1
.LBB123_72:
	s_or_b32 exec_lo, exec_lo, s3
	v_add_nc_u32_e32 v17, 8, v11
	s_delay_alu instid0(VALU_DEP_1) | instskip(NEXT) | instid1(VALU_DEP_1)
	v_cmp_le_i32_e64 s3, s6, v17
	s_and_saveexec_b32 s9, s3
	s_delay_alu instid0(SALU_CYCLE_1)
	s_xor_b32 s3, exec_lo, s9
	s_cbranch_execz .LBB123_74
; %bb.73:
	v_mul_u32_u24_e32 v18, 33, v17
	v_mov_b32_e32 v26, 0
	s_delay_alu instid0(VALU_DEP_2) | instskip(NEXT) | instid1(VALU_DEP_2)
	v_add_lshl_u32 v18, v18, v4, 4
	v_mov_b32_e32 v27, v26
	v_mov_b32_e32 v28, v26
	;; [unrolled: 1-line block ×3, first 2 shown]
	ds_store_b128 v18, v[26:29]
.LBB123_74:
	s_and_not1_saveexec_b32 s9, s3
	s_cbranch_execz .LBB123_76
; %bb.75:
	s_lshl_b32 s22, s18, 3
	s_delay_alu instid0(SALU_CYCLE_1) | instskip(NEXT) | instid1(SALU_CYCLE_1)
	s_ashr_i32 s23, s22, 31
	s_lshl_b64 s[22:23], s[22:23], 4
	s_delay_alu instid0(SALU_CYCLE_1) | instskip(NEXT) | instid1(VALU_DEP_1)
	v_add_co_u32 v18, s3, v9, s22
	v_add_co_ci_u32_e64 v19, s3, s23, v10, s3
	global_load_b128 v[26:29], v[18:19], off
	v_add_nc_u32_e32 v18, 0x1080, v20
	s_waitcnt vmcnt(0)
	ds_store_2addr_b64 v18, v[26:27], v[28:29] offset1:1
.LBB123_76:
	s_or_b32 exec_lo, exec_lo, s9
	v_add_nc_u32_e32 v18, 16, v11
	s_delay_alu instid0(VALU_DEP_1) | instskip(NEXT) | instid1(VALU_DEP_1)
	v_cmp_le_i32_e64 s3, s6, v18
	s_and_saveexec_b32 s9, s3
	s_delay_alu instid0(SALU_CYCLE_1)
	s_xor_b32 s3, exec_lo, s9
	s_cbranch_execz .LBB123_78
; %bb.77:
	v_mul_u32_u24_e32 v19, 33, v18
	v_mov_b32_e32 v26, 0
	s_delay_alu instid0(VALU_DEP_2) | instskip(NEXT) | instid1(VALU_DEP_2)
	v_add_lshl_u32 v19, v19, v4, 4
	v_mov_b32_e32 v27, v26
	v_mov_b32_e32 v28, v26
	;; [unrolled: 1-line block ×3, first 2 shown]
	ds_store_b128 v19, v[26:29]
.LBB123_78:
	s_and_not1_saveexec_b32 s9, s3
	s_cbranch_execz .LBB123_80
; %bb.79:
	s_lshl_b32 s22, s18, 4
	v_add_nc_u32_e32 v19, 0x2100, v20
	s_ashr_i32 s23, s22, 31
	s_delay_alu instid0(SALU_CYCLE_1) | instskip(NEXT) | instid1(SALU_CYCLE_1)
	s_lshl_b64 s[22:23], s[22:23], 4
	v_add_co_u32 v21, s3, v9, s22
	s_delay_alu instid0(VALU_DEP_1)
	v_add_co_ci_u32_e64 v22, s3, s23, v10, s3
	global_load_b128 v[26:29], v[21:22], off
	s_waitcnt vmcnt(0)
	ds_store_2addr_b64 v19, v[26:27], v[28:29] offset1:1
.LBB123_80:
	s_or_b32 exec_lo, exec_lo, s9
	v_add_nc_u32_e32 v19, 24, v11
	s_delay_alu instid0(VALU_DEP_1) | instskip(NEXT) | instid1(VALU_DEP_1)
	v_cmp_le_i32_e64 s3, s6, v19
	s_and_saveexec_b32 s6, s3
	s_delay_alu instid0(SALU_CYCLE_1)
	s_xor_b32 s3, exec_lo, s6
	s_cbranch_execz .LBB123_82
; %bb.81:
	v_mov_b32_e32 v26, 0
	s_delay_alu instid0(VALU_DEP_1)
	v_mov_b32_e32 v27, v26
	v_mov_b32_e32 v28, v26
	;; [unrolled: 1-line block ×3, first 2 shown]
	ds_store_b128 v20, v[26:29] offset:12672
                                        ; implicit-def: $vgpr20
.LBB123_82:
	s_and_not1_saveexec_b32 s6, s3
	s_cbranch_execz .LBB123_84
; %bb.83:
	s_mul_i32 s22, s18, 24
	v_add_nc_u32_e32 v20, 0x3180, v20
	s_ashr_i32 s23, s22, 31
	s_delay_alu instid0(SALU_CYCLE_1) | instskip(NEXT) | instid1(SALU_CYCLE_1)
	s_lshl_b64 s[22:23], s[22:23], 4
	v_add_co_u32 v21, s3, v9, s22
	s_delay_alu instid0(VALU_DEP_1)
	v_add_co_ci_u32_e64 v22, s3, s23, v10, s3
	global_load_b128 v[26:29], v[21:22], off
	s_waitcnt vmcnt(0)
	ds_store_2addr_b64 v20, v[26:27], v[28:29] offset1:1
.LBB123_84:
	s_or_b32 exec_lo, exec_lo, s6
	v_add_co_u32 v9, s3, v9, v13
	s_delay_alu instid0(VALU_DEP_1) | instskip(NEXT) | instid1(VALU_DEP_2)
	v_add_co_ci_u32_e64 v10, s3, 0, v10, s3
	v_sub_co_u32 v9, s3, v9, s4
	s_delay_alu instid0(VALU_DEP_1) | instskip(NEXT) | instid1(VALU_DEP_2)
	v_subrev_co_ci_u32_e64 v10, s3, s5, v10, s3
	v_add_co_u32 v9, s3, v9, 16
	s_delay_alu instid0(VALU_DEP_1) | instskip(NEXT) | instid1(VALU_DEP_1)
	v_add_co_ci_u32_e64 v10, s3, 0, v10, s3
	v_dual_cndmask_b32 v40, v9, v7 :: v_dual_cndmask_b32 v41, v10, v8
	s_branch .LBB123_90
.LBB123_85:
	ds_load_b128 v[17:20], v15
	s_waitcnt lgkmcnt(0)
	ds_store_b128 v9, v[17:20]
	s_or_b32 exec_lo, exec_lo, s6
	s_and_saveexec_b32 s1, s3
	s_cbranch_execz .LBB123_62
.LBB123_86:
	ds_load_b128 v[17:20], v24
	s_waitcnt lgkmcnt(0)
	ds_store_b128 v9, v[17:20] offset:16
	s_or_b32 exec_lo, exec_lo, s1
	s_and_saveexec_b32 s1, s4
	s_cbranch_execz .LBB123_63
.LBB123_87:
	v_add_nc_u32_e32 v7, 0x210, v24
	ds_load_b128 v[17:20], v7
	s_waitcnt lgkmcnt(0)
	ds_store_b128 v9, v[17:20] offset:32
	s_or_b32 exec_lo, exec_lo, s1
	v_add_nc_u32_e32 v25, 0x4700, v10
	s_and_saveexec_b32 s1, s5
	s_cbranch_execnz .LBB123_64
	s_branch .LBB123_65
.LBB123_88:
                                        ; implicit-def: $vgpr40_vgpr41
                                        ; implicit-def: $vgpr17
                                        ; implicit-def: $vgpr18
                                        ; implicit-def: $vgpr19
	s_cbranch_execz .LBB123_90
; %bb.89:
	s_lshl_b32 s4, s18, 3
	s_ashr_i32 s19, s18, 31
	s_ashr_i32 s5, s4, 31
	v_add_lshl_u32 v4, v12, v4, 4
	s_lshl_b64 s[4:5], s[4:5], 4
	v_add_nc_u32_e32 v19, 24, v11
	v_add_co_u32 v5, vcc_lo, v5, s4
	v_add_co_ci_u32_e32 v6, vcc_lo, s5, v6, vcc_lo
	s_lshl_b64 s[4:5], s[18:19], 7
	v_mov_b32_e32 v41, v8
	s_delay_alu instid0(VALU_DEP_3) | instskip(NEXT) | instid1(VALU_DEP_3)
	v_add_co_u32 v9, vcc_lo, v5, s4
	v_add_co_ci_u32_e32 v10, vcc_lo, s5, v6, vcc_lo
	v_mov_b32_e32 v40, v7
	s_delay_alu instid0(VALU_DEP_3) | instskip(NEXT) | instid1(VALU_DEP_3)
	v_add_co_u32 v17, vcc_lo, v9, s4
	v_add_co_ci_u32_e32 v18, vcc_lo, s5, v10, vcc_lo
	s_clause 0x3
	global_load_b128 v[20:23], v[7:8], off
	global_load_b128 v[26:29], v[5:6], off offset:-512
	global_load_b128 v[30:33], v[9:10], off offset:-512
	;; [unrolled: 1-line block ×3, first 2 shown]
	v_add_nc_u32_e32 v18, 16, v11
	v_add_nc_u32_e32 v17, 8, v11
	;; [unrolled: 1-line block ×5, first 2 shown]
	s_waitcnt vmcnt(3)
	ds_store_2addr_b64 v4, v[20:21], v[22:23] offset1:1
	s_waitcnt vmcnt(2)
	ds_store_2addr_b64 v5, v[26:27], v[28:29] offset1:1
	;; [unrolled: 2-line block ×4, first 2 shown]
.LBB123_90:
	v_lshlrev_b32_e32 v4, 4, v11
	s_waitcnt lgkmcnt(0)
	s_barrier
	buffer_gl0_inv
	v_add_lshl_u32 v12, v17, v14, 4
	ds_load_b128 v[8:11], v4 offset:18176
	ds_load_b128 v[20:23], v44
	ds_load_b128 v[4:7], v24 offset:528
	ds_load_b128 v[26:29], v12
	s_waitcnt lgkmcnt(2)
	v_mul_f64 v[34:35], v[22:23], v[10:11]
	v_mul_f64 v[45:46], v[20:21], v[10:11]
	v_lshlrev_b32_e32 v10, 4, v17
	v_add_lshl_u32 v17, v18, v14, 4
	v_add_lshl_u32 v14, v19, v14, 4
	ds_load_b128 v[10:13], v10 offset:18176
	ds_load_b128 v[30:33], v17
	v_lshlrev_b32_e32 v17, 4, v18
	v_fma_f64 v[34:35], v[20:21], v[8:9], -v[34:35]
	v_fma_f64 v[8:9], v[22:23], v[8:9], v[45:46]
	ds_load_b128 v[45:48], v14
	s_waitcnt lgkmcnt(2)
	v_mul_f64 v[49:50], v[28:29], v[12:13]
	v_mul_f64 v[12:13], v[26:27], v[12:13]
	ds_load_b128 v[20:23], v17 offset:18176
	s_waitcnt lgkmcnt(0)
	v_mul_f64 v[17:18], v[32:33], v[22:23]
	v_mul_f64 v[22:23], v[30:31], v[22:23]
	v_add_f64 v[34:35], v[34:35], 0
	v_add_f64 v[51:52], v[8:9], 0
	v_lshlrev_b32_e32 v8, 4, v19
	v_fma_f64 v[49:50], v[26:27], v[10:11], -v[49:50]
	v_fma_f64 v[12:13], v[28:29], v[10:11], v[12:13]
	ds_load_b128 v[26:29], v8 offset:18176
	ds_load_b128 v[8:11], v16
	v_fma_f64 v[16:17], v[30:31], v[20:21], -v[17:18]
	s_waitcnt lgkmcnt(1)
	v_mul_f64 v[53:54], v[47:48], v[28:29]
	v_mul_f64 v[28:29], v[45:46], v[28:29]
	v_fma_f64 v[18:19], v[32:33], v[20:21], v[22:23]
	v_add_f64 v[20:21], v[34:35], v[49:50]
	v_add_f64 v[12:13], v[51:52], v[12:13]
	v_fma_f64 v[22:23], v[45:46], v[26:27], -v[53:54]
	v_fma_f64 v[26:27], v[47:48], v[26:27], v[28:29]
	s_delay_alu instid0(VALU_DEP_4) | instskip(NEXT) | instid1(VALU_DEP_4)
	v_add_f64 v[16:17], v[20:21], v[16:17]
	v_add_f64 v[12:13], v[12:13], v[18:19]
	s_delay_alu instid0(VALU_DEP_2) | instskip(NEXT) | instid1(VALU_DEP_2)
	v_add_f64 v[45:46], v[16:17], v[22:23]
	v_add_f64 v[47:48], v[12:13], v[26:27]
	ds_load_b128 v[20:23], v25 offset:528
	ds_load_b128 v[16:19], v25 offset:544
	;; [unrolled: 1-line block ×3, first 2 shown]
	ds_load_b128 v[32:35], v15
	ds_load_b128 v[12:15], v25 offset:560
	ds_load_b128 v[24:27], v24
	s_waitcnt lgkmcnt(0)
	s_barrier
	buffer_gl0_inv
	ds_store_b128 v44, v[45:48]
	s_waitcnt lgkmcnt(0)
	s_barrier
	buffer_gl0_inv
	s_and_saveexec_b32 s3, s1
	s_cbranch_execz .LBB123_92
; %bb.91:
	ds_load_b128 v[45:48], v43
	ds_load_b128 v[49:52], v43 offset:16
	s_waitcnt lgkmcnt(1)
	v_add_f64 v[0:1], v[0:1], v[45:46]
	v_add_f64 v[2:3], v[2:3], v[47:48]
	s_waitcnt lgkmcnt(0)
	s_delay_alu instid0(VALU_DEP_2) | instskip(NEXT) | instid1(VALU_DEP_2)
	v_add_f64 v[49:50], v[0:1], v[49:50]
	v_add_f64 v[51:52], v[2:3], v[51:52]
	ds_load_b128 v[0:3], v43 offset:32
	ds_load_b128 v[45:48], v43 offset:48
	s_waitcnt lgkmcnt(1)
	v_add_f64 v[0:1], v[49:50], v[0:1]
	v_add_f64 v[2:3], v[51:52], v[2:3]
	s_waitcnt lgkmcnt(0)
	s_delay_alu instid0(VALU_DEP_2) | instskip(NEXT) | instid1(VALU_DEP_2)
	v_add_f64 v[49:50], v[0:1], v[45:46]
	v_add_f64 v[51:52], v[2:3], v[47:48]
	ds_load_b128 v[0:3], v43 offset:64
	;; [unrolled: 9-line block ×3, first 2 shown]
	ds_load_b128 v[45:48], v43 offset:112
	s_waitcnt lgkmcnt(1)
	v_add_f64 v[0:1], v[49:50], v[0:1]
	v_add_f64 v[2:3], v[51:52], v[2:3]
	s_waitcnt lgkmcnt(0)
	s_delay_alu instid0(VALU_DEP_2) | instskip(NEXT) | instid1(VALU_DEP_2)
	v_add_f64 v[0:1], v[0:1], v[45:46]
	v_add_f64 v[2:3], v[2:3], v[47:48]
.LBB123_92:
	s_or_b32 exec_lo, exec_lo, s3
	v_mul_f64 v[45:46], v[30:31], v[34:35]
	v_mul_f64 v[34:35], v[28:29], v[34:35]
	;; [unrolled: 1-line block ×4, first 2 shown]
	s_barrier
	buffer_gl0_inv
	v_fma_f64 v[28:29], v[28:29], v[32:33], -v[45:46]
	v_fma_f64 v[30:31], v[30:31], v[32:33], v[34:35]
	v_mul_f64 v[32:33], v[18:19], v[6:7]
	v_mul_f64 v[6:7], v[16:17], v[6:7]
	v_fma_f64 v[20:21], v[20:21], v[24:25], -v[47:48]
	v_fma_f64 v[22:23], v[22:23], v[24:25], v[26:27]
	v_add_f64 v[24:25], v[28:29], 0
	v_add_f64 v[26:27], v[30:31], 0
	v_mul_f64 v[28:29], v[14:15], v[10:11]
	v_mul_f64 v[10:11], v[12:13], v[10:11]
	v_fma_f64 v[16:17], v[16:17], v[4:5], -v[32:33]
	v_fma_f64 v[4:5], v[18:19], v[4:5], v[6:7]
	v_add_f64 v[6:7], v[24:25], v[20:21]
	v_add_f64 v[18:19], v[26:27], v[22:23]
	v_fma_f64 v[12:13], v[12:13], v[8:9], -v[28:29]
	v_fma_f64 v[8:9], v[14:15], v[8:9], v[10:11]
	s_delay_alu instid0(VALU_DEP_4) | instskip(NEXT) | instid1(VALU_DEP_4)
	v_add_f64 v[6:7], v[6:7], v[16:17]
	v_add_f64 v[10:11], v[18:19], v[4:5]
	s_delay_alu instid0(VALU_DEP_2) | instskip(NEXT) | instid1(VALU_DEP_2)
	v_add_f64 v[4:5], v[6:7], v[12:13]
	v_add_f64 v[6:7], v[10:11], v[8:9]
	ds_store_b128 v44, v[4:7]
	s_waitcnt lgkmcnt(0)
	s_barrier
	buffer_gl0_inv
	s_and_saveexec_b32 s1, s0
	s_cbranch_execz .LBB123_94
; %bb.93:
	ds_load_b128 v[4:7], v43
	ds_load_b128 v[8:11], v43 offset:16
	s_waitcnt lgkmcnt(1)
	v_add_f64 v[0:1], v[0:1], v[4:5]
	v_add_f64 v[2:3], v[2:3], v[6:7]
	s_waitcnt lgkmcnt(0)
	s_delay_alu instid0(VALU_DEP_2) | instskip(NEXT) | instid1(VALU_DEP_2)
	v_add_f64 v[8:9], v[0:1], v[8:9]
	v_add_f64 v[10:11], v[2:3], v[10:11]
	ds_load_b128 v[0:3], v43 offset:32
	ds_load_b128 v[4:7], v43 offset:48
	s_waitcnt lgkmcnt(1)
	v_add_f64 v[0:1], v[8:9], v[0:1]
	v_add_f64 v[2:3], v[10:11], v[2:3]
	s_waitcnt lgkmcnt(0)
	s_delay_alu instid0(VALU_DEP_2) | instskip(NEXT) | instid1(VALU_DEP_2)
	v_add_f64 v[8:9], v[0:1], v[4:5]
	v_add_f64 v[10:11], v[2:3], v[6:7]
	ds_load_b128 v[0:3], v43 offset:64
	;; [unrolled: 9-line block ×3, first 2 shown]
	ds_load_b128 v[4:7], v43 offset:112
	s_waitcnt lgkmcnt(1)
	v_add_f64 v[0:1], v[8:9], v[0:1]
	v_add_f64 v[2:3], v[10:11], v[2:3]
	s_waitcnt lgkmcnt(0)
	s_delay_alu instid0(VALU_DEP_2) | instskip(NEXT) | instid1(VALU_DEP_2)
	v_add_f64 v[0:1], v[0:1], v[4:5]
	v_add_f64 v[2:3], v[2:3], v[6:7]
.LBB123_94:
	s_or_b32 exec_lo, exec_lo, s1
	s_mul_hi_u32 s0, s24, s15
	s_mul_i32 s25, s25, s15
	s_mul_i32 s1, s24, s15
	s_add_i32 s0, s0, s25
	s_mul_hi_u32 s4, s1, s26
	s_mul_i32 s3, s0, s26
	s_mul_i32 s0, s1, s26
	s_add_i32 s1, s4, s3
	s_mul_hi_i32 s5, s24, s14
	s_lshl_b64 s[0:1], s[0:1], 4
	s_mul_i32 s4, s24, s14
	s_add_u32 s3, s10, s0
	s_addc_u32 s6, s11, s1
	s_lshl_b64 s[0:1], s[4:5], 4
	v_lshlrev_b32_e32 v172, 4, v170
	s_add_u32 s3, s3, s0
	s_addc_u32 s9, s6, s1
	s_add_i32 s1, s14, 1
	s_delay_alu instid0(SALU_CYCLE_1)
	s_cmp_ge_u32 s1, s26
	s_barrier
	buffer_gl0_inv
	s_cbranch_scc1 .LBB123_152
; %bb.95:
	scratch_load_b32 v12, off, off offset:8 ; 4-byte Folded Reload
	v_and_b32_e32 v8, 48, v170
	v_add_nc_u32_e32 v9, 0x4300, v172
	s_mul_i32 s4, s12, s7
	v_and_b32_e32 v6, 15, v170
	v_lshrrev_b32_e32 v7, 4, v42
	s_ashr_i32 s5, s4, 31
	scratch_store_b32 off, v9, off          ; 4-byte Folded Spill
	v_lshlrev_b32_e32 v9, 4, v8
	v_or_b32_e32 v10, 0xf0, v172
	s_lshl_b64 s[4:5], s[4:5], 4
	v_lshlrev_b32_e32 v11, 6, v7
	v_sub_co_u32 v176, vcc_lo, v36, s4
	v_mad_u32_u24 v180, 0x430, v6, v9
	v_mad_u32_u24 v9, 0x430, v6, v10
	v_mul_i32_i24_e32 v10, 0xffffffd0, v7
	v_add_nc_u32_e32 v7, s12, v8
	v_subrev_co_ci_u32_e32 v177, vcc_lo, s5, v37, vcc_lo
	v_sub_co_u32 v200, vcc_lo, 0, v38
	v_sub_co_ci_u32_e32 v201, vcc_lo, 0, v39, vcc_lo
	v_mad_u32_u24 v182, 0x430, v6, v11
	scratch_store_b32 off, v9, off offset:4 ; 4-byte Folded Spill
	s_lshl_b32 s22, s18, 4
	s_mul_i32 s30, s18, 3
	s_ashr_i32 s19, s18, 31
	s_ashr_i32 s31, s30, 31
	s_lshl_b32 s29, s7, 6
	s_lshl_b64 s[12:13], s[30:31], 4
	s_ashr_i32 s23, s22, 31
	s_lshl_b32 s24, s18, 1
	s_mul_i32 s7, s7, s1
	s_lshl_b64 s[10:11], s[18:19], 4
	s_mul_i32 s1, s18, 0x300
	s_add_i32 s15, s26, -2
	s_ashr_i32 s25, s24, 31
	s_lshl_b32 s4, s7, 6
	s_lshl_b64 s[6:7], s[22:23], 6
	s_mul_hi_i32 s5, s22, 48
	v_add_nc_u32_e32 v179, 0x4700, v172
	v_cmp_gt_u32_e64 s0, 64, v42
	v_add_nc_u32_e32 v242, v182, v10
	s_waitcnt vmcnt(0)
	v_lshlrev_b32_e32 v175, 2, v12
	v_lshl_add_u32 v186, v12, 6, 0x4300
	v_mad_u32_u24 v187, 0x10c0, v12, v172
	s_delay_alu instid0(VALU_DEP_3) | instskip(SKIP_2) | instid1(SALU_CYCLE_1)
	v_mad_u64_u32 v[4:5], null, v175, s18, v[170:171]
	v_add3_u32 v171, v7, v6, 64
	s_lshl_b64 s[18:19], s[18:19], 5
	s_add_u32 s30, s18, s16
	s_addc_u32 s31, s19, s17
	s_add_u32 s1, s1, s18
	s_delay_alu instid0(VALU_DEP_2) | instskip(SKIP_1) | instid1(VALU_DEP_1)
	v_ashrrev_i32_e32 v5, 31, v4
	s_addc_u32 s5, s5, s19
	v_lshlrev_b64 v[6:7], 4, v[4:5]
	v_add_co_u32 v4, vcc_lo, s20, v4
	v_add_co_ci_u32_e32 v5, vcc_lo, s21, v5, vcc_lo
	s_delay_alu instid0(VALU_DEP_3) | instskip(NEXT) | instid1(VALU_DEP_2)
	v_add_co_u32 v8, vcc_lo, s16, v6
	v_lshlrev_b64 v[4:5], 4, v[4:5]
	v_add_co_ci_u32_e32 v9, vcc_lo, s17, v7, vcc_lo
	s_delay_alu instid0(VALU_DEP_3) | instskip(NEXT) | instid1(VALU_DEP_2)
	v_add_co_u32 v11, vcc_lo, v8, v40
	v_add_co_ci_u32_e32 v12, vcc_lo, v9, v41, vcc_lo
	s_delay_alu instid0(VALU_DEP_4) | instskip(NEXT) | instid1(VALU_DEP_3)
	v_mad_i64_i32 v[8:9], null, s22, 48, v[4:5]
	v_add_co_u32 v202, vcc_lo, v11, 8
	s_delay_alu instid0(VALU_DEP_3) | instskip(NEXT) | instid1(VALU_DEP_3)
	v_add_co_ci_u32_e32 v203, vcc_lo, 0, v12, vcc_lo
	v_add_co_u32 v11, vcc_lo, v8, s12
	s_delay_alu instid0(VALU_DEP_4) | instskip(NEXT) | instid1(VALU_DEP_2)
	v_add_co_ci_u32_e32 v12, vcc_lo, s13, v9, vcc_lo
	v_add_co_u32 v204, vcc_lo, v40, v11
	s_delay_alu instid0(VALU_DEP_2) | instskip(SKIP_4) | instid1(VALU_DEP_4)
	v_add_co_ci_u32_e32 v205, vcc_lo, v41, v12, vcc_lo
	v_add_co_u32 v11, vcc_lo, s30, v6
	v_add_co_ci_u32_e32 v12, vcc_lo, s31, v7, vcc_lo
	v_add_co_u32 v4, vcc_lo, s1, v4
	;; [unrolled: 2-line block ×3, first 2 shown]
	s_delay_alu instid0(VALU_DEP_4) | instskip(NEXT) | instid1(VALU_DEP_4)
	v_add_co_ci_u32_e32 v207, vcc_lo, v41, v12, vcc_lo
	v_add_co_u32 v4, vcc_lo, v4, v40
	s_add_u32 s1, s10, s16
	v_add_co_ci_u32_e32 v5, vcc_lo, v5, v41, vcc_lo
	s_addc_u32 s5, s11, s17
	v_add_co_u32 v11, vcc_lo, s1, v6
	v_add_co_ci_u32_e32 v12, vcc_lo, s5, v7, vcc_lo
	v_add_co_u32 v208, vcc_lo, v4, 8
	v_add_co_ci_u32_e32 v209, vcc_lo, 0, v5, vcc_lo
	s_delay_alu instid0(VALU_DEP_4) | instskip(NEXT) | instid1(VALU_DEP_4)
	v_add_co_u32 v4, vcc_lo, v11, v40
	v_add_co_ci_u32_e32 v5, vcc_lo, v12, v41, vcc_lo
	s_lshl_b64 s[18:19], s[24:25], 4
	s_delay_alu instid0(VALU_DEP_2) | instskip(SKIP_1) | instid1(VALU_DEP_2)
	v_add_co_u32 v210, vcc_lo, v4, 8
	s_add_u32 s20, s16, s18
	v_add_co_ci_u32_e32 v211, vcc_lo, 0, v5, vcc_lo
	s_addc_u32 s21, s17, s19
	v_add_co_u32 v4, vcc_lo, s20, v6
	v_add_co_ci_u32_e32 v5, vcc_lo, s21, v7, vcc_lo
	v_add_co_u32 v11, vcc_lo, v8, s18
	v_add_co_ci_u32_e32 v12, vcc_lo, s19, v9, vcc_lo
	s_delay_alu instid0(VALU_DEP_4) | instskip(NEXT) | instid1(VALU_DEP_4)
	v_add_co_u32 v4, vcc_lo, v4, v40
	v_add_co_ci_u32_e32 v5, vcc_lo, v5, v41, vcc_lo
	s_delay_alu instid0(VALU_DEP_4) | instskip(NEXT) | instid1(VALU_DEP_4)
	;; [unrolled: 3-line block ×3, first 2 shown]
	v_add_co_u32 v214, vcc_lo, v4, 8
	v_add_co_ci_u32_e32 v215, vcc_lo, 0, v5, vcc_lo
	v_add_co_u32 v4, vcc_lo, v8, s10
	s_add_u32 s20, s16, s12
	v_add_co_ci_u32_e32 v5, vcc_lo, s11, v9, vcc_lo
	s_addc_u32 s21, s17, s13
	v_add_co_u32 v11, vcc_lo, s20, v6
	v_add_co_ci_u32_e32 v12, vcc_lo, s21, v7, vcc_lo
	v_add_co_u32 v216, vcc_lo, v40, v4
	v_add_co_ci_u32_e32 v217, vcc_lo, v41, v5, vcc_lo
	s_delay_alu instid0(VALU_DEP_4) | instskip(NEXT) | instid1(VALU_DEP_4)
	v_add_co_u32 v4, vcc_lo, v11, v40
	v_add_co_ci_u32_e32 v5, vcc_lo, v12, v41, vcc_lo
	s_lshl_b64 s[20:21], s[22:23], 4
	s_delay_alu instid0(VALU_DEP_2) | instskip(SKIP_1) | instid1(VALU_DEP_2)
	v_add_co_u32 v218, vcc_lo, v4, 8
	s_add_u32 s24, s16, s20
	v_add_co_ci_u32_e32 v219, vcc_lo, 0, v5, vcc_lo
	s_addc_u32 s25, s17, s21
	v_add_co_u32 v4, vcc_lo, s24, v6
	v_add_co_ci_u32_e32 v5, vcc_lo, s25, v7, vcc_lo
	v_add_co_u32 v220, vcc_lo, v40, v8
	v_add_co_ci_u32_e32 v221, vcc_lo, v41, v9, vcc_lo
	s_delay_alu instid0(VALU_DEP_4) | instskip(NEXT) | instid1(VALU_DEP_4)
	v_add_co_u32 v4, vcc_lo, v4, v40
	v_add_co_ci_u32_e32 v5, vcc_lo, v5, v41, vcc_lo
	s_lshl_b64 s[22:23], s[22:23], 5
	s_delay_alu instid0(VALU_DEP_2)
	v_add_co_u32 v222, vcc_lo, v4, 8
	s_add_u32 s16, s22, s16
	s_addc_u32 s17, s23, s17
	s_add_u32 s33, s16, s12
	v_add_co_ci_u32_e32 v223, vcc_lo, 0, v5, vcc_lo
	s_addc_u32 s34, s17, s13
	v_add_co_u32 v4, vcc_lo, s33, v6
	s_add_u32 s1, s1, s20
	v_add_co_ci_u32_e32 v5, vcc_lo, s34, v7, vcc_lo
	s_addc_u32 s5, s5, s21
	v_add_co_u32 v8, vcc_lo, s1, v6
	v_add_co_ci_u32_e32 v9, vcc_lo, s5, v7, vcc_lo
	v_add_co_u32 v224, vcc_lo, v40, v4
	v_add_co_ci_u32_e32 v225, vcc_lo, v41, v5, vcc_lo
	s_delay_alu instid0(VALU_DEP_4)
	v_add_co_u32 v4, vcc_lo, v8, v40
	s_add_u32 s1, s30, s22
	v_add_co_ci_u32_e32 v5, vcc_lo, v9, v41, vcc_lo
	s_addc_u32 s5, s31, s23
	v_add_co_u32 v8, vcc_lo, s1, v6
	v_add_co_ci_u32_e32 v9, vcc_lo, s5, v7, vcc_lo
	v_add_co_u32 v226, vcc_lo, v4, 8
	v_add_co_ci_u32_e32 v227, vcc_lo, 0, v5, vcc_lo
	s_delay_alu instid0(VALU_DEP_4)
	;; [unrolled: 9-line block ×4, first 2 shown]
	v_add_co_u32 v232, vcc_lo, v40, v8
	s_add_u32 s1, s30, s20
	v_add_co_ci_u32_e32 v233, vcc_lo, v41, v9, vcc_lo
	s_addc_u32 s5, s31, s21
	v_add_co_u32 v4, vcc_lo, s1, v6
	s_add_u32 s1, s16, s10
	v_add_co_ci_u32_e32 v5, vcc_lo, s5, v7, vcc_lo
	s_addc_u32 s5, s17, s11
	v_add_co_u32 v8, vcc_lo, s1, v6
	v_add_co_ci_u32_e32 v9, vcc_lo, s5, v7, vcc_lo
	v_add_co_u32 v234, vcc_lo, v40, v4
	v_add_co_ci_u32_e32 v235, vcc_lo, v41, v5, vcc_lo
	s_delay_alu instid0(VALU_DEP_4)
	v_add_co_u32 v236, vcc_lo, v40, v8
	s_add_u32 s1, s24, s12
	v_add_co_ci_u32_e32 v237, vcc_lo, v41, v9, vcc_lo
	s_addc_u32 s5, s25, s13
	v_add_co_u32 v4, vcc_lo, s1, v6
	v_add_co_ci_u32_e32 v5, vcc_lo, s5, v7, vcc_lo
	v_add_co_u32 v6, vcc_lo, s16, v6
	v_add_co_ci_u32_e32 v7, vcc_lo, s17, v7, vcc_lo
	s_delay_alu instid0(VALU_DEP_4) | instskip(NEXT) | instid1(VALU_DEP_4)
	v_add_co_u32 v4, vcc_lo, v4, v40
	v_add_co_ci_u32_e32 v5, vcc_lo, v5, v41, vcc_lo
	s_delay_alu instid0(VALU_DEP_4) | instskip(NEXT) | instid1(VALU_DEP_4)
	v_add_co_u32 v6, vcc_lo, v6, v40
	v_add_co_ci_u32_e32 v7, vcc_lo, v7, v41, vcc_lo
	s_delay_alu instid0(VALU_DEP_4)
	v_add_co_u32 v238, vcc_lo, v4, 8
	v_mov_b32_e32 v4, 0
	v_add_co_ci_u32_e32 v239, vcc_lo, 0, v5, vcc_lo
	v_add_co_u32 v240, vcc_lo, v6, 8
	v_or_b32_e32 v185, 3, v175
	v_add_nc_u32_e32 v255, 16, v175
	v_add_nc_u32_e32 v169, 17, v175
	;; [unrolled: 1-line block ×12, first 2 shown]
	v_add_co_ci_u32_e32 v241, vcc_lo, 0, v7, vcc_lo
	s_cmp_eq_u32 s15, s14
	s_cselect_b32 s12, s27, 0
	s_and_saveexec_b32 s1, s2
	s_cbranch_execz .LBB123_100
.LBB123_96:
	v_cmp_le_i32_e32 vcc_lo, s12, v170
	s_cmp_lg_u32 s12, 0
	s_cselect_b32 s5, -1, 0
	s_delay_alu instid0(SALU_CYCLE_1) | instskip(NEXT) | instid1(SALU_CYCLE_1)
	s_and_b32 s5, s5, vcc_lo
	s_and_saveexec_b32 s10, s5
	s_delay_alu instid0(SALU_CYCLE_1)
	s_xor_b32 s5, exec_lo, s10
	s_cbranch_execz .LBB123_98
; %bb.97:
	scratch_load_b32 v8, off, off           ; 4-byte Folded Reload
	v_mov_b32_e32 v5, v4
	v_mov_b32_e32 v6, v4
	;; [unrolled: 1-line block ×3, first 2 shown]
	s_waitcnt vmcnt(0)
	ds_store_b128 v8, v[4:7]
.LBB123_98:
	s_and_not1_saveexec_b32 s5, s5
	s_cbranch_execz .LBB123_100
; %bb.99:
	s_ashr_i32 s5, s4, 31
	s_delay_alu instid0(SALU_CYCLE_1) | instskip(NEXT) | instid1(SALU_CYCLE_1)
	s_lshl_b64 s[10:11], s[4:5], 4
	v_add_co_u32 v5, vcc_lo, v176, s10
	v_add_co_ci_u32_e32 v6, vcc_lo, s11, v177, vcc_lo
	global_load_b128 v[5:8], v[5:6], off
	scratch_load_b32 v9, off, off           ; 4-byte Folded Reload
	s_waitcnt vmcnt(0)
	ds_store_2addr_b64 v9, v[5:6], v[7:8] offset1:1
.LBB123_100:                            ; =>This Inner Loop Header: Depth=1
	s_or_b32 exec_lo, exec_lo, s1
	s_cmp_eq_u32 s12, 0
	v_add_co_u32 v17, vcc_lo, v202, v200
	s_cselect_b32 s5, -1, 0
	s_cmp_lg_u32 s12, 0
	v_add_co_ci_u32_e32 v18, vcc_lo, v203, v201, vcc_lo
	s_cselect_b32 s1, -1, 0
	s_waitcnt lgkmcnt(0)
	s_waitcnt_vscnt null, 0x0
	s_and_b32 vcc_lo, exec_lo, s1
	s_barrier
	buffer_gl0_inv
	s_cbranch_vccz .LBB123_108
; %bb.101:                              ;   in Loop: Header=BB123_100 Depth=1
	v_mov_b32_e32 v5, 0
	v_mov_b32_e32 v6, 0
	s_mov_b32 s10, exec_lo
	s_delay_alu instid0(VALU_DEP_1)
	v_dual_mov_b32 v10, v6 :: v_dual_mov_b32 v9, v5
	v_dual_mov_b32 v12, v6 :: v_dual_mov_b32 v11, v5
	v_cmpx_gt_i32_e64 s12, v175
	s_cbranch_execz .LBB123_103
; %bb.102:                              ;   in Loop: Header=BB123_100 Depth=1
	global_load_b128 v[9:12], v[17:18], off offset:-8
.LBB123_103:                            ;   in Loop: Header=BB123_100 Depth=1
	s_or_b32 exec_lo, exec_lo, s10
	v_or_b32_e32 v7, 1, v175
	s_delay_alu instid0(VALU_DEP_1)
	v_cmp_gt_i32_e32 vcc_lo, s12, v7
	v_dual_mov_b32 v8, v6 :: v_dual_mov_b32 v7, v5
	s_and_saveexec_b32 s10, vcc_lo
	s_cbranch_execz .LBB123_105
; %bb.104:                              ;   in Loop: Header=BB123_100 Depth=1
	v_add_co_u32 v5, vcc_lo, v210, v200
	v_add_co_ci_u32_e32 v6, vcc_lo, v211, v201, vcc_lo
	global_load_b128 v[5:8], v[5:6], off offset:-8
.LBB123_105:                            ;   in Loop: Header=BB123_100 Depth=1
	s_or_b32 exec_lo, exec_lo, s10
	v_mov_b32_e32 v13, 0
	v_mov_b32_e32 v14, 0
	v_or_b32_e32 v15, 2, v175
	s_mov_b64 s[10:11], 0
	s_delay_alu instid0(VALU_DEP_1) | instskip(NEXT) | instid1(VALU_DEP_3)
	v_cmp_gt_i32_e32 vcc_lo, s12, v15
	v_dual_mov_b32 v16, v14 :: v_dual_mov_b32 v15, v13
	s_and_saveexec_b32 s13, vcc_lo
	s_cbranch_execz .LBB123_107
; %bb.106:                              ;   in Loop: Header=BB123_100 Depth=1
	v_add_co_u32 v13, vcc_lo, v214, v200
	v_add_co_ci_u32_e32 v14, vcc_lo, v215, v201, vcc_lo
	global_load_b128 v[13:16], v[13:14], off offset:-8
.LBB123_107:                            ;   in Loop: Header=BB123_100 Depth=1
	s_or_b32 exec_lo, exec_lo, s13
	v_cmp_gt_i32_e64 s13, s12, v185
	s_branch .LBB123_110
.LBB123_108:                            ;   in Loop: Header=BB123_100 Depth=1
	s_mov_b32 s13, 0
                                        ; implicit-def: $sgpr10_sgpr11
                                        ; implicit-def: $vgpr15_vgpr16
                                        ; implicit-def: $vgpr7_vgpr8
                                        ; implicit-def: $vgpr11_vgpr12
	s_cbranch_execz .LBB123_110
; %bb.109:                              ;   in Loop: Header=BB123_100 Depth=1
	s_waitcnt vmcnt(0)
	v_add_co_u32 v5, vcc_lo, v210, v200
	v_add_co_ci_u32_e32 v6, vcc_lo, v211, v201, vcc_lo
	v_add_co_u32 v13, vcc_lo, v206, v200
	v_add_co_ci_u32_e32 v14, vcc_lo, v207, v201, vcc_lo
	global_load_b128 v[9:12], v[17:18], off offset:-8
	global_load_b128 v[5:8], v[5:6], off offset:-8
	global_load_b128 v[13:16], v[13:14], off
	s_or_b32 s13, s13, exec_lo
                                        ; implicit-def: $sgpr10_sgpr11
.LBB123_110:                            ;   in Loop: Header=BB123_100 Depth=1
	v_dual_mov_b32 v18, s11 :: v_dual_mov_b32 v17, s10
	v_dual_mov_b32 v20, s11 :: v_dual_mov_b32 v19, s10
	s_delay_alu instid0(VALU_DEP_3)
	s_and_saveexec_b32 s10, s13
	s_cbranch_execz .LBB123_112
; %bb.111:                              ;   in Loop: Header=BB123_100 Depth=1
	v_add_co_u32 v17, vcc_lo, v218, v200
	v_add_co_ci_u32_e32 v18, vcc_lo, v219, v201, vcc_lo
	global_load_b128 v[17:20], v[17:18], off offset:-8
.LBB123_112:                            ;   in Loop: Header=BB123_100 Depth=1
	s_or_b32 exec_lo, exec_lo, s10
	ds_load_b128 v[25:28], v179
	ds_load_b128 v[21:24], v186
	v_add_co_u32 v49, vcc_lo, v222, v200
	v_cndmask_b32_e64 v117, 0, 1, s1
	v_add_co_ci_u32_e32 v50, vcc_lo, v223, v201, vcc_lo
	s_and_not1_b32 vcc_lo, exec_lo, s1
	s_waitcnt vmcnt(0) lgkmcnt(1)
	v_mul_f64 v[29:30], v[11:12], v[27:28]
	v_mul_f64 v[31:32], v[9:10], v[27:28]
	;; [unrolled: 1-line block ×8, first 2 shown]
	v_fma_f64 v[27:28], v[9:10], v[25:26], -v[29:30]
	v_fma_f64 v[29:30], v[11:12], v[25:26], v[31:32]
	v_fma_f64 v[37:38], v[5:6], v[25:26], -v[33:34]
	v_fma_f64 v[39:40], v[7:8], v[25:26], v[35:36]
	;; [unrolled: 2-line block ×4, first 2 shown]
	ds_store_b128 v187, v[27:30]
	ds_load_b128 v[33:36], v186 offset:16
	ds_store_b128 v187, v[37:40] offset:1072
	ds_load_b128 v[29:32], v186 offset:32
	ds_store_b128 v187, v[41:44] offset:2144
	ds_load_b128 v[25:28], v186 offset:48
	ds_store_b128 v187, v[45:48] offset:3216
	s_waitcnt lgkmcnt(0)
	s_barrier
	buffer_gl0_inv
	ds_load_b128 v[93:96], v182
	ds_load_b128 v[89:92], v182 offset:16
	ds_load_b128 v[85:88], v182 offset:32
	;; [unrolled: 1-line block ×3, first 2 shown]
	s_waitcnt lgkmcnt(0)
	s_barrier
	buffer_gl0_inv
	s_cbranch_vccnz .LBB123_120
; %bb.113:                              ;   in Loop: Header=BB123_100 Depth=1
	v_mov_b32_e32 v37, 0
	v_mov_b32_e32 v38, 0
	s_mov_b32 s1, exec_lo
	s_delay_alu instid0(VALU_DEP_1)
	v_dual_mov_b32 v42, v38 :: v_dual_mov_b32 v41, v37
	v_dual_mov_b32 v44, v38 :: v_dual_mov_b32 v43, v37
	v_cmpx_gt_i32_e64 s12, v255
	s_cbranch_execz .LBB123_115
; %bb.114:                              ;   in Loop: Header=BB123_100 Depth=1
	global_load_b128 v[41:44], v[49:50], off offset:-8
.LBB123_115:                            ;   in Loop: Header=BB123_100 Depth=1
	s_or_b32 exec_lo, exec_lo, s1
	v_dual_mov_b32 v40, v38 :: v_dual_mov_b32 v39, v37
	s_mov_b32 s1, exec_lo
	v_cmpx_gt_i32_e64 s12, v169
	s_cbranch_execz .LBB123_117
; %bb.116:                              ;   in Loop: Header=BB123_100 Depth=1
	v_add_co_u32 v37, vcc_lo, v226, v200
	v_add_co_ci_u32_e32 v38, vcc_lo, v227, v201, vcc_lo
	global_load_b128 v[37:40], v[37:38], off offset:-8
.LBB123_117:                            ;   in Loop: Header=BB123_100 Depth=1
	s_or_b32 exec_lo, exec_lo, s1
	v_mov_b32_e32 v45, 0
	v_mov_b32_e32 v46, 0
	s_mov_b64 s[10:11], 0
	s_mov_b32 s1, exec_lo
	s_delay_alu instid0(VALU_DEP_1)
	v_dual_mov_b32 v48, v46 :: v_dual_mov_b32 v47, v45
	v_cmpx_gt_i32_e64 s12, v173
	s_cbranch_execz .LBB123_119
; %bb.118:                              ;   in Loop: Header=BB123_100 Depth=1
	v_add_co_u32 v45, vcc_lo, v230, v200
	v_add_co_ci_u32_e32 v46, vcc_lo, v231, v201, vcc_lo
	global_load_b128 v[45:48], v[45:46], off offset:-8
.LBB123_119:                            ;   in Loop: Header=BB123_100 Depth=1
	s_or_b32 exec_lo, exec_lo, s1
	v_cmp_gt_i32_e64 s1, s12, v174
	s_branch .LBB123_122
.LBB123_120:                            ;   in Loop: Header=BB123_100 Depth=1
	s_mov_b32 s1, 0
                                        ; implicit-def: $sgpr10_sgpr11
                                        ; implicit-def: $vgpr47_vgpr48
                                        ; implicit-def: $vgpr39_vgpr40
                                        ; implicit-def: $vgpr43_vgpr44
	s_cbranch_execz .LBB123_122
; %bb.121:                              ;   in Loop: Header=BB123_100 Depth=1
	s_waitcnt vmcnt(0)
	v_add_co_u32 v37, vcc_lo, v226, v200
	v_add_co_ci_u32_e32 v38, vcc_lo, v227, v201, vcc_lo
	v_add_co_u32 v45, vcc_lo, v234, v200
	v_add_co_ci_u32_e32 v46, vcc_lo, v235, v201, vcc_lo
	global_load_b128 v[41:44], v[49:50], off offset:-8
	global_load_b128 v[37:40], v[37:38], off offset:-8
	global_load_b128 v[45:48], v[45:46], off
	s_or_b32 s1, s1, exec_lo
                                        ; implicit-def: $sgpr10_sgpr11
.LBB123_122:                            ;   in Loop: Header=BB123_100 Depth=1
	v_dual_mov_b32 v50, s11 :: v_dual_mov_b32 v49, s10
	v_dual_mov_b32 v52, s11 :: v_dual_mov_b32 v51, s10
	s_delay_alu instid0(VALU_DEP_3)
	s_and_saveexec_b32 s10, s1
	s_cbranch_execz .LBB123_124
; %bb.123:                              ;   in Loop: Header=BB123_100 Depth=1
	v_add_co_u32 v49, vcc_lo, v238, v200
	v_add_co_ci_u32_e32 v50, vcc_lo, v239, v201, vcc_lo
	global_load_b128 v[49:52], v[49:50], off offset:-8
.LBB123_124:                            ;   in Loop: Header=BB123_100 Depth=1
	s_or_b32 exec_lo, exec_lo, s10
	ds_load_b128 v[57:60], v179
	ds_load_b128 v[53:56], v186 offset:256
	v_cmp_ne_u32_e32 vcc_lo, 1, v117
	v_add_co_u32 v97, s1, v240, v200
	s_delay_alu instid0(VALU_DEP_1)
	v_add_co_ci_u32_e64 v98, s1, v241, v201, s1
	s_and_b32 vcc_lo, exec_lo, vcc_lo
	s_waitcnt vmcnt(0) lgkmcnt(1)
	v_mul_f64 v[61:62], v[43:44], v[59:60]
	v_mul_f64 v[63:64], v[41:42], v[59:60]
	;; [unrolled: 1-line block ×8, first 2 shown]
	v_fma_f64 v[59:60], v[41:42], v[57:58], -v[61:62]
	v_fma_f64 v[61:62], v[43:44], v[57:58], v[63:64]
	v_fma_f64 v[69:70], v[37:38], v[57:58], -v[65:66]
	v_fma_f64 v[71:72], v[39:40], v[57:58], v[67:68]
	;; [unrolled: 2-line block ×4, first 2 shown]
	ds_store_b128 v187, v[59:62]
	ds_load_b128 v[65:68], v186 offset:272
	ds_store_b128 v187, v[69:72] offset:1072
	ds_load_b128 v[61:64], v186 offset:288
	ds_store_b128 v187, v[73:76] offset:2144
	;; [unrolled: 2-line block ×3, first 2 shown]
	s_waitcnt lgkmcnt(0)
	s_barrier
	buffer_gl0_inv
	ds_load_b128 v[141:144], v182
	ds_load_b128 v[137:140], v182 offset:16
	ds_load_b128 v[133:136], v182 offset:32
	;; [unrolled: 1-line block ×3, first 2 shown]
	s_waitcnt lgkmcnt(0)
	s_barrier
	buffer_gl0_inv
	s_cbranch_vccnz .LBB123_132
; %bb.125:                              ;   in Loop: Header=BB123_100 Depth=1
	v_mov_b32_e32 v69, 0
	v_mov_b32_e32 v70, 0
	s_mov_b32 s1, exec_lo
	s_delay_alu instid0(VALU_DEP_1)
	v_dual_mov_b32 v74, v70 :: v_dual_mov_b32 v73, v69
	v_dual_mov_b32 v76, v70 :: v_dual_mov_b32 v75, v69
	v_cmpx_gt_i32_e64 s12, v178
	s_cbranch_execz .LBB123_127
; %bb.126:                              ;   in Loop: Header=BB123_100 Depth=1
	global_load_b128 v[73:76], v[97:98], off offset:-8
.LBB123_127:                            ;   in Loop: Header=BB123_100 Depth=1
	s_or_b32 exec_lo, exec_lo, s1
	v_dual_mov_b32 v72, v70 :: v_dual_mov_b32 v71, v69
	s_mov_b32 s1, exec_lo
	v_cmpx_gt_i32_e64 s12, v181
	s_cbranch_execz .LBB123_129
; %bb.128:                              ;   in Loop: Header=BB123_100 Depth=1
	v_add_co_u32 v69, vcc_lo, v236, v200
	v_add_co_ci_u32_e32 v70, vcc_lo, v237, v201, vcc_lo
	global_load_b128 v[69:72], v[69:70], off
.LBB123_129:                            ;   in Loop: Header=BB123_100 Depth=1
	s_or_b32 exec_lo, exec_lo, s1
	v_mov_b32_e32 v77, 0
	v_mov_b32_e32 v78, 0
	s_mov_b64 s[10:11], 0
	s_mov_b32 s1, exec_lo
	s_delay_alu instid0(VALU_DEP_1)
	v_dual_mov_b32 v80, v78 :: v_dual_mov_b32 v79, v77
	v_cmpx_gt_i32_e64 s12, v183
	s_cbranch_execz .LBB123_131
; %bb.130:                              ;   in Loop: Header=BB123_100 Depth=1
	v_add_co_u32 v77, vcc_lo, v232, v200
	v_add_co_ci_u32_e32 v78, vcc_lo, v233, v201, vcc_lo
	global_load_b128 v[77:80], v[77:78], off
.LBB123_131:                            ;   in Loop: Header=BB123_100 Depth=1
	s_or_b32 exec_lo, exec_lo, s1
	v_cmp_gt_i32_e64 s1, s12, v184
	s_branch .LBB123_134
.LBB123_132:                            ;   in Loop: Header=BB123_100 Depth=1
	s_mov_b32 s1, 0
                                        ; implicit-def: $sgpr10_sgpr11
                                        ; implicit-def: $vgpr79_vgpr80
                                        ; implicit-def: $vgpr71_vgpr72
                                        ; implicit-def: $vgpr75_vgpr76
	s_cbranch_execz .LBB123_134
; %bb.133:                              ;   in Loop: Header=BB123_100 Depth=1
	s_waitcnt vmcnt(0)
	v_add_co_u32 v69, vcc_lo, v236, v200
	v_add_co_ci_u32_e32 v70, vcc_lo, v237, v201, vcc_lo
	v_add_co_u32 v77, vcc_lo, v228, v200
	v_add_co_ci_u32_e32 v78, vcc_lo, v229, v201, vcc_lo
	global_load_b128 v[73:76], v[97:98], off offset:-8
	global_load_b128 v[69:72], v[69:70], off
	global_load_b128 v[77:80], v[77:78], off offset:-8
	s_or_b32 s1, s1, exec_lo
                                        ; implicit-def: $sgpr10_sgpr11
.LBB123_134:                            ;   in Loop: Header=BB123_100 Depth=1
	v_dual_mov_b32 v98, s11 :: v_dual_mov_b32 v97, s10
	v_dual_mov_b32 v100, s11 :: v_dual_mov_b32 v99, s10
	s_delay_alu instid0(VALU_DEP_3)
	s_and_saveexec_b32 s10, s1
	s_cbranch_execz .LBB123_136
; %bb.135:                              ;   in Loop: Header=BB123_100 Depth=1
	v_add_co_u32 v97, vcc_lo, v224, v200
	v_add_co_ci_u32_e32 v98, vcc_lo, v225, v201, vcc_lo
	global_load_b128 v[97:100], v[97:98], off
.LBB123_136:                            ;   in Loop: Header=BB123_100 Depth=1
	s_or_b32 exec_lo, exec_lo, s10
	ds_load_b128 v[105:108], v179
	ds_load_b128 v[101:104], v186 offset:512
	v_cmp_ne_u32_e32 vcc_lo, 1, v117
	s_and_b32 vcc_lo, exec_lo, vcc_lo
	s_waitcnt vmcnt(0) lgkmcnt(1)
	v_mul_f64 v[109:110], v[75:76], v[107:108]
	v_mul_f64 v[111:112], v[73:74], v[107:108]
	;; [unrolled: 1-line block ×8, first 2 shown]
	v_fma_f64 v[107:108], v[73:74], v[105:106], -v[109:110]
	v_fma_f64 v[109:110], v[75:76], v[105:106], v[111:112]
	v_fma_f64 v[118:119], v[69:70], v[105:106], -v[113:114]
	v_fma_f64 v[120:121], v[71:72], v[105:106], v[115:116]
	;; [unrolled: 2-line block ×4, first 2 shown]
	ds_store_b128 v187, v[107:110]
	ds_load_b128 v[113:116], v186 offset:528
	ds_store_b128 v187, v[118:121] offset:1072
	ds_load_b128 v[109:112], v186 offset:544
	ds_store_b128 v187, v[122:125] offset:2144
	;; [unrolled: 2-line block ×3, first 2 shown]
	s_waitcnt lgkmcnt(0)
	s_barrier
	buffer_gl0_inv
	ds_load_b128 v[165:168], v182
	ds_load_b128 v[161:164], v182 offset:16
	ds_load_b128 v[153:156], v182 offset:32
	;; [unrolled: 1-line block ×3, first 2 shown]
	v_add_co_u32 v145, s1, v220, v200
	s_delay_alu instid0(VALU_DEP_1)
	v_add_co_ci_u32_e64 v146, s1, v221, v201, s1
	s_waitcnt lgkmcnt(0)
	s_barrier
	buffer_gl0_inv
	s_cbranch_vccnz .LBB123_144
; %bb.137:                              ;   in Loop: Header=BB123_100 Depth=1
	v_mov_b32_e32 v117, 0
	v_mov_b32_e32 v118, 0
	s_mov_b32 s1, exec_lo
	s_delay_alu instid0(VALU_DEP_1)
	v_dual_mov_b32 v122, v118 :: v_dual_mov_b32 v121, v117
	v_dual_mov_b32 v124, v118 :: v_dual_mov_b32 v123, v117
	v_cmpx_gt_i32_e64 s12, v196
	s_cbranch_execz .LBB123_139
; %bb.138:                              ;   in Loop: Header=BB123_100 Depth=1
	global_load_b128 v[121:124], v[145:146], off
.LBB123_139:                            ;   in Loop: Header=BB123_100 Depth=1
	s_or_b32 exec_lo, exec_lo, s1
	v_dual_mov_b32 v120, v118 :: v_dual_mov_b32 v119, v117
	s_mov_b32 s1, exec_lo
	v_cmpx_gt_i32_e64 s12, v197
	s_cbranch_execz .LBB123_141
; %bb.140:                              ;   in Loop: Header=BB123_100 Depth=1
	v_add_co_u32 v117, vcc_lo, v216, v200
	v_add_co_ci_u32_e32 v118, vcc_lo, v217, v201, vcc_lo
	global_load_b128 v[117:120], v[117:118], off
.LBB123_141:                            ;   in Loop: Header=BB123_100 Depth=1
	s_or_b32 exec_lo, exec_lo, s1
	v_mov_b32_e32 v125, 0
	v_mov_b32_e32 v126, 0
	s_mov_b64 s[10:11], 0
	s_mov_b32 s1, exec_lo
	s_delay_alu instid0(VALU_DEP_1)
	v_dual_mov_b32 v128, v126 :: v_dual_mov_b32 v127, v125
	v_cmpx_gt_i32_e64 s12, v198
	s_cbranch_execz .LBB123_143
; %bb.142:                              ;   in Loop: Header=BB123_100 Depth=1
	v_add_co_u32 v125, vcc_lo, v212, v200
	v_add_co_ci_u32_e32 v126, vcc_lo, v213, v201, vcc_lo
	global_load_b128 v[125:128], v[125:126], off
.LBB123_143:                            ;   in Loop: Header=BB123_100 Depth=1
	s_or_b32 exec_lo, exec_lo, s1
	v_cmp_gt_i32_e64 s1, s12, v199
	s_branch .LBB123_146
.LBB123_144:                            ;   in Loop: Header=BB123_100 Depth=1
	s_mov_b32 s1, 0
                                        ; implicit-def: $sgpr10_sgpr11
                                        ; implicit-def: $vgpr127_vgpr128
                                        ; implicit-def: $vgpr119_vgpr120
                                        ; implicit-def: $vgpr123_vgpr124
	s_cbranch_execz .LBB123_146
; %bb.145:                              ;   in Loop: Header=BB123_100 Depth=1
	s_waitcnt vmcnt(0)
	v_add_co_u32 v117, vcc_lo, v216, v200
	v_add_co_ci_u32_e32 v118, vcc_lo, v217, v201, vcc_lo
	v_add_co_u32 v125, vcc_lo, v208, v200
	v_add_co_ci_u32_e32 v126, vcc_lo, v209, v201, vcc_lo
	global_load_b128 v[121:124], v[145:146], off
	global_load_b128 v[117:120], v[117:118], off
	global_load_b128 v[125:128], v[125:126], off offset:-8
	s_or_b32 s1, s1, exec_lo
                                        ; implicit-def: $sgpr10_sgpr11
.LBB123_146:                            ;   in Loop: Header=BB123_100 Depth=1
	v_dual_mov_b32 v146, s11 :: v_dual_mov_b32 v145, s10
	v_dual_mov_b32 v148, s11 :: v_dual_mov_b32 v147, s10
	s_delay_alu instid0(VALU_DEP_3)
	s_and_saveexec_b32 s10, s1
	s_cbranch_execz .LBB123_148
; %bb.147:                              ;   in Loop: Header=BB123_100 Depth=1
	v_add_co_u32 v145, vcc_lo, v204, v200
	v_add_co_ci_u32_e32 v146, vcc_lo, v205, v201, vcc_lo
	global_load_b128 v[145:148], v[145:146], off
.LBB123_148:                            ;   in Loop: Header=BB123_100 Depth=1
	s_or_b32 exec_lo, exec_lo, s10
	v_add_f64 v[93:94], v[93:94], 0
	v_add_f64 v[95:96], v[95:96], 0
	ds_load_b128 v[243:246], v179
	ds_load_b128 v[157:160], v186 offset:768
	v_add_f64 v[165:166], v[165:166], 0
	v_add_f64 v[167:168], v[167:168], 0
	v_cmp_gt_i32_e32 vcc_lo, s12, v170
	s_or_b32 s1, s5, vcc_lo
	s_delay_alu instid0(SALU_CYCLE_1)
	s_and_b32 s5, s0, s1
	s_waitcnt vmcnt(0) lgkmcnt(1)
	v_mul_f64 v[188:189], v[123:124], v[245:246]
	v_mul_f64 v[190:191], v[121:122], v[245:246]
	;; [unrolled: 1-line block ×4, first 2 shown]
	v_add_f64 v[89:90], v[93:94], v[89:90]
	v_add_f64 v[91:92], v[95:96], v[91:92]
	;; [unrolled: 1-line block ×4, first 2 shown]
	v_fma_f64 v[247:248], v[121:122], v[243:244], -v[188:189]
	v_fma_f64 v[249:250], v[123:124], v[243:244], v[190:191]
	v_mul_f64 v[188:189], v[119:120], v[245:246]
	v_mul_f64 v[190:191], v[117:118], v[245:246]
	v_fma_f64 v[192:193], v[145:146], v[243:244], -v[192:193]
	v_fma_f64 v[194:195], v[147:148], v[243:244], v[194:195]
	v_add_f64 v[85:86], v[89:90], v[85:86]
	v_add_f64 v[87:88], v[91:92], v[87:88]
	;; [unrolled: 1-line block ×4, first 2 shown]
	ds_store_b128 v187, v[247:250]
	v_fma_f64 v[251:252], v[117:118], v[243:244], -v[188:189]
	v_fma_f64 v[253:254], v[119:120], v[243:244], v[190:191]
	v_mul_f64 v[188:189], v[127:128], v[245:246]
	v_mul_f64 v[190:191], v[125:126], v[245:246]
	ds_load_b128 v[89:92], v186 offset:784
	v_add_f64 v[93:94], v[85:86], v[81:82]
	v_add_f64 v[95:96], v[87:88], v[83:84]
	;; [unrolled: 1-line block ×6, first 2 shown]
	ds_store_b128 v187, v[251:254] offset:1072
	v_fma_f64 v[188:189], v[125:126], v[243:244], -v[188:189]
	v_fma_f64 v[190:191], v[127:128], v[243:244], v[190:191]
	ds_load_b128 v[85:88], v186 offset:800
	v_add_f64 v[81:82], v[81:82], v[137:138]
	v_add_f64 v[83:84], v[83:84], v[139:140]
	ds_store_b128 v187, v[188:191] offset:2144
	v_add_f64 v[81:82], v[81:82], v[133:134]
	v_add_f64 v[83:84], v[83:84], v[135:136]
	s_delay_alu instid0(VALU_DEP_2) | instskip(NEXT) | instid1(VALU_DEP_2)
	v_add_f64 v[129:130], v[81:82], v[129:130]
	v_add_f64 v[131:132], v[83:84], v[131:132]
	ds_load_b128 v[81:84], v186 offset:816
	ds_store_b128 v187, v[192:195] offset:3216
	s_waitcnt lgkmcnt(0)
	s_barrier
	buffer_gl0_inv
	ds_load_b128 v[133:136], v182
	ds_load_b128 v[137:140], v182 offset:16
	s_waitcnt lgkmcnt(1)
	v_add_f64 v[133:134], v[133:134], 0
	v_add_f64 v[135:136], v[135:136], 0
	s_waitcnt lgkmcnt(0)
	s_delay_alu instid0(VALU_DEP_2) | instskip(NEXT) | instid1(VALU_DEP_2)
	v_add_f64 v[141:142], v[133:134], v[137:138]
	v_add_f64 v[143:144], v[135:136], v[139:140]
	ds_load_b128 v[133:136], v182 offset:32
	ds_load_b128 v[137:140], v182 offset:48
	s_waitcnt lgkmcnt(0)
	s_barrier
	buffer_gl0_inv
	ds_store_b128 v242, v[93:96]
	ds_store_b128 v242, v[129:132] offset:256
	ds_store_b128 v242, v[149:152] offset:512
	v_add_f64 v[133:134], v[141:142], v[133:134]
	v_add_f64 v[135:136], v[143:144], v[135:136]
	s_delay_alu instid0(VALU_DEP_2) | instskip(NEXT) | instid1(VALU_DEP_2)
	v_add_f64 v[133:134], v[133:134], v[137:138]
	v_add_f64 v[135:136], v[135:136], v[139:140]
	ds_store_b128 v242, v[133:136] offset:768
	s_waitcnt lgkmcnt(0)
	s_barrier
	buffer_gl0_inv
	s_and_saveexec_b32 s1, s5
	s_cbranch_execz .LBB123_150
; %bb.149:                              ;   in Loop: Header=BB123_100 Depth=1
	ds_load_b128 v[93:96], v180
	ds_load_b128 v[129:132], v180 offset:16
	s_waitcnt lgkmcnt(0)
	v_add_f64 v[133:134], v[129:130], v[93:94]
	v_add_f64 v[135:136], v[131:132], v[95:96]
	ds_load_b128 v[93:96], v180 offset:32
	ds_load_b128 v[129:132], v180 offset:48
	s_waitcnt lgkmcnt(1)
	v_add_f64 v[93:94], v[133:134], v[93:94]
	v_add_f64 v[95:96], v[135:136], v[95:96]
	s_waitcnt lgkmcnt(0)
	s_delay_alu instid0(VALU_DEP_2) | instskip(NEXT) | instid1(VALU_DEP_2)
	v_add_f64 v[133:134], v[93:94], v[129:130]
	v_add_f64 v[135:136], v[95:96], v[131:132]
	ds_load_b128 v[93:96], v180 offset:64
	ds_load_b128 v[129:132], v180 offset:80
	s_waitcnt lgkmcnt(1)
	v_add_f64 v[93:94], v[133:134], v[93:94]
	v_add_f64 v[95:96], v[135:136], v[95:96]
	s_waitcnt lgkmcnt(0)
	s_delay_alu instid0(VALU_DEP_2) | instskip(NEXT) | instid1(VALU_DEP_2)
	;; [unrolled: 9-line block ×5, first 2 shown]
	v_add_f64 v[133:134], v[93:94], v[129:130]
	v_add_f64 v[135:136], v[95:96], v[131:132]
	ds_load_b128 v[93:96], v180 offset:192
	ds_load_b128 v[129:132], v180 offset:208
	s_waitcnt lgkmcnt(1)
	v_add_f64 v[93:94], v[133:134], v[93:94]
	v_add_f64 v[95:96], v[135:136], v[95:96]
	s_waitcnt lgkmcnt(0)
	s_delay_alu instid0(VALU_DEP_2)
	v_add_f64 v[133:134], v[93:94], v[129:130]
	scratch_load_b32 v129, off, off offset:4 ; 4-byte Folded Reload
	v_add_f64 v[135:136], v[95:96], v[131:132]
	ds_load_b128 v[93:96], v180 offset:224
	s_waitcnt vmcnt(0)
	ds_load_b128 v[129:132], v129
	s_waitcnt lgkmcnt(1)
	v_add_f64 v[93:94], v[133:134], v[93:94]
	v_add_f64 v[95:96], v[135:136], v[95:96]
	s_waitcnt lgkmcnt(0)
	s_delay_alu instid0(VALU_DEP_2) | instskip(NEXT) | instid1(VALU_DEP_2)
	v_add_f64 v[93:94], v[93:94], v[129:130]
	v_add_f64 v[95:96], v[95:96], v[131:132]
	v_mov_b32_e32 v131, v172
	v_ashrrev_i32_e32 v172, 31, v171
	s_delay_alu instid0(VALU_DEP_1) | instskip(NEXT) | instid1(VALU_DEP_3)
	v_lshlrev_b64 v[129:130], 4, v[171:172]
	v_mov_b32_e32 v172, v131
	s_delay_alu instid0(VALU_DEP_2) | instskip(NEXT) | instid1(VALU_DEP_3)
	v_add_co_u32 v129, vcc_lo, s3, v129
	v_add_co_ci_u32_e32 v130, vcc_lo, s9, v130, vcc_lo
	global_store_b128 v[129:130], v[93:96], off
.LBB123_150:                            ;   in Loop: Header=BB123_100 Depth=1
	s_or_b32 exec_lo, exec_lo, s1
	v_mul_f64 v[93:94], v[11:12], v[23:24]
	v_mul_f64 v[23:24], v[9:10], v[23:24]
	;; [unrolled: 1-line block ×4, first 2 shown]
	v_add_co_u32 v202, vcc_lo, v202, s6
	v_add_co_ci_u32_e32 v203, vcc_lo, s7, v203, vcc_lo
	v_add_co_u32 v204, vcc_lo, v204, s6
	v_add_co_ci_u32_e32 v205, vcc_lo, s7, v205, vcc_lo
	;; [unrolled: 2-line block ×8, first 2 shown]
	v_add_co_u32 v218, vcc_lo, v218, s6
	v_fma_f64 v[9:10], v[9:10], v[21:22], -v[93:94]
	v_fma_f64 v[11:12], v[11:12], v[21:22], v[23:24]
	v_mul_f64 v[21:22], v[15:16], v[31:32]
	v_mul_f64 v[23:24], v[13:14], v[31:32]
	v_fma_f64 v[5:6], v[5:6], v[33:34], -v[95:96]
	v_fma_f64 v[7:8], v[7:8], v[33:34], v[35:36]
	v_add_co_ci_u32_e32 v219, vcc_lo, s7, v219, vcc_lo
	v_add_co_u32 v220, vcc_lo, v220, s6
	v_add_co_ci_u32_e32 v221, vcc_lo, s7, v221, vcc_lo
	v_add_co_u32 v222, vcc_lo, v222, s6
	;; [unrolled: 2-line block ×8, first 2 shown]
	v_add_f64 v[0:1], v[0:1], v[9:10]
	v_add_f64 v[2:3], v[2:3], v[11:12]
	v_mul_f64 v[9:10], v[19:20], v[27:28]
	v_mul_f64 v[11:12], v[17:18], v[27:28]
	v_fma_f64 v[13:14], v[13:14], v[29:30], -v[21:22]
	v_fma_f64 v[15:16], v[15:16], v[29:30], v[23:24]
	v_add_co_ci_u32_e32 v235, vcc_lo, s7, v235, vcc_lo
	v_add_co_u32 v236, vcc_lo, v236, s6
	v_add_co_ci_u32_e32 v237, vcc_lo, s7, v237, vcc_lo
	v_add_co_u32 v238, vcc_lo, v238, s6
	;; [unrolled: 2-line block ×3, first 2 shown]
	v_add_nc_u32_e32 v171, 64, v171
	v_add_co_ci_u32_e32 v241, vcc_lo, s7, v241, vcc_lo
	s_add_i32 s5, s14, 2
	s_add_i32 s1, s14, 1
	;; [unrolled: 1-line block ×3, first 2 shown]
	s_cmp_ge_u32 s5, s26
	s_waitcnt_vscnt null, 0x0
	s_barrier
	buffer_gl0_inv
	v_add_f64 v[0:1], v[0:1], v[5:6]
	v_add_f64 v[2:3], v[2:3], v[7:8]
	v_mul_f64 v[5:6], v[43:44], v[55:56]
	v_mul_f64 v[7:8], v[41:42], v[55:56]
	v_fma_f64 v[9:10], v[17:18], v[25:26], -v[9:10]
	v_fma_f64 v[11:12], v[19:20], v[25:26], v[11:12]
	v_add_f64 v[0:1], v[0:1], v[13:14]
	v_add_f64 v[2:3], v[2:3], v[15:16]
	v_mul_f64 v[13:14], v[39:40], v[67:68]
	v_mul_f64 v[15:16], v[37:38], v[67:68]
	v_fma_f64 v[5:6], v[41:42], v[53:54], -v[5:6]
	v_fma_f64 v[7:8], v[43:44], v[53:54], v[7:8]
	;; [unrolled: 6-line block ×12, first 2 shown]
	v_add_f64 v[0:1], v[0:1], v[5:6]
	v_add_f64 v[2:3], v[2:3], v[7:8]
	v_fma_f64 v[5:6], v[145:146], v[81:82], -v[9:10]
	v_fma_f64 v[7:8], v[147:148], v[81:82], v[11:12]
	s_delay_alu instid0(VALU_DEP_4) | instskip(NEXT) | instid1(VALU_DEP_4)
	v_add_f64 v[0:1], v[0:1], v[13:14]
	v_add_f64 v[2:3], v[2:3], v[15:16]
	s_delay_alu instid0(VALU_DEP_2) | instskip(NEXT) | instid1(VALU_DEP_2)
	v_add_f64 v[0:1], v[0:1], v[5:6]
	v_add_f64 v[2:3], v[2:3], v[7:8]
	s_cbranch_scc1 .LBB123_152
; %bb.151:                              ;   in Loop: Header=BB123_100 Depth=1
	s_mov_b32 s14, s1
	s_delay_alu instid0(SALU_CYCLE_1)
	s_cmp_eq_u32 s15, s14
	s_cselect_b32 s12, s27, 0
	s_and_saveexec_b32 s1, s2
	s_cbranch_execnz .LBB123_96
	s_branch .LBB123_100
.LBB123_152:
	scratch_load_b32 v4, off, off offset:8  ; 4-byte Folded Reload
	v_cmp_gt_i32_e32 vcc_lo, s8, v170
	s_or_b32 s0, s28, vcc_lo
	s_delay_alu instid0(SALU_CYCLE_1)
	s_and_b32 s0, s2, s0
	s_waitcnt vmcnt(0)
	v_mad_u32_u24 v4, 0x430, v4, v172
	ds_store_b128 v4, v[0:3]
	s_waitcnt lgkmcnt(0)
	s_barrier
	buffer_gl0_inv
	s_and_saveexec_b32 s1, s0
	s_cbranch_execz .LBB123_154
; %bb.153:
	ds_load_b128 v[0:3], v172 offset:1072
	ds_load_b128 v[4:7], v172
	s_waitcnt lgkmcnt(0)
	v_add_f64 v[8:9], v[0:1], v[4:5]
	v_add_f64 v[10:11], v[2:3], v[6:7]
	ds_load_b128 v[0:3], v172 offset:2144
	ds_load_b128 v[4:7], v172 offset:3216
	s_waitcnt lgkmcnt(1)
	v_add_f64 v[0:1], v[8:9], v[0:1]
	v_add_f64 v[2:3], v[10:11], v[2:3]
	s_waitcnt lgkmcnt(0)
	s_delay_alu instid0(VALU_DEP_2) | instskip(SKIP_4) | instid1(VALU_DEP_1)
	v_add_f64 v[0:1], v[0:1], v[4:5]
	scratch_load_b64 v[4:5], off, off offset:12 ; 8-byte Folded Reload
	v_add_f64 v[2:3], v[2:3], v[6:7]
	s_waitcnt vmcnt(0)
	v_ashrrev_i32_e32 v5, 31, v4
	v_lshlrev_b64 v[4:5], 4, v[4:5]
	s_delay_alu instid0(VALU_DEP_1) | instskip(NEXT) | instid1(VALU_DEP_2)
	v_add_co_u32 v4, vcc_lo, s3, v4
	v_add_co_ci_u32_e32 v5, vcc_lo, s9, v5, vcc_lo
	global_store_b128 v[4:5], v[0:3], off
.LBB123_154:
	s_nop 0
	s_sendmsg sendmsg(MSG_DEALLOC_VGPRS)
	s_endpgm
	.section	.rodata,"a",@progbits
	.p2align	6, 0x0
	.amdhsa_kernel _ZL26rocblas_hemvn_kernel_upperILb0ELi64ELi4ELi33ELi32ELi16EiPK19rocblas_complex_numIdES3_PS1_EviT6_lT7_lT5_lS6_lS7_lS5_lT8_i
		.amdhsa_group_segment_fixed_size 19200
		.amdhsa_private_segment_fixed_size 24
		.amdhsa_kernarg_size 376
		.amdhsa_user_sgpr_count 14
		.amdhsa_user_sgpr_dispatch_ptr 0
		.amdhsa_user_sgpr_queue_ptr 0
		.amdhsa_user_sgpr_kernarg_segment_ptr 1
		.amdhsa_user_sgpr_dispatch_id 0
		.amdhsa_user_sgpr_private_segment_size 0
		.amdhsa_wavefront_size32 1
		.amdhsa_uses_dynamic_stack 0
		.amdhsa_enable_private_segment 1
		.amdhsa_system_sgpr_workgroup_id_x 1
		.amdhsa_system_sgpr_workgroup_id_y 0
		.amdhsa_system_sgpr_workgroup_id_z 1
		.amdhsa_system_sgpr_workgroup_info 0
		.amdhsa_system_vgpr_workitem_id 1
		.amdhsa_next_free_vgpr 256
		.amdhsa_next_free_sgpr 35
		.amdhsa_reserve_vcc 1
		.amdhsa_float_round_mode_32 0
		.amdhsa_float_round_mode_16_64 0
		.amdhsa_float_denorm_mode_32 3
		.amdhsa_float_denorm_mode_16_64 3
		.amdhsa_dx10_clamp 1
		.amdhsa_ieee_mode 1
		.amdhsa_fp16_overflow 0
		.amdhsa_workgroup_processor_mode 1
		.amdhsa_memory_ordered 1
		.amdhsa_forward_progress 0
		.amdhsa_shared_vgpr_count 0
		.amdhsa_exception_fp_ieee_invalid_op 0
		.amdhsa_exception_fp_denorm_src 0
		.amdhsa_exception_fp_ieee_div_zero 0
		.amdhsa_exception_fp_ieee_overflow 0
		.amdhsa_exception_fp_ieee_underflow 0
		.amdhsa_exception_fp_ieee_inexact 0
		.amdhsa_exception_int_div_zero 0
	.end_amdhsa_kernel
	.section	.text._ZL26rocblas_hemvn_kernel_upperILb0ELi64ELi4ELi33ELi32ELi16EiPK19rocblas_complex_numIdES3_PS1_EviT6_lT7_lT5_lS6_lS7_lS5_lT8_i,"axG",@progbits,_ZL26rocblas_hemvn_kernel_upperILb0ELi64ELi4ELi33ELi32ELi16EiPK19rocblas_complex_numIdES3_PS1_EviT6_lT7_lT5_lS6_lS7_lS5_lT8_i,comdat
.Lfunc_end123:
	.size	_ZL26rocblas_hemvn_kernel_upperILb0ELi64ELi4ELi33ELi32ELi16EiPK19rocblas_complex_numIdES3_PS1_EviT6_lT7_lT5_lS6_lS7_lS5_lT8_i, .Lfunc_end123-_ZL26rocblas_hemvn_kernel_upperILb0ELi64ELi4ELi33ELi32ELi16EiPK19rocblas_complex_numIdES3_PS1_EviT6_lT7_lT5_lS6_lS7_lS5_lT8_i
                                        ; -- End function
	.section	.AMDGPU.csdata,"",@progbits
; Kernel info:
; codeLenInByte = 12428
; NumSgprs: 37
; NumVgprs: 256
; ScratchSize: 24
; MemoryBound: 1
; FloatMode: 240
; IeeeMode: 1
; LDSByteSize: 19200 bytes/workgroup (compile time only)
; SGPRBlocks: 4
; VGPRBlocks: 31
; NumSGPRsForWavesPerEU: 37
; NumVGPRsForWavesPerEU: 256
; Occupancy: 5
; WaveLimiterHint : 1
; COMPUTE_PGM_RSRC2:SCRATCH_EN: 1
; COMPUTE_PGM_RSRC2:USER_SGPR: 14
; COMPUTE_PGM_RSRC2:TRAP_HANDLER: 0
; COMPUTE_PGM_RSRC2:TGID_X_EN: 1
; COMPUTE_PGM_RSRC2:TGID_Y_EN: 0
; COMPUTE_PGM_RSRC2:TGID_Z_EN: 1
; COMPUTE_PGM_RSRC2:TIDIG_COMP_CNT: 1
	.section	.text._ZL26rocblas_hemvn_kernel_upperILb0ELi64ELi4ELi33ELi32ELi16El19rocblas_complex_numIdEPKS1_PS1_EviT6_lT7_lT5_lS6_lS7_lS5_lT8_i,"axG",@progbits,_ZL26rocblas_hemvn_kernel_upperILb0ELi64ELi4ELi33ELi32ELi16El19rocblas_complex_numIdEPKS1_PS1_EviT6_lT7_lT5_lS6_lS7_lS5_lT8_i,comdat
	.globl	_ZL26rocblas_hemvn_kernel_upperILb0ELi64ELi4ELi33ELi32ELi16El19rocblas_complex_numIdEPKS1_PS1_EviT6_lT7_lT5_lS6_lS7_lS5_lT8_i ; -- Begin function _ZL26rocblas_hemvn_kernel_upperILb0ELi64ELi4ELi33ELi32ELi16El19rocblas_complex_numIdEPKS1_PS1_EviT6_lT7_lT5_lS6_lS7_lS5_lT8_i
	.p2align	8
	.type	_ZL26rocblas_hemvn_kernel_upperILb0ELi64ELi4ELi33ELi32ELi16El19rocblas_complex_numIdEPKS1_PS1_EviT6_lT7_lT5_lS6_lS7_lS5_lT8_i,@function
_ZL26rocblas_hemvn_kernel_upperILb0ELi64ELi4ELi33ELi32ELi16El19rocblas_complex_numIdEPKS1_PS1_EviT6_lT7_lT5_lS6_lS7_lS5_lT8_i: ; @_ZL26rocblas_hemvn_kernel_upperILb0ELi64ELi4ELi33ELi32ELi16El19rocblas_complex_numIdEPKS1_PS1_EviT6_lT7_lT5_lS6_lS7_lS5_lT8_i
; %bb.0:
	s_load_b64 s[4:5], s[0:1], 0x94
	s_add_u32 s2, s0, 0x88
	s_addc_u32 s3, s1, 0
	s_waitcnt lgkmcnt(0)
	s_lshr_b32 s6, s4, 16
	s_and_b32 s4, s4, 0xffff
	s_and_b32 s5, s5, 0xffff
	s_mul_i32 s4, s6, s4
	s_delay_alu instid0(SALU_CYCLE_1) | instskip(NEXT) | instid1(SALU_CYCLE_1)
	s_mul_i32 s4, s4, s5
	s_cmpk_lg_i32 s4, 0x100
	s_cbranch_scc1 .LBB124_154
; %bb.1:
	s_load_b128 s[4:7], s[0:1], 0x8
	s_waitcnt lgkmcnt(0)
	v_cmp_neq_f64_e64 s4, s[4:5], 0
	v_cmp_neq_f64_e64 s5, s[6:7], 0
	s_delay_alu instid0(VALU_DEP_1)
	s_or_b32 s4, s4, s5
	s_mov_b32 s5, -1
	s_and_b32 vcc_lo, exec_lo, s4
	s_cbranch_vccnz .LBB124_3
; %bb.2:
	s_load_b128 s[8:11], s[0:1], 0x60
	s_waitcnt lgkmcnt(0)
	v_cmp_neq_f64_e64 s5, s[8:9], 1.0
	v_cmp_neq_f64_e64 s6, s[10:11], 0
	s_delay_alu instid0(VALU_DEP_1)
	s_or_b32 s5, s5, s6
.LBB124_3:
	s_delay_alu instid0(SALU_CYCLE_1)
	s_and_not1_b32 vcc_lo, exec_lo, s5
	s_cbranch_vccnz .LBB124_154
; %bb.4:
	s_and_not1_b32 vcc_lo, exec_lo, s4
	s_cbranch_vccnz .LBB124_154
; %bb.5:
	s_load_b512 s[16:31], s[0:1], 0x20
	v_and_b32_e32 v183, 0x3ff, v0
	s_load_b32 s9, s[2:3], 0x0
	v_bfe_u32 v0, v0, 10, 10
	scratch_store_b32 off, v0, off offset:4 ; 4-byte Folded Spill
	s_waitcnt lgkmcnt(0)
	s_mul_i32 s5, s15, s31
	s_mul_hi_u32 s6, s15, s30
	s_mul_i32 s4, s15, s30
	s_add_i32 s5, s6, s5
	s_load_b32 s30, s[0:1], 0x0
	s_lshl_b64 s[4:5], s[4:5], 4
	s_delay_alu instid0(SALU_CYCLE_1) | instskip(SKIP_2) | instid1(SALU_CYCLE_1)
	s_add_u32 s6, s24, s4
	s_addc_u32 s7, s25, s5
	s_lshl_b64 s[4:5], s[26:27], 4
	s_add_u32 s4, s6, s4
	s_addc_u32 s5, s7, s5
	s_lshl_b32 s12, s14, 6
	s_add_i32 s3, s9, -1
	v_add_nc_u32_e32 v4, s12, v183
	s_delay_alu instid0(VALU_DEP_1)
	v_ashrrev_i32_e32 v5, 31, v4
	v_mul_lo_u32 v3, v4, s29
	v_mad_u64_u32 v[1:2], null, v4, s28, 0
	s_waitcnt lgkmcnt(0)
	s_ashr_i32 s25, s30, 31
	scratch_store_b64 off, v[4:5], off offset:8 ; 8-byte Folded Spill
	v_mul_lo_u32 v4, v5, s28
	s_lshr_b32 s2, s25, 26
	s_delay_alu instid0(SALU_CYCLE_1) | instskip(NEXT) | instid1(SALU_CYCLE_1)
	s_add_i32 s2, s30, s2
	s_and_not1_b32 s2, s2, 63
	s_delay_alu instid0(SALU_CYCLE_1) | instskip(NEXT) | instid1(VALU_DEP_1)
	s_sub_i32 s24, s30, s2
	v_add3_u32 v2, v2, v3, v4
	v_cmp_eq_u32_e64 s2, 0, v0
	s_cmp_eq_u32 s14, s3
	s_cselect_b32 s10, s24, 0
	s_delay_alu instid0(VALU_DEP_2) | instskip(NEXT) | instid1(VALU_DEP_1)
	v_lshlrev_b64 v[1:2], 4, v[1:2]
	v_add_co_u32 v38, vcc_lo, s4, v1
	s_delay_alu instid0(VALU_DEP_2)
	v_add_co_ci_u32_e32 v39, vcc_lo, s5, v2, vcc_lo
	s_mov_b32 s4, -1
	s_and_saveexec_b32 s3, s2
	s_cbranch_execz .LBB124_10
; %bb.6:
	v_cmp_le_i32_e32 vcc_lo, s10, v183
	s_cmp_lg_u32 s10, 0
	v_lshl_add_u32 v0, v183, 4, 0x4700
	s_cselect_b32 s5, -1, 0
	s_delay_alu instid0(SALU_CYCLE_1) | instskip(NEXT) | instid1(SALU_CYCLE_1)
	s_and_b32 s5, s5, vcc_lo
	s_and_saveexec_b32 s6, s5
	s_delay_alu instid0(SALU_CYCLE_1)
	s_xor_b32 s5, exec_lo, s6
	s_cbranch_execz .LBB124_8
; %bb.7:
	v_mov_b32_e32 v1, 0
	s_delay_alu instid0(VALU_DEP_1)
	v_mov_b32_e32 v2, v1
	v_mov_b32_e32 v3, v1
	;; [unrolled: 1-line block ×3, first 2 shown]
	ds_store_b128 v0, v[1:4]
                                        ; implicit-def: $vgpr0
.LBB124_8:
	s_and_not1_saveexec_b32 s5, s5
	s_cbranch_execz .LBB124_10
; %bb.9:
	global_load_b128 v[1:4], v[38:39], off
	s_waitcnt vmcnt(0)
	ds_store_2addr_b64 v0, v[1:2], v[3:4] offset1:1
.LBB124_10:
	s_or_b32 exec_lo, exec_lo, s3
	scratch_load_b32 v0, off, off offset:4  ; 4-byte Folded Reload
	v_dual_mov_b32 v5, 0 :: v_dual_and_b32 v4, 31, v183
	s_mul_i32 s3, s15, s23
	s_mul_hi_u32 s5, s15, s22
	s_mul_i32 s6, s15, s22
	s_add_i32 s7, s5, s3
	v_lshlrev_b32_e32 v13, 4, v4
	s_lshl_b64 s[6:7], s[6:7], 4
	s_delay_alu instid0(SALU_CYCLE_1) | instskip(SKIP_2) | instid1(SALU_CYCLE_1)
	s_add_u32 s3, s16, s6
	s_addc_u32 s5, s17, s7
	s_lshl_b64 s[6:7], s[18:19], 4
	s_add_u32 s3, s3, s6
	s_addc_u32 s5, s5, s7
	s_ashr_i32 s13, s12, 31
	s_delay_alu instid0(SALU_CYCLE_1) | instskip(NEXT) | instid1(SALU_CYCLE_1)
	s_lshl_b64 s[6:7], s[12:13], 4
	s_add_u32 s3, s3, s6
	s_addc_u32 s5, s5, s7
	s_mul_i32 s6, s12, s21
	s_mul_hi_u32 s7, s12, s20
	s_delay_alu instid0(SALU_CYCLE_1) | instskip(SKIP_1) | instid1(SALU_CYCLE_1)
	s_add_i32 s6, s7, s6
	s_mul_i32 s7, s13, s20
	s_add_i32 s7, s6, s7
	s_mul_i32 s6, s12, s20
	s_delay_alu instid0(SALU_CYCLE_1) | instskip(NEXT) | instid1(SALU_CYCLE_1)
	s_lshl_b64 s[6:7], s[6:7], 4
	s_add_u32 s3, s6, s3
	s_addc_u32 s5, s7, s5
	s_cmp_eq_u32 s10, 0
	s_cselect_b32 s18, -1, 0
	s_cmp_lg_u32 s10, 0
	s_cselect_b32 s19, -1, 0
	s_delay_alu instid0(SALU_CYCLE_1) | instskip(SKIP_2) | instid1(VALU_DEP_1)
	s_and_b32 vcc_lo, exec_lo, s19
	s_waitcnt vmcnt(0)
	v_lshl_add_u32 v42, v0, 6, v183
	v_lshrrev_b32_e32 v11, 5, v42
	s_delay_alu instid0(VALU_DEP_1) | instskip(SKIP_1) | instid1(VALU_DEP_2)
	v_mad_u64_u32 v[0:1], null, v11, s20, v[4:5]
	v_mul_u32_u24_e32 v12, 33, v11
	v_mad_u64_u32 v[2:3], null, v11, s21, v[1:2]
	s_delay_alu instid0(VALU_DEP_1) | instskip(NEXT) | instid1(VALU_DEP_1)
	v_mov_b32_e32 v1, v2
	v_lshlrev_b64 v[36:37], 4, v[0:1]
	s_delay_alu instid0(VALU_DEP_1) | instskip(NEXT) | instid1(VALU_DEP_1)
	v_add_co_u32 v0, s3, s3, v36
	v_add_co_ci_u32_e64 v1, s3, s5, v37, s3
	v_cmp_gt_i32_e64 s3, s10, v4
	s_cbranch_vccz .LBB124_28
; %bb.11:
	s_delay_alu instid0(VALU_DEP_3)
	v_sub_co_u32 v2, vcc_lo, v0, v13
	s_ashr_i32 s11, s10, 31
	v_subrev_co_ci_u32_e32 v3, vcc_lo, 0, v1, vcc_lo
	s_lshl_b64 s[4:5], s[10:11], 4
	v_add_lshl_u32 v5, v12, v4, 4
	v_add_co_u32 v2, vcc_lo, v2, s4
	s_delay_alu instid0(VALU_DEP_3) | instskip(SKIP_1) | instid1(VALU_DEP_2)
	v_add_co_ci_u32_e32 v3, vcc_lo, s5, v3, vcc_lo
	s_mov_b32 s6, exec_lo
	v_add_co_u32 v2, vcc_lo, v2, -16
	s_delay_alu instid0(VALU_DEP_2) | instskip(NEXT) | instid1(VALU_DEP_2)
	v_add_co_ci_u32_e32 v3, vcc_lo, -1, v3, vcc_lo
	v_cndmask_b32_e64 v2, v2, v0, s3
	s_delay_alu instid0(VALU_DEP_2)
	v_cndmask_b32_e64 v3, v3, v1, s3
	v_cmpx_le_i32_e64 s10, v11
	s_xor_b32 s6, exec_lo, s6
	s_cbranch_execz .LBB124_13
; %bb.12:
	v_mov_b32_e32 v6, 0
	s_delay_alu instid0(VALU_DEP_1)
	v_mov_b32_e32 v7, v6
	v_mov_b32_e32 v8, v6
	;; [unrolled: 1-line block ×3, first 2 shown]
	ds_store_b128 v5, v[6:9]
.LBB124_13:
	s_and_not1_saveexec_b32 s6, s6
	s_cbranch_execz .LBB124_15
; %bb.14:
	global_load_b128 v[6:9], v[2:3], off
	s_waitcnt vmcnt(0)
	ds_store_2addr_b64 v5, v[6:7], v[8:9] offset1:1
.LBB124_15:
	s_or_b32 exec_lo, exec_lo, s6
	v_add_nc_u32_e32 v6, 8, v11
	s_mov_b32 s6, exec_lo
	s_delay_alu instid0(VALU_DEP_1)
	v_cmpx_le_i32_e64 s10, v6
	s_xor_b32 s6, exec_lo, s6
	s_cbranch_execz .LBB124_17
; %bb.16:
	v_mul_u32_u24_e32 v7, 33, v6
	v_mov_b32_e32 v6, 0
	s_delay_alu instid0(VALU_DEP_2) | instskip(NEXT) | instid1(VALU_DEP_2)
	v_add_lshl_u32 v10, v7, v4, 4
	v_mov_b32_e32 v7, v6
	v_mov_b32_e32 v8, v6
	;; [unrolled: 1-line block ×3, first 2 shown]
	ds_store_b128 v10, v[6:9]
.LBB124_17:
	s_and_not1_saveexec_b32 s6, s6
	s_cbranch_execz .LBB124_19
; %bb.18:
	s_lshl_b64 s[16:17], s[20:21], 7
	v_add_nc_u32_e32 v10, 0x1080, v5
	v_add_co_u32 v6, vcc_lo, v2, s16
	v_add_co_ci_u32_e32 v7, vcc_lo, s17, v3, vcc_lo
	global_load_b128 v[6:9], v[6:7], off
	s_waitcnt vmcnt(0)
	ds_store_2addr_b64 v10, v[6:7], v[8:9] offset1:1
.LBB124_19:
	s_or_b32 exec_lo, exec_lo, s6
	v_add_nc_u32_e32 v6, 16, v11
	s_mov_b32 s6, exec_lo
	s_delay_alu instid0(VALU_DEP_1)
	v_cmpx_le_i32_e64 s10, v6
	s_xor_b32 s6, exec_lo, s6
	s_cbranch_execz .LBB124_21
; %bb.20:
	v_mov_b32_e32 v6, 0
	s_delay_alu instid0(VALU_DEP_1)
	v_mov_b32_e32 v7, v6
	v_mov_b32_e32 v8, v6
	;; [unrolled: 1-line block ×3, first 2 shown]
	ds_store_b128 v5, v[6:9] offset:8448
.LBB124_21:
	s_and_not1_saveexec_b32 s6, s6
	s_cbranch_execz .LBB124_23
; %bb.22:
	s_lshl_b64 s[16:17], s[20:21], 8
	v_add_nc_u32_e32 v10, 0x2100, v5
	v_add_co_u32 v6, vcc_lo, v2, s16
	v_add_co_ci_u32_e32 v7, vcc_lo, s17, v3, vcc_lo
	global_load_b128 v[6:9], v[6:7], off
	s_waitcnt vmcnt(0)
	ds_store_2addr_b64 v10, v[6:7], v[8:9] offset1:1
.LBB124_23:
	s_or_b32 exec_lo, exec_lo, s6
	v_add_nc_u32_e32 v6, 24, v11
	s_mov_b32 s6, exec_lo
	s_delay_alu instid0(VALU_DEP_1)
	v_cmpx_le_i32_e64 s10, v6
	s_xor_b32 s6, exec_lo, s6
	s_cbranch_execz .LBB124_25
; %bb.24:
	v_mov_b32_e32 v6, 0
	s_delay_alu instid0(VALU_DEP_1)
	v_mov_b32_e32 v7, v6
	v_mov_b32_e32 v8, v6
	v_mov_b32_e32 v9, v6
	ds_store_b128 v5, v[6:9] offset:12672
                                        ; implicit-def: $vgpr5
.LBB124_25:
	s_and_not1_saveexec_b32 s6, s6
	s_cbranch_execz .LBB124_27
; %bb.26:
	v_mad_u64_u32 v[6:7], null, 0x180, s20, v[2:3]
	v_add_nc_u32_e32 v5, 0x3180, v5
	s_delay_alu instid0(VALU_DEP_2) | instskip(NEXT) | instid1(VALU_DEP_1)
	v_mad_u64_u32 v[8:9], null, 0x180, s21, v[7:8]
	v_mov_b32_e32 v7, v8
	global_load_b128 v[6:9], v[6:7], off
	s_waitcnt vmcnt(0)
	ds_store_2addr_b64 v5, v[6:7], v[8:9] offset1:1
.LBB124_27:
	s_or_b32 exec_lo, exec_lo, s6
	v_add_co_u32 v2, vcc_lo, v2, v13
	v_add_co_ci_u32_e32 v3, vcc_lo, 0, v3, vcc_lo
	s_delay_alu instid0(VALU_DEP_2) | instskip(NEXT) | instid1(VALU_DEP_2)
	v_sub_co_u32 v2, vcc_lo, v2, s4
	v_subrev_co_ci_u32_e32 v3, vcc_lo, s5, v3, vcc_lo
	s_delay_alu instid0(VALU_DEP_2) | instskip(NEXT) | instid1(VALU_DEP_2)
	v_add_co_u32 v2, vcc_lo, v2, 16
	v_add_co_ci_u32_e32 v3, vcc_lo, 0, v3, vcc_lo
	s_delay_alu instid0(VALU_DEP_2) | instskip(NEXT) | instid1(VALU_DEP_2)
	v_cndmask_b32_e64 v5, v2, v0, s3
	v_cndmask_b32_e64 v6, v3, v1, s3
	s_branch .LBB124_30
.LBB124_28:
                                        ; implicit-def: $vgpr5_vgpr6
	s_and_b32 vcc_lo, exec_lo, s4
	s_cbranch_vccz .LBB124_30
; %bb.29:
	v_mad_u64_u32 v[2:3], null, 0x180, s20, v[0:1]
	s_lshl_b64 s[4:5], s[20:21], 7
	s_delay_alu instid0(SALU_CYCLE_1) | instskip(SKIP_1) | instid1(VALU_DEP_3)
	v_add_co_u32 v14, vcc_lo, v0, s4
	v_add_co_ci_u32_e32 v15, vcc_lo, s5, v1, vcc_lo
	v_mad_u64_u32 v[5:6], null, 0x180, s21, v[3:4]
	s_delay_alu instid0(VALU_DEP_3) | instskip(NEXT) | instid1(VALU_DEP_3)
	v_add_co_u32 v18, vcc_lo, v14, s4
	v_add_co_ci_u32_e32 v19, vcc_lo, s5, v15, vcc_lo
	s_delay_alu instid0(VALU_DEP_3)
	v_mov_b32_e32 v3, v5
	s_clause 0x1
	global_load_b128 v[7:10], v[0:1], off
	global_load_b128 v[14:17], v[14:15], off
	global_load_b128 v[18:21], v[18:19], off
	global_load_b128 v[22:25], v[2:3], off
	v_add_lshl_u32 v2, v12, v4, 4
	v_dual_mov_b32 v6, v1 :: v_dual_mov_b32 v5, v0
	s_delay_alu instid0(VALU_DEP_2)
	v_add_nc_u32_e32 v26, 0x2100, v2
	v_add_nc_u32_e32 v3, 0x1080, v2
	;; [unrolled: 1-line block ×3, first 2 shown]
	s_waitcnt vmcnt(3)
	ds_store_2addr_b64 v2, v[7:8], v[9:10] offset1:1
	s_waitcnt vmcnt(2)
	ds_store_2addr_b64 v3, v[14:15], v[16:17] offset1:1
	;; [unrolled: 2-line block ×4, first 2 shown]
.LBB124_30:
	v_lshlrev_b32_e32 v0, 2, v11
	v_mul_u32_u24_e32 v14, 33, v4
	v_mul_u32_u24_e32 v1, 0x84, v11
	s_waitcnt lgkmcnt(0)
	s_waitcnt_vscnt null, 0x0
	s_barrier
	v_cmp_gt_u32_e64 s4, v0, v4
	v_add_lshl_u32 v17, v0, v14, 4
	buffer_gl0_inv
	s_and_saveexec_b32 s3, s4
	s_cbranch_execz .LBB124_32
; %bb.31:
	v_add_lshl_u32 v2, v1, v4, 4
	ds_load_b128 v[7:10], v2
	s_waitcnt lgkmcnt(0)
	ds_store_b128 v17, v[7:10]
.LBB124_32:
	s_or_b32 exec_lo, exec_lo, s3
	v_cmp_ge_u32_e64 s5, v0, v4
	s_delay_alu instid0(VALU_DEP_1)
	s_and_saveexec_b32 s3, s5
	s_cbranch_execz .LBB124_34
; %bb.33:
	v_or_b32_e32 v2, 1, v0
	s_delay_alu instid0(VALU_DEP_1) | instskip(NEXT) | instid1(VALU_DEP_1)
	v_mul_u32_u24_e32 v2, 33, v2
	v_add_lshl_u32 v2, v2, v4, 4
	ds_load_b128 v[7:10], v2
	s_waitcnt lgkmcnt(0)
	ds_store_b128 v17, v[7:10] offset:16
.LBB124_34:
	s_or_b32 exec_lo, exec_lo, s3
	v_or_b32_e32 v2, 2, v0
	s_delay_alu instid0(VALU_DEP_1) | instskip(NEXT) | instid1(VALU_DEP_1)
	v_cmp_gt_u32_e64 s6, v2, v4
	s_and_saveexec_b32 s3, s6
	s_cbranch_execz .LBB124_36
; %bb.35:
	v_mul_u32_u24_e32 v2, 33, v2
	s_delay_alu instid0(VALU_DEP_1)
	v_add_lshl_u32 v2, v2, v4, 4
	ds_load_b128 v[7:10], v2
	s_waitcnt lgkmcnt(0)
	ds_store_b128 v17, v[7:10] offset:32
.LBB124_36:
	s_or_b32 exec_lo, exec_lo, s3
	v_or_b32_e32 v2, 3, v0
	s_delay_alu instid0(VALU_DEP_1) | instskip(SKIP_1) | instid1(VALU_DEP_2)
	v_mad_u32_u24 v3, v2, 33, v4
	v_cmp_gt_u32_e64 s7, v2, v4
	v_lshlrev_b32_e32 v16, 4, v3
	s_delay_alu instid0(VALU_DEP_2)
	s_and_saveexec_b32 s3, s7
	s_cbranch_execz .LBB124_38
; %bb.37:
	ds_load_b128 v[7:10], v16
	s_waitcnt lgkmcnt(0)
	ds_store_b128 v17, v[7:10] offset:48
.LBB124_38:
	s_or_b32 exec_lo, exec_lo, s3
	v_lshlrev_b32_e32 v18, 4, v0
	v_add_lshl_u32 v15, v1, v4, 4
	s_waitcnt lgkmcnt(0)
	s_barrier
	buffer_gl0_inv
	ds_load_b128 v[0:3], v18 offset:18176
	ds_load_b128 v[7:10], v15
	v_add_nc_u32_e32 v24, 0xfffffbe0, v16
	ds_load_b128 v[19:22], v24
	ds_load_b128 v[25:28], v24 offset:528
	ds_load_b128 v[29:32], v18 offset:18192
	;; [unrolled: 1-line block ×3, first 2 shown]
	v_cmp_gt_u32_e64 s3, 32, v42
	s_waitcnt lgkmcnt(4)
	v_mul_f64 v[33:34], v[2:3], v[9:10]
	v_mul_f64 v[9:10], v[0:1], v[9:10]
	s_waitcnt lgkmcnt(1)
	v_mul_f64 v[40:41], v[31:32], v[21:22]
	v_mul_f64 v[21:22], v[29:30], v[21:22]
	s_delay_alu instid0(VALU_DEP_4) | instskip(NEXT) | instid1(VALU_DEP_4)
	v_fma_f64 v[0:1], v[0:1], v[7:8], -v[33:34]
	v_fma_f64 v[2:3], v[2:3], v[7:8], v[9:10]
	s_waitcnt lgkmcnt(0)
	v_mul_f64 v[33:34], v[45:46], v[27:28]
	v_mul_f64 v[27:28], v[43:44], v[27:28]
	v_fma_f64 v[29:30], v[29:30], v[19:20], -v[40:41]
	v_fma_f64 v[19:20], v[31:32], v[19:20], v[21:22]
	v_add_f64 v[21:22], v[0:1], 0
	v_add_f64 v[31:32], v[2:3], 0
	ds_load_b128 v[0:3], v18 offset:18224
	ds_load_b128 v[7:10], v16
	v_fma_f64 v[33:34], v[43:44], v[25:26], -v[33:34]
	v_fma_f64 v[25:26], v[45:46], v[25:26], v[27:28]
	v_add_lshl_u32 v44, v11, v14, 4
	s_waitcnt lgkmcnt(0)
	s_barrier
	buffer_gl0_inv
	v_lshlrev_b32_e32 v43, 4, v14
	v_mul_f64 v[40:41], v[2:3], v[9:10]
	v_mul_f64 v[9:10], v[0:1], v[9:10]
	v_add_f64 v[21:22], v[21:22], v[29:30]
	v_add_f64 v[19:20], v[31:32], v[19:20]
	s_delay_alu instid0(VALU_DEP_4) | instskip(NEXT) | instid1(VALU_DEP_4)
	v_fma_f64 v[0:1], v[0:1], v[7:8], -v[40:41]
	v_fma_f64 v[2:3], v[2:3], v[7:8], v[9:10]
	s_delay_alu instid0(VALU_DEP_4) | instskip(NEXT) | instid1(VALU_DEP_4)
	v_add_f64 v[7:8], v[21:22], v[33:34]
	v_add_f64 v[9:10], v[19:20], v[25:26]
	s_delay_alu instid0(VALU_DEP_2) | instskip(NEXT) | instid1(VALU_DEP_2)
	v_add_f64 v[7:8], v[7:8], v[0:1]
	v_add_f64 v[9:10], v[9:10], v[2:3]
	v_mov_b32_e32 v0, 0
	v_mov_b32_e32 v1, 0
	s_delay_alu instid0(VALU_DEP_1)
	v_dual_mov_b32 v3, v1 :: v_dual_mov_b32 v2, v0
	ds_store_b128 v44, v[7:10]
	s_waitcnt lgkmcnt(0)
	s_barrier
	buffer_gl0_inv
	s_and_saveexec_b32 s8, s3
	s_cbranch_execz .LBB124_40
; %bb.39:
	ds_load_b128 v[0:3], v43
	ds_load_b128 v[7:10], v43 offset:16
	s_waitcnt lgkmcnt(0)
	v_add_f64 v[19:20], v[7:8], v[0:1]
	v_add_f64 v[21:22], v[9:10], v[2:3]
	ds_load_b128 v[0:3], v43 offset:32
	ds_load_b128 v[7:10], v43 offset:48
	s_waitcnt lgkmcnt(1)
	v_add_f64 v[0:1], v[19:20], v[0:1]
	v_add_f64 v[2:3], v[21:22], v[2:3]
	s_waitcnt lgkmcnt(0)
	s_delay_alu instid0(VALU_DEP_2) | instskip(NEXT) | instid1(VALU_DEP_2)
	v_add_f64 v[19:20], v[0:1], v[7:8]
	v_add_f64 v[21:22], v[2:3], v[9:10]
	ds_load_b128 v[0:3], v43 offset:64
	ds_load_b128 v[7:10], v43 offset:80
	s_waitcnt lgkmcnt(1)
	v_add_f64 v[0:1], v[19:20], v[0:1]
	v_add_f64 v[2:3], v[21:22], v[2:3]
	s_waitcnt lgkmcnt(0)
	s_delay_alu instid0(VALU_DEP_2) | instskip(NEXT) | instid1(VALU_DEP_2)
	;; [unrolled: 9-line block ×3, first 2 shown]
	v_add_f64 v[0:1], v[0:1], v[7:8]
	v_add_f64 v[2:3], v[2:3], v[9:10]
.LBB124_40:
	s_or_b32 exec_lo, exec_lo, s8
	s_lshl_b64 s[16:17], s[20:21], 9
	s_delay_alu instid0(SALU_CYCLE_1) | instskip(SKIP_2) | instid1(VALU_DEP_2)
	v_add_co_u32 v9, vcc_lo, v5, s16
	v_add_co_ci_u32_e32 v10, vcc_lo, s17, v6, vcc_lo
	s_barrier
	v_add_co_u32 v7, vcc_lo, 0x200, v9
	s_delay_alu instid0(VALU_DEP_2)
	v_add_co_ci_u32_e32 v8, vcc_lo, 0, v10, vcc_lo
	s_and_b32 vcc_lo, exec_lo, s19
	buffer_gl0_inv
	s_cbranch_vccz .LBB124_58
; %bb.41:
	v_sub_co_u32 v5, vcc_lo, v7, v13
	s_ashr_i32 s11, s10, 31
	v_subrev_co_ci_u32_e32 v6, vcc_lo, 0, v8, vcc_lo
	s_lshl_b64 s[16:17], s[10:11], 4
	v_or_b32_e32 v19, 32, v4
	v_add_co_u32 v5, vcc_lo, v5, s16
	s_delay_alu instid0(VALU_DEP_3) | instskip(SKIP_1) | instid1(VALU_DEP_2)
	v_add_co_ci_u32_e32 v6, vcc_lo, s17, v6, vcc_lo
	s_sub_i32 s11, s10, 32
	v_add_co_u32 v5, vcc_lo, 0xfffffdf0, v5
	s_delay_alu instid0(VALU_DEP_2) | instskip(SKIP_3) | instid1(VALU_DEP_4)
	v_add_co_ci_u32_e32 v6, vcc_lo, -1, v6, vcc_lo
	v_cmp_gt_i32_e32 vcc_lo, s10, v19
	v_cmp_le_i32_e64 s8, s11, v11
	v_add_lshl_u32 v19, v12, v4, 4
	v_dual_cndmask_b32 v6, v6, v8 :: v_dual_cndmask_b32 v5, v5, v7
	s_delay_alu instid0(VALU_DEP_3) | instskip(NEXT) | instid1(SALU_CYCLE_1)
	s_and_saveexec_b32 s22, s8
	s_xor_b32 s8, exec_lo, s22
	s_cbranch_execz .LBB124_43
; %bb.42:
	v_mov_b32_e32 v20, 0
	s_delay_alu instid0(VALU_DEP_1)
	v_mov_b32_e32 v21, v20
	v_mov_b32_e32 v22, v20
	v_mov_b32_e32 v23, v20
	ds_store_b128 v19, v[20:23]
.LBB124_43:
	s_and_not1_saveexec_b32 s8, s8
	s_cbranch_execz .LBB124_45
; %bb.44:
	global_load_b128 v[20:23], v[5:6], off
	s_waitcnt vmcnt(0)
	ds_store_2addr_b64 v19, v[20:21], v[22:23] offset1:1
.LBB124_45:
	s_or_b32 exec_lo, exec_lo, s8
	v_add_nc_u32_e32 v20, 8, v11
	s_delay_alu instid0(VALU_DEP_1) | instskip(NEXT) | instid1(VALU_DEP_1)
	v_cmp_le_i32_e64 s8, s11, v20
	s_and_saveexec_b32 s22, s8
	s_delay_alu instid0(SALU_CYCLE_1)
	s_xor_b32 s8, exec_lo, s22
	s_cbranch_execz .LBB124_47
; %bb.46:
	v_mul_u32_u24_e32 v21, 33, v20
	v_mov_b32_e32 v20, 0
	s_delay_alu instid0(VALU_DEP_2) | instskip(NEXT) | instid1(VALU_DEP_2)
	v_add_lshl_u32 v25, v21, v4, 4
	v_mov_b32_e32 v21, v20
	v_mov_b32_e32 v22, v20
	;; [unrolled: 1-line block ×3, first 2 shown]
	ds_store_b128 v25, v[20:23]
.LBB124_47:
	s_and_not1_saveexec_b32 s22, s8
	s_cbranch_execz .LBB124_49
; %bb.48:
	s_lshl_b64 s[26:27], s[20:21], 7
	v_add_nc_u32_e32 v25, 0x1080, v19
	v_add_co_u32 v20, s8, v5, s26
	s_delay_alu instid0(VALU_DEP_1)
	v_add_co_ci_u32_e64 v21, s8, s27, v6, s8
	global_load_b128 v[20:23], v[20:21], off
	s_waitcnt vmcnt(0)
	ds_store_2addr_b64 v25, v[20:21], v[22:23] offset1:1
.LBB124_49:
	s_or_b32 exec_lo, exec_lo, s22
	v_add_nc_u32_e32 v20, 16, v11
	s_delay_alu instid0(VALU_DEP_1) | instskip(NEXT) | instid1(VALU_DEP_1)
	v_cmp_le_i32_e64 s8, s11, v20
	s_and_saveexec_b32 s22, s8
	s_delay_alu instid0(SALU_CYCLE_1)
	s_xor_b32 s8, exec_lo, s22
	s_cbranch_execz .LBB124_51
; %bb.50:
	v_mov_b32_e32 v20, 0
	s_delay_alu instid0(VALU_DEP_1)
	v_mov_b32_e32 v21, v20
	v_mov_b32_e32 v22, v20
	;; [unrolled: 1-line block ×3, first 2 shown]
	ds_store_b128 v19, v[20:23] offset:8448
.LBB124_51:
	s_and_not1_saveexec_b32 s22, s8
	s_cbranch_execz .LBB124_53
; %bb.52:
	s_lshl_b64 s[26:27], s[20:21], 8
	v_add_nc_u32_e32 v25, 0x2100, v19
	v_add_co_u32 v20, s8, v5, s26
	s_delay_alu instid0(VALU_DEP_1)
	v_add_co_ci_u32_e64 v21, s8, s27, v6, s8
	global_load_b128 v[20:23], v[20:21], off
	s_waitcnt vmcnt(0)
	ds_store_2addr_b64 v25, v[20:21], v[22:23] offset1:1
.LBB124_53:
	s_or_b32 exec_lo, exec_lo, s22
	v_add_nc_u32_e32 v20, 24, v11
	s_delay_alu instid0(VALU_DEP_1) | instskip(NEXT) | instid1(VALU_DEP_1)
	v_cmp_le_i32_e64 s8, s11, v20
	s_and_saveexec_b32 s11, s8
	s_delay_alu instid0(SALU_CYCLE_1)
	s_xor_b32 s8, exec_lo, s11
	s_cbranch_execz .LBB124_55
; %bb.54:
	v_mov_b32_e32 v20, 0
	s_delay_alu instid0(VALU_DEP_1)
	v_mov_b32_e32 v21, v20
	v_mov_b32_e32 v22, v20
	;; [unrolled: 1-line block ×3, first 2 shown]
	ds_store_b128 v19, v[20:23] offset:12672
                                        ; implicit-def: $vgpr19
.LBB124_55:
	s_and_not1_saveexec_b32 s8, s8
	s_cbranch_execz .LBB124_57
; %bb.56:
	v_mad_u64_u32 v[20:21], null, 0x180, s20, v[5:6]
	v_add_nc_u32_e32 v19, 0x3180, v19
	s_delay_alu instid0(VALU_DEP_2) | instskip(NEXT) | instid1(VALU_DEP_1)
	v_mad_u64_u32 v[22:23], null, 0x180, s21, v[21:22]
	v_mov_b32_e32 v21, v22
	global_load_b128 v[20:23], v[20:21], off
	s_waitcnt vmcnt(0)
	ds_store_2addr_b64 v19, v[20:21], v[22:23] offset1:1
.LBB124_57:
	s_or_b32 exec_lo, exec_lo, s8
	v_add_co_u32 v5, s8, v5, v13
	s_delay_alu instid0(VALU_DEP_1) | instskip(NEXT) | instid1(VALU_DEP_2)
	v_add_co_ci_u32_e64 v6, s8, 0, v6, s8
	v_sub_co_u32 v5, s8, v5, s16
	s_delay_alu instid0(VALU_DEP_1) | instskip(NEXT) | instid1(VALU_DEP_2)
	v_subrev_co_ci_u32_e64 v6, s8, s17, v6, s8
	v_add_co_u32 v5, s8, 0x210, v5
	s_delay_alu instid0(VALU_DEP_1) | instskip(NEXT) | instid1(VALU_DEP_1)
	v_add_co_ci_u32_e64 v6, s8, 0, v6, s8
	v_dual_cndmask_b32 v5, v5, v7 :: v_dual_cndmask_b32 v6, v6, v8
	s_branch .LBB124_60
.LBB124_58:
                                        ; implicit-def: $vgpr5_vgpr6
	s_cbranch_execz .LBB124_60
; %bb.59:
	v_mad_u64_u32 v[5:6], null, 0x180, s20, v[9:10]
	s_lshl_b64 s[16:17], s[20:21], 7
	s_delay_alu instid0(SALU_CYCLE_1) | instskip(SKIP_1) | instid1(VALU_DEP_3)
	v_add_co_u32 v9, vcc_lo, v9, s16
	v_add_co_ci_u32_e32 v10, vcc_lo, s17, v10, vcc_lo
	v_mad_u64_u32 v[19:20], null, 0x180, s21, v[6:7]
	s_delay_alu instid0(VALU_DEP_3) | instskip(NEXT) | instid1(VALU_DEP_3)
	v_add_co_u32 v29, vcc_lo, v9, s16
	v_add_co_ci_u32_e32 v30, vcc_lo, s17, v10, vcc_lo
	s_delay_alu instid0(VALU_DEP_3)
	v_mov_b32_e32 v6, v19
	s_clause 0x3
	global_load_b128 v[19:22], v[7:8], off
	global_load_b128 v[25:28], v[9:10], off offset:512
	global_load_b128 v[29:32], v[29:30], off offset:512
	;; [unrolled: 1-line block ×3, first 2 shown]
	v_add_lshl_u32 v9, v12, v4, 4
	v_dual_mov_b32 v5, v7 :: v_dual_mov_b32 v6, v8
	s_delay_alu instid0(VALU_DEP_2)
	v_add_nc_u32_e32 v23, 0x2100, v9
	v_add_nc_u32_e32 v10, 0x1080, v9
	;; [unrolled: 1-line block ×3, first 2 shown]
	s_waitcnt vmcnt(3)
	ds_store_2addr_b64 v9, v[19:20], v[21:22] offset1:1
	s_waitcnt vmcnt(2)
	ds_store_2addr_b64 v10, v[25:26], v[27:28] offset1:1
	;; [unrolled: 2-line block ×4, first 2 shown]
.LBB124_60:
	s_waitcnt lgkmcnt(0)
	s_barrier
	buffer_gl0_inv
	s_and_saveexec_b32 s8, s4
	s_cbranch_execnz .LBB124_85
; %bb.61:
	s_or_b32 exec_lo, exec_lo, s8
	s_and_saveexec_b32 s4, s5
	s_cbranch_execnz .LBB124_86
.LBB124_62:
	s_or_b32 exec_lo, exec_lo, s4
	s_and_saveexec_b32 s4, s6
	s_cbranch_execnz .LBB124_87
.LBB124_63:
	s_or_b32 exec_lo, exec_lo, s4
	v_add_nc_u32_e32 v25, 0x4700, v18
	s_and_saveexec_b32 s4, s7
	s_cbranch_execz .LBB124_65
.LBB124_64:
	ds_load_b128 v[7:10], v16
	s_waitcnt lgkmcnt(0)
	ds_store_b128 v17, v[7:10] offset:48
.LBB124_65:
	s_or_b32 exec_lo, exec_lo, s4
	s_waitcnt lgkmcnt(0)
	s_barrier
	buffer_gl0_inv
	ds_load_b128 v[7:10], v25 offset:512
	ds_load_b128 v[17:20], v15
	v_cmp_eq_u32_e64 s4, 1, v11
	s_waitcnt lgkmcnt(0)
	v_mul_f64 v[34:35], v[9:10], v[19:20]
	v_mul_f64 v[40:41], v[7:8], v[19:20]
	ds_load_b128 v[19:22], v24
	ds_load_b128 v[26:29], v25 offset:528
	ds_load_b128 v[30:33], v25 offset:544
	s_waitcnt lgkmcnt(1)
	v_mul_f64 v[49:50], v[28:29], v[21:22]
	v_mul_f64 v[21:22], v[26:27], v[21:22]
	v_fma_f64 v[34:35], v[7:8], v[17:18], -v[34:35]
	v_fma_f64 v[17:18], v[9:10], v[17:18], v[40:41]
	ds_load_b128 v[7:10], v24 offset:528
	ds_load_b128 v[45:48], v16
	s_waitcnt lgkmcnt(1)
	v_mul_f64 v[40:41], v[32:33], v[9:10]
	v_mul_f64 v[9:10], v[30:31], v[9:10]
	v_fma_f64 v[26:27], v[26:27], v[19:20], -v[49:50]
	v_fma_f64 v[21:22], v[28:29], v[19:20], v[21:22]
	v_add_f64 v[28:29], v[34:35], 0
	v_add_f64 v[34:35], v[17:18], 0
	ds_load_b128 v[17:20], v25 offset:560
	s_waitcnt lgkmcnt(0)
	s_barrier
	buffer_gl0_inv
	v_fma_f64 v[30:31], v[30:31], v[7:8], -v[40:41]
	v_mul_f64 v[49:50], v[19:20], v[47:48]
	v_mul_f64 v[47:48], v[17:18], v[47:48]
	v_fma_f64 v[7:8], v[32:33], v[7:8], v[9:10]
	v_add_f64 v[9:10], v[28:29], v[26:27]
	v_add_f64 v[21:22], v[34:35], v[21:22]
	v_fma_f64 v[17:18], v[17:18], v[45:46], -v[49:50]
	v_fma_f64 v[19:20], v[19:20], v[45:46], v[47:48]
	s_delay_alu instid0(VALU_DEP_4) | instskip(NEXT) | instid1(VALU_DEP_4)
	v_add_f64 v[9:10], v[9:10], v[30:31]
	v_add_f64 v[21:22], v[21:22], v[7:8]
	s_delay_alu instid0(VALU_DEP_2) | instskip(NEXT) | instid1(VALU_DEP_2)
	v_add_f64 v[7:8], v[9:10], v[17:18]
	v_add_f64 v[9:10], v[21:22], v[19:20]
	ds_store_b128 v44, v[7:10]
	s_waitcnt lgkmcnt(0)
	s_barrier
	buffer_gl0_inv
	s_and_saveexec_b32 s5, s4
	s_cbranch_execz .LBB124_67
; %bb.66:
	ds_load_b128 v[0:3], v43
	ds_load_b128 v[7:10], v43 offset:16
	s_waitcnt lgkmcnt(0)
	v_add_f64 v[17:18], v[7:8], v[0:1]
	v_add_f64 v[19:20], v[9:10], v[2:3]
	ds_load_b128 v[0:3], v43 offset:32
	ds_load_b128 v[7:10], v43 offset:48
	s_waitcnt lgkmcnt(1)
	v_add_f64 v[0:1], v[17:18], v[0:1]
	v_add_f64 v[2:3], v[19:20], v[2:3]
	s_waitcnt lgkmcnt(0)
	s_delay_alu instid0(VALU_DEP_2) | instskip(NEXT) | instid1(VALU_DEP_2)
	v_add_f64 v[17:18], v[0:1], v[7:8]
	v_add_f64 v[19:20], v[2:3], v[9:10]
	ds_load_b128 v[0:3], v43 offset:64
	ds_load_b128 v[7:10], v43 offset:80
	s_waitcnt lgkmcnt(1)
	v_add_f64 v[0:1], v[17:18], v[0:1]
	v_add_f64 v[2:3], v[19:20], v[2:3]
	s_waitcnt lgkmcnt(0)
	s_delay_alu instid0(VALU_DEP_2) | instskip(NEXT) | instid1(VALU_DEP_2)
	;; [unrolled: 9-line block ×3, first 2 shown]
	v_add_f64 v[0:1], v[0:1], v[7:8]
	v_add_f64 v[2:3], v[2:3], v[9:10]
.LBB124_67:
	s_or_b32 exec_lo, exec_lo, s5
	v_add_co_u32 v7, vcc_lo, 0xfffffe00, v5
	v_add_co_ci_u32_e32 v8, vcc_lo, -1, v6, vcc_lo
	s_and_b32 vcc_lo, exec_lo, s19
	s_barrier
	buffer_gl0_inv
	s_cbranch_vccz .LBB124_88
; %bb.68:
	v_sub_co_u32 v9, vcc_lo, v5, v13
	s_ashr_i32 s11, s10, 31
	v_subrev_co_ci_u32_e32 v10, vcc_lo, 0, v6, vcc_lo
	s_lshl_b64 s[6:7], s[10:11], 4
	s_sub_i32 s8, s10, 32
	v_add_co_u32 v9, vcc_lo, v9, s6
	s_delay_alu instid0(VALU_DEP_2) | instskip(SKIP_1) | instid1(VALU_DEP_3)
	v_add_co_ci_u32_e32 v10, vcc_lo, s7, v10, vcc_lo
	v_cmp_le_i32_e64 s5, s8, v11
	v_add_co_u32 v9, vcc_lo, 0xfffffdf0, v9
	s_delay_alu instid0(VALU_DEP_3) | instskip(SKIP_2) | instid1(VALU_DEP_3)
	v_add_co_ci_u32_e32 v10, vcc_lo, -1, v10, vcc_lo
	v_cmp_gt_i32_e32 vcc_lo, s10, v4
	v_add_lshl_u32 v20, v12, v4, 4
	v_dual_cndmask_b32 v10, v10, v8 :: v_dual_cndmask_b32 v9, v9, v7
	s_and_saveexec_b32 s11, s5
	s_delay_alu instid0(SALU_CYCLE_1)
	s_xor_b32 s5, exec_lo, s11
	s_cbranch_execz .LBB124_70
; %bb.69:
	v_mov_b32_e32 v26, 0
	s_delay_alu instid0(VALU_DEP_1)
	v_mov_b32_e32 v27, v26
	v_mov_b32_e32 v28, v26
	;; [unrolled: 1-line block ×3, first 2 shown]
	ds_store_b128 v20, v[26:29]
.LBB124_70:
	s_and_not1_saveexec_b32 s5, s5
	s_cbranch_execz .LBB124_72
; %bb.71:
	global_load_b128 v[26:29], v[9:10], off
	s_waitcnt vmcnt(0)
	ds_store_2addr_b64 v20, v[26:27], v[28:29] offset1:1
.LBB124_72:
	s_or_b32 exec_lo, exec_lo, s5
	v_add_nc_u32_e32 v17, 8, v11
	s_delay_alu instid0(VALU_DEP_1) | instskip(NEXT) | instid1(VALU_DEP_1)
	v_cmp_le_i32_e64 s5, s8, v17
	s_and_saveexec_b32 s11, s5
	s_delay_alu instid0(SALU_CYCLE_1)
	s_xor_b32 s5, exec_lo, s11
	s_cbranch_execz .LBB124_74
; %bb.73:
	v_mul_u32_u24_e32 v18, 33, v17
	v_mov_b32_e32 v26, 0
	s_delay_alu instid0(VALU_DEP_2) | instskip(NEXT) | instid1(VALU_DEP_2)
	v_add_lshl_u32 v18, v18, v4, 4
	v_mov_b32_e32 v27, v26
	v_mov_b32_e32 v28, v26
	;; [unrolled: 1-line block ×3, first 2 shown]
	ds_store_b128 v18, v[26:29]
.LBB124_74:
	s_and_not1_saveexec_b32 s11, s5
	s_cbranch_execz .LBB124_76
; %bb.75:
	s_lshl_b64 s[16:17], s[20:21], 7
	s_delay_alu instid0(SALU_CYCLE_1) | instskip(NEXT) | instid1(VALU_DEP_1)
	v_add_co_u32 v18, s5, v9, s16
	v_add_co_ci_u32_e64 v19, s5, s17, v10, s5
	global_load_b128 v[26:29], v[18:19], off
	v_add_nc_u32_e32 v18, 0x1080, v20
	s_waitcnt vmcnt(0)
	ds_store_2addr_b64 v18, v[26:27], v[28:29] offset1:1
.LBB124_76:
	s_or_b32 exec_lo, exec_lo, s11
	v_add_nc_u32_e32 v18, 16, v11
	s_delay_alu instid0(VALU_DEP_1) | instskip(NEXT) | instid1(VALU_DEP_1)
	v_cmp_le_i32_e64 s5, s8, v18
	s_and_saveexec_b32 s11, s5
	s_delay_alu instid0(SALU_CYCLE_1)
	s_xor_b32 s5, exec_lo, s11
	s_cbranch_execz .LBB124_78
; %bb.77:
	v_mov_b32_e32 v26, 0
	s_delay_alu instid0(VALU_DEP_1)
	v_mov_b32_e32 v27, v26
	v_mov_b32_e32 v28, v26
	;; [unrolled: 1-line block ×3, first 2 shown]
	ds_store_b128 v20, v[26:29] offset:8448
.LBB124_78:
	s_and_not1_saveexec_b32 s11, s5
	s_cbranch_execz .LBB124_80
; %bb.79:
	s_lshl_b64 s[16:17], s[20:21], 8
	v_add_nc_u32_e32 v19, 0x2100, v20
	v_add_co_u32 v21, s5, v9, s16
	s_delay_alu instid0(VALU_DEP_1)
	v_add_co_ci_u32_e64 v22, s5, s17, v10, s5
	global_load_b128 v[26:29], v[21:22], off
	s_waitcnt vmcnt(0)
	ds_store_2addr_b64 v19, v[26:27], v[28:29] offset1:1
.LBB124_80:
	s_or_b32 exec_lo, exec_lo, s11
	v_add_nc_u32_e32 v19, 24, v11
	s_delay_alu instid0(VALU_DEP_1) | instskip(NEXT) | instid1(VALU_DEP_1)
	v_cmp_le_i32_e64 s5, s8, v19
	s_and_saveexec_b32 s8, s5
	s_delay_alu instid0(SALU_CYCLE_1)
	s_xor_b32 s5, exec_lo, s8
	s_cbranch_execz .LBB124_82
; %bb.81:
	v_mov_b32_e32 v26, 0
	s_delay_alu instid0(VALU_DEP_1)
	v_mov_b32_e32 v27, v26
	v_mov_b32_e32 v28, v26
	;; [unrolled: 1-line block ×3, first 2 shown]
	ds_store_b128 v20, v[26:29] offset:12672
                                        ; implicit-def: $vgpr20
.LBB124_82:
	s_and_not1_saveexec_b32 s5, s5
	s_cbranch_execz .LBB124_84
; %bb.83:
	v_mad_u64_u32 v[21:22], null, 0x180, s20, v[9:10]
	v_add_nc_u32_e32 v20, 0x3180, v20
	s_delay_alu instid0(VALU_DEP_2) | instskip(NEXT) | instid1(VALU_DEP_1)
	v_mad_u64_u32 v[26:27], null, 0x180, s21, v[22:23]
	v_mov_b32_e32 v22, v26
	global_load_b128 v[26:29], v[21:22], off
	s_waitcnt vmcnt(0)
	ds_store_2addr_b64 v20, v[26:27], v[28:29] offset1:1
.LBB124_84:
	s_or_b32 exec_lo, exec_lo, s5
	v_add_co_u32 v9, s5, v9, v13
	s_delay_alu instid0(VALU_DEP_1) | instskip(NEXT) | instid1(VALU_DEP_2)
	v_add_co_ci_u32_e64 v10, s5, 0, v10, s5
	v_sub_co_u32 v9, s5, v9, s6
	s_delay_alu instid0(VALU_DEP_1) | instskip(NEXT) | instid1(VALU_DEP_2)
	v_subrev_co_ci_u32_e64 v10, s5, s7, v10, s5
	v_add_co_u32 v9, s5, v9, 16
	s_delay_alu instid0(VALU_DEP_1) | instskip(NEXT) | instid1(VALU_DEP_1)
	v_add_co_ci_u32_e64 v10, s5, 0, v10, s5
	v_dual_cndmask_b32 v40, v9, v7 :: v_dual_cndmask_b32 v41, v10, v8
	s_branch .LBB124_90
.LBB124_85:
	ds_load_b128 v[7:10], v15
	s_waitcnt lgkmcnt(0)
	ds_store_b128 v17, v[7:10]
	s_or_b32 exec_lo, exec_lo, s8
	s_and_saveexec_b32 s4, s5
	s_cbranch_execz .LBB124_62
.LBB124_86:
	ds_load_b128 v[7:10], v24
	s_waitcnt lgkmcnt(0)
	ds_store_b128 v17, v[7:10] offset:16
	s_or_b32 exec_lo, exec_lo, s4
	s_and_saveexec_b32 s4, s6
	s_cbranch_execz .LBB124_63
.LBB124_87:
	v_add_nc_u32_e32 v7, 0x210, v24
	ds_load_b128 v[7:10], v7
	s_waitcnt lgkmcnt(0)
	ds_store_b128 v17, v[7:10] offset:32
	s_or_b32 exec_lo, exec_lo, s4
	v_add_nc_u32_e32 v25, 0x4700, v18
	s_and_saveexec_b32 s4, s7
	s_cbranch_execnz .LBB124_64
	s_branch .LBB124_65
.LBB124_88:
                                        ; implicit-def: $vgpr40_vgpr41
                                        ; implicit-def: $vgpr17
                                        ; implicit-def: $vgpr18
                                        ; implicit-def: $vgpr19
	s_cbranch_execz .LBB124_90
; %bb.89:
	v_mad_u64_u32 v[9:10], null, 0x180, s20, v[5:6]
	s_lshl_b64 s[6:7], s[20:21], 7
	v_add_lshl_u32 v4, v12, v4, 4
	v_add_co_u32 v5, vcc_lo, v5, s6
	v_add_co_ci_u32_e32 v6, vcc_lo, s7, v6, vcc_lo
	s_delay_alu instid0(VALU_DEP_4) | instskip(NEXT) | instid1(VALU_DEP_3)
	v_mad_u64_u32 v[17:18], null, 0x180, s21, v[10:11]
	v_add_co_u32 v18, vcc_lo, v5, s6
	s_delay_alu instid0(VALU_DEP_3) | instskip(SKIP_1) | instid1(VALU_DEP_4)
	v_add_co_ci_u32_e32 v19, vcc_lo, s7, v6, vcc_lo
	v_dual_mov_b32 v41, v8 :: v_dual_mov_b32 v40, v7
	v_dual_mov_b32 v10, v17 :: v_dual_add_nc_u32 v17, 8, v11
	s_clause 0x3
	global_load_b128 v[20:23], v[7:8], off
	global_load_b128 v[26:29], v[5:6], off offset:-512
	global_load_b128 v[30:33], v[18:19], off offset:-512
	;; [unrolled: 1-line block ×3, first 2 shown]
	v_add_nc_u32_e32 v18, 16, v11
	v_add_nc_u32_e32 v5, 0x1080, v4
	;; [unrolled: 1-line block ×5, first 2 shown]
	s_waitcnt vmcnt(3)
	ds_store_2addr_b64 v4, v[20:21], v[22:23] offset1:1
	s_waitcnt vmcnt(2)
	ds_store_2addr_b64 v5, v[26:27], v[28:29] offset1:1
	;; [unrolled: 2-line block ×4, first 2 shown]
.LBB124_90:
	v_lshlrev_b32_e32 v4, 4, v11
	s_waitcnt lgkmcnt(0)
	s_barrier
	buffer_gl0_inv
	v_add_lshl_u32 v12, v17, v14, 4
	ds_load_b128 v[8:11], v4 offset:18176
	ds_load_b128 v[20:23], v44
	ds_load_b128 v[4:7], v24 offset:528
	ds_load_b128 v[26:29], v12
	s_waitcnt lgkmcnt(2)
	v_mul_f64 v[34:35], v[22:23], v[10:11]
	v_mul_f64 v[45:46], v[20:21], v[10:11]
	v_lshlrev_b32_e32 v10, 4, v17
	v_add_lshl_u32 v17, v18, v14, 4
	v_add_lshl_u32 v14, v19, v14, 4
	ds_load_b128 v[10:13], v10 offset:18176
	ds_load_b128 v[30:33], v17
	v_lshlrev_b32_e32 v17, 4, v18
	v_fma_f64 v[34:35], v[20:21], v[8:9], -v[34:35]
	v_fma_f64 v[8:9], v[22:23], v[8:9], v[45:46]
	ds_load_b128 v[45:48], v14
	s_waitcnt lgkmcnt(2)
	v_mul_f64 v[49:50], v[28:29], v[12:13]
	v_mul_f64 v[12:13], v[26:27], v[12:13]
	ds_load_b128 v[20:23], v17 offset:18176
	s_waitcnt lgkmcnt(0)
	v_mul_f64 v[17:18], v[32:33], v[22:23]
	v_mul_f64 v[22:23], v[30:31], v[22:23]
	v_add_f64 v[34:35], v[34:35], 0
	v_add_f64 v[51:52], v[8:9], 0
	v_lshlrev_b32_e32 v8, 4, v19
	v_fma_f64 v[49:50], v[26:27], v[10:11], -v[49:50]
	v_fma_f64 v[12:13], v[28:29], v[10:11], v[12:13]
	ds_load_b128 v[26:29], v8 offset:18176
	ds_load_b128 v[8:11], v16
	v_fma_f64 v[16:17], v[30:31], v[20:21], -v[17:18]
	s_waitcnt lgkmcnt(1)
	v_mul_f64 v[53:54], v[47:48], v[28:29]
	v_mul_f64 v[28:29], v[45:46], v[28:29]
	v_fma_f64 v[18:19], v[32:33], v[20:21], v[22:23]
	v_add_f64 v[20:21], v[34:35], v[49:50]
	v_add_f64 v[12:13], v[51:52], v[12:13]
	v_fma_f64 v[22:23], v[45:46], v[26:27], -v[53:54]
	v_fma_f64 v[26:27], v[47:48], v[26:27], v[28:29]
	s_delay_alu instid0(VALU_DEP_4) | instskip(NEXT) | instid1(VALU_DEP_4)
	v_add_f64 v[16:17], v[20:21], v[16:17]
	v_add_f64 v[12:13], v[12:13], v[18:19]
	s_delay_alu instid0(VALU_DEP_2) | instskip(NEXT) | instid1(VALU_DEP_2)
	v_add_f64 v[45:46], v[16:17], v[22:23]
	v_add_f64 v[47:48], v[12:13], v[26:27]
	ds_load_b128 v[20:23], v25 offset:528
	ds_load_b128 v[16:19], v25 offset:544
	;; [unrolled: 1-line block ×3, first 2 shown]
	ds_load_b128 v[32:35], v15
	ds_load_b128 v[12:15], v25 offset:560
	ds_load_b128 v[24:27], v24
	s_waitcnt lgkmcnt(0)
	s_barrier
	buffer_gl0_inv
	ds_store_b128 v44, v[45:48]
	s_waitcnt lgkmcnt(0)
	s_barrier
	buffer_gl0_inv
	s_and_saveexec_b32 s5, s4
	s_cbranch_execz .LBB124_92
; %bb.91:
	ds_load_b128 v[45:48], v43
	ds_load_b128 v[49:52], v43 offset:16
	s_waitcnt lgkmcnt(1)
	v_add_f64 v[0:1], v[0:1], v[45:46]
	v_add_f64 v[2:3], v[2:3], v[47:48]
	s_waitcnt lgkmcnt(0)
	s_delay_alu instid0(VALU_DEP_2) | instskip(NEXT) | instid1(VALU_DEP_2)
	v_add_f64 v[49:50], v[0:1], v[49:50]
	v_add_f64 v[51:52], v[2:3], v[51:52]
	ds_load_b128 v[0:3], v43 offset:32
	ds_load_b128 v[45:48], v43 offset:48
	s_waitcnt lgkmcnt(1)
	v_add_f64 v[0:1], v[49:50], v[0:1]
	v_add_f64 v[2:3], v[51:52], v[2:3]
	s_waitcnt lgkmcnt(0)
	s_delay_alu instid0(VALU_DEP_2) | instskip(NEXT) | instid1(VALU_DEP_2)
	v_add_f64 v[49:50], v[0:1], v[45:46]
	v_add_f64 v[51:52], v[2:3], v[47:48]
	ds_load_b128 v[0:3], v43 offset:64
	;; [unrolled: 9-line block ×3, first 2 shown]
	ds_load_b128 v[45:48], v43 offset:112
	s_waitcnt lgkmcnt(1)
	v_add_f64 v[0:1], v[49:50], v[0:1]
	v_add_f64 v[2:3], v[51:52], v[2:3]
	s_waitcnt lgkmcnt(0)
	s_delay_alu instid0(VALU_DEP_2) | instskip(NEXT) | instid1(VALU_DEP_2)
	v_add_f64 v[0:1], v[0:1], v[45:46]
	v_add_f64 v[2:3], v[2:3], v[47:48]
.LBB124_92:
	s_or_b32 exec_lo, exec_lo, s5
	v_mul_f64 v[45:46], v[30:31], v[34:35]
	v_mul_f64 v[34:35], v[28:29], v[34:35]
	;; [unrolled: 1-line block ×4, first 2 shown]
	s_barrier
	buffer_gl0_inv
	v_fma_f64 v[28:29], v[28:29], v[32:33], -v[45:46]
	v_fma_f64 v[30:31], v[30:31], v[32:33], v[34:35]
	v_mul_f64 v[32:33], v[18:19], v[6:7]
	v_mul_f64 v[6:7], v[16:17], v[6:7]
	v_fma_f64 v[20:21], v[20:21], v[24:25], -v[47:48]
	v_fma_f64 v[22:23], v[22:23], v[24:25], v[26:27]
	v_add_f64 v[24:25], v[28:29], 0
	v_add_f64 v[26:27], v[30:31], 0
	v_mul_f64 v[28:29], v[14:15], v[10:11]
	v_mul_f64 v[10:11], v[12:13], v[10:11]
	v_fma_f64 v[16:17], v[16:17], v[4:5], -v[32:33]
	v_fma_f64 v[4:5], v[18:19], v[4:5], v[6:7]
	v_add_f64 v[6:7], v[24:25], v[20:21]
	v_add_f64 v[18:19], v[26:27], v[22:23]
	v_fma_f64 v[12:13], v[12:13], v[8:9], -v[28:29]
	v_fma_f64 v[8:9], v[14:15], v[8:9], v[10:11]
	s_delay_alu instid0(VALU_DEP_4) | instskip(NEXT) | instid1(VALU_DEP_4)
	v_add_f64 v[6:7], v[6:7], v[16:17]
	v_add_f64 v[10:11], v[18:19], v[4:5]
	s_delay_alu instid0(VALU_DEP_2) | instskip(NEXT) | instid1(VALU_DEP_2)
	v_add_f64 v[4:5], v[6:7], v[12:13]
	v_add_f64 v[6:7], v[10:11], v[8:9]
	ds_store_b128 v44, v[4:7]
	s_waitcnt lgkmcnt(0)
	s_barrier
	buffer_gl0_inv
	s_and_saveexec_b32 s4, s3
	s_cbranch_execz .LBB124_94
; %bb.93:
	ds_load_b128 v[4:7], v43
	ds_load_b128 v[8:11], v43 offset:16
	s_waitcnt lgkmcnt(1)
	v_add_f64 v[0:1], v[0:1], v[4:5]
	v_add_f64 v[2:3], v[2:3], v[6:7]
	s_waitcnt lgkmcnt(0)
	s_delay_alu instid0(VALU_DEP_2) | instskip(NEXT) | instid1(VALU_DEP_2)
	v_add_f64 v[8:9], v[0:1], v[8:9]
	v_add_f64 v[10:11], v[2:3], v[10:11]
	ds_load_b128 v[0:3], v43 offset:32
	ds_load_b128 v[4:7], v43 offset:48
	s_waitcnt lgkmcnt(1)
	v_add_f64 v[0:1], v[8:9], v[0:1]
	v_add_f64 v[2:3], v[10:11], v[2:3]
	s_waitcnt lgkmcnt(0)
	s_delay_alu instid0(VALU_DEP_2) | instskip(NEXT) | instid1(VALU_DEP_2)
	v_add_f64 v[8:9], v[0:1], v[4:5]
	v_add_f64 v[10:11], v[2:3], v[6:7]
	ds_load_b128 v[0:3], v43 offset:64
	;; [unrolled: 9-line block ×3, first 2 shown]
	ds_load_b128 v[4:7], v43 offset:112
	s_waitcnt lgkmcnt(1)
	v_add_f64 v[0:1], v[8:9], v[0:1]
	v_add_f64 v[2:3], v[10:11], v[2:3]
	s_waitcnt lgkmcnt(0)
	s_delay_alu instid0(VALU_DEP_2) | instskip(NEXT) | instid1(VALU_DEP_2)
	v_add_f64 v[0:1], v[0:1], v[4:5]
	v_add_f64 v[2:3], v[2:3], v[6:7]
.LBB124_94:
	s_or_b32 exec_lo, exec_lo, s4
	s_load_b64 s[0:1], s[0:1], 0x78
	s_mul_hi_u32 s3, s30, s15
	s_mul_i32 s25, s25, s15
	s_mul_i32 s4, s30, s15
	s_add_i32 s3, s3, s25
	s_mul_hi_u32 s5, s4, s9
	s_mul_i32 s3, s3, s9
	s_mul_i32 s4, s4, s9
	s_add_i32 s5, s5, s3
	s_mul_hi_i32 s7, s30, s14
	s_lshl_b64 s[4:5], s[4:5], 4
	s_mul_i32 s6, s30, s14
	v_lshlrev_b32_e32 v185, 4, v183
	s_waitcnt lgkmcnt(0)
	s_barrier
	buffer_gl0_inv
	s_add_u32 s3, s0, s4
	s_addc_u32 s4, s1, s5
	s_lshl_b64 s[0:1], s[6:7], 4
	s_delay_alu instid0(SALU_CYCLE_1) | instskip(SKIP_2) | instid1(SALU_CYCLE_1)
	s_add_u32 s3, s3, s0
	s_addc_u32 s8, s4, s1
	s_add_i32 s0, s14, 1
	s_cmp_ge_u32 s0, s9
	s_cbranch_scc1 .LBB124_152
; %bb.95:
	scratch_load_b32 v7, off, off offset:4  ; 4-byte Folded Reload
	v_and_b32_e32 v9, 48, v183
	v_lshrrev_b32_e32 v11, 4, v42
	v_and_b32_e32 v10, 15, v183
	v_or_b32_e32 v5, 0xf0, v185
	s_mul_i32 s0, s12, s29
	v_lshlrev_b32_e32 v4, 4, v9
	v_lshlrev_b32_e32 v6, 6, v11
	s_mul_hi_u32 s1, s12, s28
	s_mul_i32 s4, s13, s28
	s_add_i32 s0, s1, s0
	v_mad_u32_u24 v191, 0x430, v10, v4
	v_mad_u32_u24 v4, 0x430, v10, v5
	;; [unrolled: 1-line block ×3, first 2 shown]
	s_add_i32 s1, s0, s4
	s_mul_i32 s0, s12, s28
	v_mul_i32_i24_e32 v16, 0xffffffd0, v11
	scratch_store_b32 off, v4, off          ; 4-byte Folded Spill
	s_lshl_b64 s[0:1], s[0:1], 4
	s_add_i32 s11, s9, -2
	v_sub_co_u32 v187, vcc_lo, v38, s0
	v_subrev_co_ci_u32_e32 v188, vcc_lo, s1, v39, vcc_lo
	v_cmp_gt_u32_e64 s0, 64, v42
	v_add_nc_u32_e32 v244, v193, v16
	s_add_i32 s12, s12, 64
	s_lshl_b64 s[4:5], s[20:21], 10
	s_waitcnt vmcnt(0)
	v_lshlrev_b32_e32 v15, 6, v7
	v_lshlrev_b32_e32 v186, 2, v7
	v_mad_u32_u24 v198, 0x10c0, v7, v185
	s_delay_alu instid0(VALU_DEP_3) | instskip(NEXT) | instid1(VALU_DEP_1)
	v_add_nc_u32_e32 v8, 0x200, v15
	v_mad_u64_u32 v[5:6], null, s20, v8, 0
	s_delay_alu instid0(VALU_DEP_1) | instskip(SKIP_1) | instid1(VALU_DEP_3)
	v_mov_b32_e32 v4, v6
	v_or_b32_e32 v211, v9, v10
	v_sub_co_u32 v10, vcc_lo, v5, v36
	s_delay_alu instid0(VALU_DEP_3)
	v_mad_u64_u32 v[6:7], null, s21, v8, v[4:5]
	v_mov_b32_e32 v4, 0
	v_add_nc_u32_e32 v12, 0x530, v15
	v_add_nc_u32_e32 v13, 0x220, v15
	;; [unrolled: 1-line block ×5, first 2 shown]
	v_mad_u64_u32 v[7:8], null, s20, v12, 0
	v_mov_b32_e32 v9, v6
	v_add_nc_u32_e32 v197, 0x4300, v15
	v_add_nc_u32_e32 v20, 0x330, v15
	v_or_b32_e32 v189, 1, v186
	v_or_b32_e32 v192, 2, v186
	v_sub_co_ci_u32_e32 v11, vcc_lo, v9, v37, vcc_lo
	v_mov_b32_e32 v6, v8
	v_or_b32_e32 v196, 3, v186
	s_delay_alu instid0(VALU_DEP_2) | instskip(SKIP_3) | instid1(VALU_DEP_3)
	v_mad_u64_u32 v[8:9], null, s21, v12, v[6:7]
	v_add_co_u32 v9, vcc_lo, v40, v10
	v_add_co_ci_u32_e32 v10, vcc_lo, v41, v11, vcc_lo
	v_mad_u64_u32 v[5:6], null, s20, v13, 0
	v_add_co_u32 v212, vcc_lo, v9, 8
	s_delay_alu instid0(VALU_DEP_3) | instskip(SKIP_3) | instid1(VALU_DEP_3)
	v_add_co_ci_u32_e32 v213, vcc_lo, 0, v10, vcc_lo
	v_dual_mov_b32 v10, v8 :: v_dual_add_nc_u32 v253, 16, v186
	v_mad_u64_u32 v[8:9], null, s20, v17, 0
	v_sub_co_u32 v7, vcc_lo, v7, v36
	v_sub_co_ci_u32_e32 v14, vcc_lo, v10, v37, vcc_lo
	v_add_nc_u32_e32 v255, 18, v186
	s_delay_alu instid0(VALU_DEP_3) | instskip(SKIP_4) | instid1(VALU_DEP_4)
	v_mad_u64_u32 v[10:11], null, s21, v13, v[6:7]
	v_mov_b32_e32 v6, v9
	v_mad_u64_u32 v[11:12], null, s20, v18, 0
	v_add_co_u32 v214, vcc_lo, v40, v7
	v_add_co_ci_u32_e32 v215, vcc_lo, v41, v14, vcc_lo
	v_mad_u64_u32 v[13:14], null, s21, v17, v[6:7]
	v_mov_b32_e32 v7, v10
	v_dual_mov_b32 v6, v12 :: v_dual_add_nc_u32 v203, 32, v186
	v_sub_co_u32 v12, vcc_lo, v5, v36
	s_delay_alu instid0(VALU_DEP_3) | instskip(SKIP_1) | instid1(VALU_DEP_3)
	v_sub_co_ci_u32_e32 v7, vcc_lo, v7, v37, vcc_lo
	v_add_nc_u32_e32 v14, 0x510, v15
	v_add_co_u32 v216, vcc_lo, v40, v12
	s_delay_alu instid0(VALU_DEP_3) | instskip(NEXT) | instid1(VALU_DEP_3)
	v_mad_u64_u32 v[9:10], null, s21, v18, v[6:7]
	v_mad_u64_u32 v[5:6], null, s20, v14, 0
	v_add_co_ci_u32_e32 v217, vcc_lo, v41, v7, vcc_lo
	v_sub_co_u32 v10, vcc_lo, v8, v36
	s_delay_alu instid0(VALU_DEP_4) | instskip(SKIP_3) | instid1(VALU_DEP_4)
	v_mov_b32_e32 v7, v9
	v_sub_co_ci_u32_e32 v12, vcc_lo, v13, v37, vcc_lo
	v_add_nc_u32_e32 v13, 0x230, v15
	v_sub_co_u32 v11, vcc_lo, v11, v36
	v_sub_co_ci_u32_e32 v17, vcc_lo, v7, v37, vcc_lo
	v_mad_u64_u32 v[7:8], null, s21, v14, v[6:7]
	s_delay_alu instid0(VALU_DEP_4)
	v_mad_u64_u32 v[8:9], null, s20, v13, 0
	v_add_co_u32 v218, vcc_lo, v40, v10
	v_add_co_ci_u32_e32 v219, vcc_lo, v41, v12, vcc_lo
	v_add_co_u32 v12, vcc_lo, v40, v11
	v_add_co_ci_u32_e32 v14, vcc_lo, v41, v17, vcc_lo
	v_sub_co_u32 v17, vcc_lo, v5, v36
	v_dual_mov_b32 v6, v9 :: v_dual_add_nc_u32 v205, 34, v186
	v_sub_co_ci_u32_e32 v7, vcc_lo, v7, v37, vcc_lo
	v_add_nc_u32_e32 v18, 0x500, v15
	v_add_co_u32 v220, vcc_lo, v12, 8
	s_delay_alu instid0(VALU_DEP_3) | instskip(SKIP_1) | instid1(VALU_DEP_4)
	v_mad_u64_u32 v[9:10], null, s21, v13, v[6:7]
	v_mad_u64_u32 v[10:11], null, s20, v19, 0
	;; [unrolled: 1-line block ×3, first 2 shown]
	v_add_co_ci_u32_e32 v221, vcc_lo, 0, v14, vcc_lo
	v_add_co_u32 v222, vcc_lo, v40, v17
	v_add_nc_u32_e32 v190, 0x4700, v185
	v_add_co_ci_u32_e32 v223, vcc_lo, v41, v7, vcc_lo
	v_mov_b32_e32 v7, v11
	v_sub_co_u32 v13, vcc_lo, v8, v36
	v_sub_co_ci_u32_e32 v14, vcc_lo, v9, v37, vcc_lo
	s_delay_alu instid0(VALU_DEP_3) | instskip(NEXT) | instid1(VALU_DEP_3)
	v_mad_u64_u32 v[8:9], null, s21, v18, v[6:7]
	v_add_co_u32 v6, vcc_lo, v40, v13
	v_add_nc_u32_e32 v9, 0x430, v15
	v_add_nc_u32_e32 v17, 0x320, v15
	s_delay_alu instid0(VALU_DEP_4) | instskip(SKIP_2) | instid1(VALU_DEP_2)
	v_mad_u64_u32 v[11:12], null, s21, v19, v[7:8]
	v_add_co_ci_u32_e32 v7, vcc_lo, v41, v14, vcc_lo
	v_add_co_u32 v224, vcc_lo, v6, 8
	v_add_co_ci_u32_e32 v225, vcc_lo, 0, v7, vcc_lo
	v_mad_u64_u32 v[6:7], null, s20, v9, 0
	v_sub_co_u32 v12, vcc_lo, v5, v36
	v_sub_co_ci_u32_e32 v13, vcc_lo, v8, v37, vcc_lo
	v_sub_co_u32 v8, vcc_lo, v10, v36
	v_sub_co_ci_u32_e32 v10, vcc_lo, v11, v37, vcc_lo
	v_mov_b32_e32 v5, v7
	s_delay_alu instid0(VALU_DEP_3) | instskip(SKIP_1) | instid1(VALU_DEP_4)
	v_add_co_u32 v14, vcc_lo, v40, v8
	v_add_nc_u32_e32 v11, 0x310, v15
	v_add_co_ci_u32_e32 v10, vcc_lo, v41, v10, vcc_lo
	s_delay_alu instid0(VALU_DEP_4)
	v_mad_u64_u32 v[7:8], null, s21, v9, v[5:6]
	v_add_co_u32 v226, vcc_lo, v40, v12
	v_add_co_ci_u32_e32 v227, vcc_lo, v41, v13, vcc_lo
	v_mad_u64_u32 v[8:9], null, s20, v11, 0
	v_add_co_u32 v228, vcc_lo, v14, 8
	v_add_nc_u32_e32 v14, 0x420, v15
	v_add_co_ci_u32_e32 v229, vcc_lo, 0, v10, vcc_lo
	v_sub_co_u32 v12, vcc_lo, v6, v36
	v_sub_co_ci_u32_e32 v13, vcc_lo, v7, v37, vcc_lo
	s_delay_alu instid0(VALU_DEP_4) | instskip(SKIP_1) | instid1(VALU_DEP_4)
	v_mad_u64_u32 v[6:7], null, s20, v14, 0
	v_dual_mov_b32 v5, v9 :: v_dual_add_nc_u32 v254, 17, v186
	v_add_co_u32 v230, vcc_lo, v40, v12
	s_delay_alu instid0(VALU_DEP_4) | instskip(NEXT) | instid1(VALU_DEP_3)
	v_add_co_ci_u32_e32 v231, vcc_lo, v41, v13, vcc_lo
	v_mad_u64_u32 v[9:10], null, s21, v11, v[5:6]
	v_mov_b32_e32 v5, v7
	v_mad_u64_u32 v[10:11], null, s20, v17, 0
	v_add_nc_u32_e32 v184, 19, v186
	v_sub_co_u32 v8, vcc_lo, v8, v36
	v_dual_mov_b32 v7, v9 :: v_dual_add_nc_u32 v204, 33, v186
	v_mad_u64_u32 v[12:13], null, s21, v14, v[5:6]
	v_mov_b32_e32 v5, v11
	s_delay_alu instid0(VALU_DEP_3) | instskip(SKIP_2) | instid1(VALU_DEP_3)
	v_sub_co_ci_u32_e32 v7, vcc_lo, v7, v37, vcc_lo
	v_add_nc_u32_e32 v14, 0x410, v15
	v_add_co_u32 v11, vcc_lo, v40, v8
	v_add_co_ci_u32_e32 v13, vcc_lo, v41, v7, vcc_lo
	v_mad_u64_u32 v[7:8], null, s21, v17, v[5:6]
	s_delay_alu instid0(VALU_DEP_4) | instskip(NEXT) | instid1(VALU_DEP_4)
	v_mad_u64_u32 v[8:9], null, s20, v14, 0
	v_add_co_u32 v232, vcc_lo, v11, 8
	s_delay_alu instid0(VALU_DEP_4)
	v_add_co_ci_u32_e32 v233, vcc_lo, 0, v13, vcc_lo
	v_add_nc_u32_e32 v206, 35, v186
	v_add_nc_u32_e32 v207, 48, v186
	v_sub_co_u32 v13, vcc_lo, v6, v36
	v_dual_mov_b32 v6, v7 :: v_dual_mov_b32 v5, v9
	v_add_nc_u32_e32 v15, 0x400, v15
	v_sub_co_ci_u32_e32 v17, vcc_lo, v12, v37, vcc_lo
	v_sub_co_u32 v18, vcc_lo, v10, v36
	s_delay_alu instid0(VALU_DEP_4)
	v_sub_co_ci_u32_e32 v19, vcc_lo, v6, v37, vcc_lo
	v_mad_u64_u32 v[6:7], null, s21, v14, v[5:6]
	v_mad_u64_u32 v[9:10], null, s20, v20, 0
	v_mad_u64_u32 v[11:12], null, s20, v15, 0
	v_add_co_u32 v234, vcc_lo, v40, v13
	v_add_co_ci_u32_e32 v235, vcc_lo, v41, v17, vcc_lo
	s_delay_alu instid0(VALU_DEP_4)
	v_dual_mov_b32 v5, v10 :: v_dual_add_nc_u32 v208, 49, v186
	v_add_nc_u32_e32 v209, 50, v186
	v_add_co_u32 v14, vcc_lo, v40, v18
	v_dual_mov_b32 v7, v6 :: v_dual_mov_b32 v6, v12
	v_add_co_ci_u32_e32 v17, vcc_lo, v41, v19, vcc_lo
	v_sub_co_u32 v10, vcc_lo, v8, v36
	s_delay_alu instid0(VALU_DEP_3) | instskip(NEXT) | instid1(VALU_DEP_4)
	v_sub_co_ci_u32_e32 v18, vcc_lo, v7, v37, vcc_lo
	v_mad_u64_u32 v[7:8], null, s21, v20, v[5:6]
	v_add_co_u32 v236, vcc_lo, v14, 8
	v_add_co_ci_u32_e32 v237, vcc_lo, 0, v17, vcc_lo
	v_add_nc_u32_e32 v210, 51, v186
	v_add_co_u32 v238, vcc_lo, v40, v10
	v_mov_b32_e32 v5, v7
	v_mad_u64_u32 v[12:13], null, s21, v15, v[6:7]
	v_add_co_ci_u32_e32 v239, vcc_lo, v41, v18, vcc_lo
	v_sub_co_u32 v7, vcc_lo, v9, v36
	s_delay_alu instid0(VALU_DEP_4) | instskip(NEXT) | instid1(VALU_DEP_4)
	v_sub_co_ci_u32_e32 v5, vcc_lo, v5, v37, vcc_lo
	v_mov_b32_e32 v6, v12
	v_sub_co_u32 v8, vcc_lo, v11, v36
	s_delay_alu instid0(VALU_DEP_2) | instskip(SKIP_2) | instid1(VALU_DEP_4)
	v_sub_co_ci_u32_e32 v6, vcc_lo, v6, v37, vcc_lo
	v_add_co_u32 v7, vcc_lo, v40, v7
	v_add_co_ci_u32_e32 v5, vcc_lo, v41, v5, vcc_lo
	v_add_co_u32 v8, vcc_lo, v40, v8
	s_delay_alu instid0(VALU_DEP_4) | instskip(NEXT) | instid1(VALU_DEP_4)
	v_add_co_ci_u32_e32 v6, vcc_lo, v41, v6, vcc_lo
	v_add_co_u32 v240, vcc_lo, v7, 8
	s_delay_alu instid0(VALU_DEP_4) | instskip(NEXT) | instid1(VALU_DEP_4)
	v_add_co_ci_u32_e32 v241, vcc_lo, 0, v5, vcc_lo
	v_add_co_u32 v242, vcc_lo, v8, 8
	s_delay_alu instid0(VALU_DEP_4)
	v_add_co_ci_u32_e32 v243, vcc_lo, 0, v6, vcc_lo
	s_cmp_eq_u32 s11, s14
	s_cselect_b32 s13, s24, 0
	s_and_saveexec_b32 s1, s2
	s_cbranch_execz .LBB124_100
.LBB124_96:
	v_cmp_le_i32_e32 vcc_lo, s13, v183
	s_cmp_lg_u32 s13, 0
	s_cselect_b32 s6, -1, 0
	s_delay_alu instid0(SALU_CYCLE_1) | instskip(NEXT) | instid1(SALU_CYCLE_1)
	s_and_b32 s6, s6, vcc_lo
	s_and_saveexec_b32 s7, s6
	s_delay_alu instid0(SALU_CYCLE_1)
	s_xor_b32 s6, exec_lo, s7
	s_cbranch_execz .LBB124_98
; %bb.97:
	v_dual_mov_b32 v5, v4 :: v_dual_add_nc_u32 v8, 0x4300, v185
	v_mov_b32_e32 v6, v4
	v_mov_b32_e32 v7, v4
	ds_store_b128 v8, v[4:7]
.LBB124_98:
	s_and_not1_saveexec_b32 s6, s6
	s_cbranch_execz .LBB124_100
; %bb.99:
	s_mul_i32 s6, s12, s29
	s_mul_hi_u32 s7, s12, s28
	s_ashr_i32 s15, s12, 31
	s_add_i32 s6, s7, s6
	s_mul_i32 s15, s15, s28
	v_add_nc_u32_e32 v9, 0x4300, v185
	s_add_i32 s7, s6, s15
	s_mul_i32 s6, s12, s28
	s_delay_alu instid0(SALU_CYCLE_1) | instskip(NEXT) | instid1(SALU_CYCLE_1)
	s_lshl_b64 s[6:7], s[6:7], 4
	v_add_co_u32 v5, vcc_lo, v187, s6
	v_add_co_ci_u32_e32 v6, vcc_lo, s7, v188, vcc_lo
	global_load_b128 v[5:8], v[5:6], off
	s_waitcnt vmcnt(0)
	ds_store_2addr_b64 v9, v[5:6], v[7:8] offset1:1
.LBB124_100:                            ; =>This Inner Loop Header: Depth=1
	s_or_b32 exec_lo, exec_lo, s1
	s_cmp_eq_u32 s13, 0
	v_add_co_u32 v17, vcc_lo, v212, v185
	s_cselect_b32 s15, -1, 0
	s_cmp_lg_u32 s13, 0
	v_add_co_ci_u32_e32 v18, vcc_lo, 0, v213, vcc_lo
	s_cselect_b32 s1, -1, 0
	s_waitcnt lgkmcnt(0)
	s_waitcnt_vscnt null, 0x0
	s_and_b32 vcc_lo, exec_lo, s1
	s_barrier
	buffer_gl0_inv
	s_cbranch_vccz .LBB124_108
; %bb.101:                              ;   in Loop: Header=BB124_100 Depth=1
	v_mov_b32_e32 v5, 0
	v_mov_b32_e32 v6, 0
	s_mov_b32 s6, exec_lo
	s_delay_alu instid0(VALU_DEP_1)
	v_dual_mov_b32 v10, v6 :: v_dual_mov_b32 v9, v5
	v_dual_mov_b32 v12, v6 :: v_dual_mov_b32 v11, v5
	v_cmpx_gt_i32_e64 s13, v186
	s_cbranch_execz .LBB124_103
; %bb.102:                              ;   in Loop: Header=BB124_100 Depth=1
	global_load_b128 v[9:12], v[17:18], off offset:-8
.LBB124_103:                            ;   in Loop: Header=BB124_100 Depth=1
	s_or_b32 exec_lo, exec_lo, s6
	v_dual_mov_b32 v8, v6 :: v_dual_mov_b32 v7, v5
	s_mov_b32 s6, exec_lo
	v_cmpx_gt_i32_e64 s13, v189
	s_cbranch_execz .LBB124_105
; %bb.104:                              ;   in Loop: Header=BB124_100 Depth=1
	v_add_co_u32 v5, vcc_lo, v220, v185
	v_add_co_ci_u32_e32 v6, vcc_lo, 0, v221, vcc_lo
	global_load_b128 v[5:8], v[5:6], off offset:-8
.LBB124_105:                            ;   in Loop: Header=BB124_100 Depth=1
	s_or_b32 exec_lo, exec_lo, s6
	v_mov_b32_e32 v13, 0
	v_mov_b32_e32 v14, 0
	s_mov_b64 s[6:7], 0
	s_mov_b32 s16, exec_lo
	s_delay_alu instid0(VALU_DEP_1)
	v_dual_mov_b32 v16, v14 :: v_dual_mov_b32 v15, v13
	v_cmpx_gt_i32_e64 s13, v192
	s_cbranch_execz .LBB124_107
; %bb.106:                              ;   in Loop: Header=BB124_100 Depth=1
	v_add_co_u32 v13, vcc_lo, v216, v185
	v_add_co_ci_u32_e32 v14, vcc_lo, 0, v217, vcc_lo
	global_load_b128 v[13:16], v[13:14], off
.LBB124_107:                            ;   in Loop: Header=BB124_100 Depth=1
	s_or_b32 exec_lo, exec_lo, s16
	v_cmp_gt_i32_e64 s16, s13, v196
	s_branch .LBB124_110
.LBB124_108:                            ;   in Loop: Header=BB124_100 Depth=1
	s_mov_b32 s16, 0
                                        ; implicit-def: $sgpr6_sgpr7
                                        ; implicit-def: $vgpr15_vgpr16
                                        ; implicit-def: $vgpr7_vgpr8
                                        ; implicit-def: $vgpr11_vgpr12
	s_cbranch_execz .LBB124_110
; %bb.109:                              ;   in Loop: Header=BB124_100 Depth=1
	s_waitcnt vmcnt(0)
	v_add_co_u32 v5, vcc_lo, v220, v185
	v_add_co_ci_u32_e32 v6, vcc_lo, 0, v221, vcc_lo
	v_add_co_u32 v13, vcc_lo, v216, v185
	v_add_co_ci_u32_e32 v14, vcc_lo, 0, v217, vcc_lo
	global_load_b128 v[9:12], v[17:18], off offset:-8
	global_load_b128 v[5:8], v[5:6], off offset:-8
	global_load_b128 v[13:16], v[13:14], off
	s_or_b32 s16, s16, exec_lo
                                        ; implicit-def: $sgpr6_sgpr7
.LBB124_110:                            ;   in Loop: Header=BB124_100 Depth=1
	v_dual_mov_b32 v18, s7 :: v_dual_mov_b32 v17, s6
	v_dual_mov_b32 v20, s7 :: v_dual_mov_b32 v19, s6
	s_delay_alu instid0(VALU_DEP_3)
	s_and_saveexec_b32 s6, s16
	s_cbranch_execz .LBB124_112
; %bb.111:                              ;   in Loop: Header=BB124_100 Depth=1
	v_add_co_u32 v17, vcc_lo, v224, v185
	v_add_co_ci_u32_e32 v18, vcc_lo, 0, v225, vcc_lo
	global_load_b128 v[17:20], v[17:18], off offset:-8
.LBB124_112:                            ;   in Loop: Header=BB124_100 Depth=1
	s_or_b32 exec_lo, exec_lo, s6
	ds_load_b128 v[25:28], v190
	ds_load_b128 v[21:24], v197
	v_add_co_u32 v49, vcc_lo, v228, v185
	v_cndmask_b32_e64 v117, 0, 1, s1
	v_add_co_ci_u32_e32 v50, vcc_lo, 0, v229, vcc_lo
	s_and_not1_b32 vcc_lo, exec_lo, s1
	s_waitcnt vmcnt(0) lgkmcnt(1)
	v_mul_f64 v[29:30], v[11:12], v[27:28]
	v_mul_f64 v[31:32], v[9:10], v[27:28]
	;; [unrolled: 1-line block ×8, first 2 shown]
	v_fma_f64 v[27:28], v[9:10], v[25:26], -v[29:30]
	v_fma_f64 v[29:30], v[11:12], v[25:26], v[31:32]
	v_fma_f64 v[37:38], v[5:6], v[25:26], -v[33:34]
	v_fma_f64 v[39:40], v[7:8], v[25:26], v[35:36]
	;; [unrolled: 2-line block ×4, first 2 shown]
	ds_store_b128 v198, v[27:30]
	ds_load_b128 v[33:36], v197 offset:16
	ds_store_b128 v198, v[37:40] offset:1072
	ds_load_b128 v[29:32], v197 offset:32
	ds_store_b128 v198, v[41:44] offset:2144
	;; [unrolled: 2-line block ×3, first 2 shown]
	s_waitcnt lgkmcnt(0)
	s_barrier
	buffer_gl0_inv
	ds_load_b128 v[93:96], v193
	ds_load_b128 v[89:92], v193 offset:16
	ds_load_b128 v[81:84], v193 offset:32
	;; [unrolled: 1-line block ×3, first 2 shown]
	s_waitcnt lgkmcnt(0)
	s_barrier
	buffer_gl0_inv
	s_cbranch_vccnz .LBB124_120
; %bb.113:                              ;   in Loop: Header=BB124_100 Depth=1
	v_mov_b32_e32 v37, 0
	v_mov_b32_e32 v38, 0
	s_mov_b32 s1, exec_lo
	s_delay_alu instid0(VALU_DEP_1)
	v_dual_mov_b32 v42, v38 :: v_dual_mov_b32 v41, v37
	v_dual_mov_b32 v44, v38 :: v_dual_mov_b32 v43, v37
	v_cmpx_gt_i32_e64 s13, v253
	s_cbranch_execz .LBB124_115
; %bb.114:                              ;   in Loop: Header=BB124_100 Depth=1
	global_load_b128 v[41:44], v[49:50], off offset:-8
.LBB124_115:                            ;   in Loop: Header=BB124_100 Depth=1
	s_or_b32 exec_lo, exec_lo, s1
	v_dual_mov_b32 v40, v38 :: v_dual_mov_b32 v39, v37
	s_mov_b32 s1, exec_lo
	v_cmpx_gt_i32_e64 s13, v254
	s_cbranch_execz .LBB124_117
; %bb.116:                              ;   in Loop: Header=BB124_100 Depth=1
	v_add_co_u32 v37, vcc_lo, v232, v185
	v_add_co_ci_u32_e32 v38, vcc_lo, 0, v233, vcc_lo
	global_load_b128 v[37:40], v[37:38], off offset:-8
.LBB124_117:                            ;   in Loop: Header=BB124_100 Depth=1
	s_or_b32 exec_lo, exec_lo, s1
	v_mov_b32_e32 v45, 0
	v_mov_b32_e32 v46, 0
	s_mov_b64 s[6:7], 0
	s_mov_b32 s1, exec_lo
	s_delay_alu instid0(VALU_DEP_1)
	v_dual_mov_b32 v48, v46 :: v_dual_mov_b32 v47, v45
	v_cmpx_gt_i32_e64 s13, v255
	s_cbranch_execz .LBB124_119
; %bb.118:                              ;   in Loop: Header=BB124_100 Depth=1
	v_add_co_u32 v45, vcc_lo, v236, v185
	v_add_co_ci_u32_e32 v46, vcc_lo, 0, v237, vcc_lo
	global_load_b128 v[45:48], v[45:46], off offset:-8
.LBB124_119:                            ;   in Loop: Header=BB124_100 Depth=1
	s_or_b32 exec_lo, exec_lo, s1
	v_cmp_gt_i32_e64 s1, s13, v184
	s_branch .LBB124_122
.LBB124_120:                            ;   in Loop: Header=BB124_100 Depth=1
	s_mov_b32 s1, 0
                                        ; implicit-def: $sgpr6_sgpr7
                                        ; implicit-def: $vgpr47_vgpr48
                                        ; implicit-def: $vgpr39_vgpr40
                                        ; implicit-def: $vgpr43_vgpr44
	s_cbranch_execz .LBB124_122
; %bb.121:                              ;   in Loop: Header=BB124_100 Depth=1
	s_waitcnt vmcnt(0)
	v_add_co_u32 v37, vcc_lo, v232, v185
	v_add_co_ci_u32_e32 v38, vcc_lo, 0, v233, vcc_lo
	v_add_co_u32 v45, vcc_lo, v236, v185
	v_add_co_ci_u32_e32 v46, vcc_lo, 0, v237, vcc_lo
	global_load_b128 v[41:44], v[49:50], off offset:-8
	global_load_b128 v[37:40], v[37:38], off offset:-8
	;; [unrolled: 1-line block ×3, first 2 shown]
	s_or_b32 s1, s1, exec_lo
                                        ; implicit-def: $sgpr6_sgpr7
.LBB124_122:                            ;   in Loop: Header=BB124_100 Depth=1
	v_dual_mov_b32 v50, s7 :: v_dual_mov_b32 v49, s6
	v_dual_mov_b32 v52, s7 :: v_dual_mov_b32 v51, s6
	s_delay_alu instid0(VALU_DEP_3)
	s_and_saveexec_b32 s6, s1
	s_cbranch_execz .LBB124_124
; %bb.123:                              ;   in Loop: Header=BB124_100 Depth=1
	v_add_co_u32 v49, vcc_lo, v240, v185
	v_add_co_ci_u32_e32 v50, vcc_lo, 0, v241, vcc_lo
	global_load_b128 v[49:52], v[49:50], off offset:-8
.LBB124_124:                            ;   in Loop: Header=BB124_100 Depth=1
	s_or_b32 exec_lo, exec_lo, s6
	ds_load_b128 v[57:60], v190
	ds_load_b128 v[53:56], v197 offset:256
	v_cmp_ne_u32_e32 vcc_lo, 1, v117
	v_add_co_u32 v97, s1, v242, v185
	s_delay_alu instid0(VALU_DEP_1)
	v_add_co_ci_u32_e64 v98, s1, 0, v243, s1
	s_and_b32 vcc_lo, exec_lo, vcc_lo
	s_waitcnt vmcnt(0) lgkmcnt(1)
	v_mul_f64 v[61:62], v[43:44], v[59:60]
	v_mul_f64 v[63:64], v[41:42], v[59:60]
	;; [unrolled: 1-line block ×8, first 2 shown]
	v_fma_f64 v[59:60], v[41:42], v[57:58], -v[61:62]
	v_fma_f64 v[61:62], v[43:44], v[57:58], v[63:64]
	v_fma_f64 v[69:70], v[37:38], v[57:58], -v[65:66]
	v_fma_f64 v[71:72], v[39:40], v[57:58], v[67:68]
	;; [unrolled: 2-line block ×4, first 2 shown]
	ds_store_b128 v198, v[59:62]
	ds_load_b128 v[65:68], v197 offset:272
	ds_store_b128 v198, v[69:72] offset:1072
	ds_load_b128 v[61:64], v197 offset:288
	ds_store_b128 v198, v[73:76] offset:2144
	;; [unrolled: 2-line block ×3, first 2 shown]
	s_waitcnt lgkmcnt(0)
	s_barrier
	buffer_gl0_inv
	ds_load_b128 v[141:144], v193
	ds_load_b128 v[137:140], v193 offset:16
	ds_load_b128 v[133:136], v193 offset:32
	;; [unrolled: 1-line block ×3, first 2 shown]
	s_waitcnt lgkmcnt(0)
	s_barrier
	buffer_gl0_inv
	s_cbranch_vccnz .LBB124_132
; %bb.125:                              ;   in Loop: Header=BB124_100 Depth=1
	v_mov_b32_e32 v69, 0
	v_mov_b32_e32 v70, 0
	s_mov_b32 s1, exec_lo
	s_delay_alu instid0(VALU_DEP_1)
	v_dual_mov_b32 v74, v70 :: v_dual_mov_b32 v73, v69
	v_dual_mov_b32 v76, v70 :: v_dual_mov_b32 v75, v69
	v_cmpx_gt_i32_e64 s13, v203
	s_cbranch_execz .LBB124_127
; %bb.126:                              ;   in Loop: Header=BB124_100 Depth=1
	global_load_b128 v[73:76], v[97:98], off offset:-8
.LBB124_127:                            ;   in Loop: Header=BB124_100 Depth=1
	s_or_b32 exec_lo, exec_lo, s1
	v_dual_mov_b32 v72, v70 :: v_dual_mov_b32 v71, v69
	s_mov_b32 s1, exec_lo
	v_cmpx_gt_i32_e64 s13, v204
	s_cbranch_execz .LBB124_129
; %bb.128:                              ;   in Loop: Header=BB124_100 Depth=1
	v_add_co_u32 v69, vcc_lo, v238, v185
	v_add_co_ci_u32_e32 v70, vcc_lo, 0, v239, vcc_lo
	global_load_b128 v[69:72], v[69:70], off
.LBB124_129:                            ;   in Loop: Header=BB124_100 Depth=1
	s_or_b32 exec_lo, exec_lo, s1
	v_mov_b32_e32 v85, 0
	v_mov_b32_e32 v86, 0
	s_mov_b64 s[6:7], 0
	s_mov_b32 s1, exec_lo
	s_delay_alu instid0(VALU_DEP_1)
	v_dual_mov_b32 v88, v86 :: v_dual_mov_b32 v87, v85
	v_cmpx_gt_i32_e64 s13, v205
	s_cbranch_execz .LBB124_131
; %bb.130:                              ;   in Loop: Header=BB124_100 Depth=1
	v_add_co_u32 v85, vcc_lo, v234, v185
	v_add_co_ci_u32_e32 v86, vcc_lo, 0, v235, vcc_lo
	global_load_b128 v[85:88], v[85:86], off
.LBB124_131:                            ;   in Loop: Header=BB124_100 Depth=1
	s_or_b32 exec_lo, exec_lo, s1
	v_cmp_gt_i32_e64 s1, s13, v206
	s_branch .LBB124_134
.LBB124_132:                            ;   in Loop: Header=BB124_100 Depth=1
	s_mov_b32 s1, 0
                                        ; implicit-def: $sgpr6_sgpr7
                                        ; implicit-def: $vgpr87_vgpr88
                                        ; implicit-def: $vgpr71_vgpr72
                                        ; implicit-def: $vgpr75_vgpr76
	s_cbranch_execz .LBB124_134
; %bb.133:                              ;   in Loop: Header=BB124_100 Depth=1
	s_waitcnt vmcnt(0)
	v_add_co_u32 v69, vcc_lo, v238, v185
	v_add_co_ci_u32_e32 v70, vcc_lo, 0, v239, vcc_lo
	v_add_co_u32 v85, vcc_lo, v234, v185
	v_add_co_ci_u32_e32 v86, vcc_lo, 0, v235, vcc_lo
	global_load_b128 v[73:76], v[97:98], off offset:-8
	global_load_b128 v[69:72], v[69:70], off
	global_load_b128 v[85:88], v[85:86], off
	s_or_b32 s1, s1, exec_lo
                                        ; implicit-def: $sgpr6_sgpr7
.LBB124_134:                            ;   in Loop: Header=BB124_100 Depth=1
	v_dual_mov_b32 v98, s7 :: v_dual_mov_b32 v97, s6
	v_dual_mov_b32 v100, s7 :: v_dual_mov_b32 v99, s6
	s_delay_alu instid0(VALU_DEP_3)
	s_and_saveexec_b32 s6, s1
	s_cbranch_execz .LBB124_136
; %bb.135:                              ;   in Loop: Header=BB124_100 Depth=1
	v_add_co_u32 v97, vcc_lo, v230, v185
	v_add_co_ci_u32_e32 v98, vcc_lo, 0, v231, vcc_lo
	global_load_b128 v[97:100], v[97:98], off
.LBB124_136:                            ;   in Loop: Header=BB124_100 Depth=1
	s_or_b32 exec_lo, exec_lo, s6
	ds_load_b128 v[105:108], v190
	ds_load_b128 v[101:104], v197 offset:512
	v_cmp_ne_u32_e32 vcc_lo, 1, v117
	s_and_b32 vcc_lo, exec_lo, vcc_lo
	s_waitcnt vmcnt(0) lgkmcnt(1)
	v_mul_f64 v[109:110], v[75:76], v[107:108]
	v_mul_f64 v[111:112], v[73:74], v[107:108]
	;; [unrolled: 1-line block ×8, first 2 shown]
	v_fma_f64 v[107:108], v[73:74], v[105:106], -v[109:110]
	v_fma_f64 v[109:110], v[75:76], v[105:106], v[111:112]
	v_fma_f64 v[118:119], v[69:70], v[105:106], -v[113:114]
	v_fma_f64 v[120:121], v[71:72], v[105:106], v[115:116]
	v_fma_f64 v[122:123], v[85:86], v[105:106], -v[122:123]
	v_fma_f64 v[124:125], v[87:88], v[105:106], v[124:125]
	v_fma_f64 v[145:146], v[97:98], v[105:106], -v[126:127]
	v_fma_f64 v[147:148], v[99:100], v[105:106], v[147:148]
	ds_store_b128 v198, v[107:110]
	ds_load_b128 v[113:116], v197 offset:528
	ds_store_b128 v198, v[118:121] offset:1072
	ds_load_b128 v[109:112], v197 offset:544
	ds_store_b128 v198, v[122:125] offset:2144
	ds_load_b128 v[105:108], v197 offset:560
	ds_store_b128 v198, v[145:148] offset:3216
	s_waitcnt lgkmcnt(0)
	s_barrier
	buffer_gl0_inv
	ds_load_b128 v[177:180], v193
	ds_load_b128 v[173:176], v193 offset:16
	ds_load_b128 v[169:172], v193 offset:32
	;; [unrolled: 1-line block ×3, first 2 shown]
	v_add_co_u32 v145, s1, v226, v185
	s_delay_alu instid0(VALU_DEP_1)
	v_add_co_ci_u32_e64 v146, s1, 0, v227, s1
	s_waitcnt lgkmcnt(0)
	s_barrier
	buffer_gl0_inv
	s_cbranch_vccnz .LBB124_144
; %bb.137:                              ;   in Loop: Header=BB124_100 Depth=1
	v_mov_b32_e32 v117, 0
	v_mov_b32_e32 v118, 0
	s_mov_b32 s1, exec_lo
	s_delay_alu instid0(VALU_DEP_1)
	v_dual_mov_b32 v122, v118 :: v_dual_mov_b32 v121, v117
	v_dual_mov_b32 v124, v118 :: v_dual_mov_b32 v123, v117
	v_cmpx_gt_i32_e64 s13, v207
	s_cbranch_execz .LBB124_139
; %bb.138:                              ;   in Loop: Header=BB124_100 Depth=1
	global_load_b128 v[121:124], v[145:146], off
.LBB124_139:                            ;   in Loop: Header=BB124_100 Depth=1
	s_or_b32 exec_lo, exec_lo, s1
	v_dual_mov_b32 v120, v118 :: v_dual_mov_b32 v119, v117
	s_mov_b32 s1, exec_lo
	v_cmpx_gt_i32_e64 s13, v208
	s_cbranch_execz .LBB124_141
; %bb.140:                              ;   in Loop: Header=BB124_100 Depth=1
	v_add_co_u32 v117, vcc_lo, v222, v185
	v_add_co_ci_u32_e32 v118, vcc_lo, 0, v223, vcc_lo
	global_load_b128 v[117:120], v[117:118], off
.LBB124_141:                            ;   in Loop: Header=BB124_100 Depth=1
	s_or_b32 exec_lo, exec_lo, s1
	v_mov_b32_e32 v125, 0
	v_mov_b32_e32 v126, 0
	s_mov_b64 s[6:7], 0
	s_mov_b32 s1, exec_lo
	s_delay_alu instid0(VALU_DEP_1)
	v_dual_mov_b32 v128, v126 :: v_dual_mov_b32 v127, v125
	v_cmpx_gt_i32_e64 s13, v209
	s_cbranch_execz .LBB124_143
; %bb.142:                              ;   in Loop: Header=BB124_100 Depth=1
	v_add_co_u32 v125, vcc_lo, v218, v185
	v_add_co_ci_u32_e32 v126, vcc_lo, 0, v219, vcc_lo
	global_load_b128 v[125:128], v[125:126], off
.LBB124_143:                            ;   in Loop: Header=BB124_100 Depth=1
	s_or_b32 exec_lo, exec_lo, s1
	v_cmp_gt_i32_e64 s1, s13, v210
	s_branch .LBB124_146
.LBB124_144:                            ;   in Loop: Header=BB124_100 Depth=1
	s_mov_b32 s1, 0
                                        ; implicit-def: $sgpr6_sgpr7
                                        ; implicit-def: $vgpr127_vgpr128
                                        ; implicit-def: $vgpr119_vgpr120
                                        ; implicit-def: $vgpr123_vgpr124
	s_cbranch_execz .LBB124_146
; %bb.145:                              ;   in Loop: Header=BB124_100 Depth=1
	s_waitcnt vmcnt(0)
	v_add_co_u32 v117, vcc_lo, v222, v185
	v_add_co_ci_u32_e32 v118, vcc_lo, 0, v223, vcc_lo
	v_add_co_u32 v125, vcc_lo, v218, v185
	v_add_co_ci_u32_e32 v126, vcc_lo, 0, v219, vcc_lo
	global_load_b128 v[121:124], v[145:146], off
	global_load_b128 v[117:120], v[117:118], off
	;; [unrolled: 1-line block ×3, first 2 shown]
	s_or_b32 s1, s1, exec_lo
                                        ; implicit-def: $sgpr6_sgpr7
.LBB124_146:                            ;   in Loop: Header=BB124_100 Depth=1
	v_dual_mov_b32 v146, s7 :: v_dual_mov_b32 v145, s6
	v_dual_mov_b32 v148, s7 :: v_dual_mov_b32 v147, s6
	s_delay_alu instid0(VALU_DEP_3)
	s_and_saveexec_b32 s6, s1
	s_cbranch_execz .LBB124_148
; %bb.147:                              ;   in Loop: Header=BB124_100 Depth=1
	v_add_co_u32 v145, vcc_lo, v214, v185
	v_add_co_ci_u32_e32 v146, vcc_lo, 0, v215, vcc_lo
	global_load_b128 v[145:148], v[145:146], off
.LBB124_148:                            ;   in Loop: Header=BB124_100 Depth=1
	s_or_b32 exec_lo, exec_lo, s6
	ds_load_b128 v[153:156], v190
	ds_load_b128 v[149:152], v197 offset:768
	v_add_f64 v[141:142], v[141:142], 0
	v_add_f64 v[143:144], v[143:144], 0
	;; [unrolled: 1-line block ×4, first 2 shown]
	v_cmp_gt_i32_e32 vcc_lo, s13, v183
	s_or_b32 s1, s15, vcc_lo
	s_delay_alu instid0(SALU_CYCLE_1)
	s_and_b32 s6, s0, s1
	s_waitcnt vmcnt(0) lgkmcnt(1)
	v_mul_f64 v[157:158], v[123:124], v[155:156]
	v_mul_f64 v[159:160], v[121:122], v[155:156]
	;; [unrolled: 1-line block ×8, first 2 shown]
	v_add_f64 v[137:138], v[141:142], v[137:138]
	v_add_f64 v[139:140], v[143:144], v[139:140]
	;; [unrolled: 1-line block ×4, first 2 shown]
	v_fma_f64 v[155:156], v[121:122], v[153:154], -v[157:158]
	v_fma_f64 v[157:158], v[123:124], v[153:154], v[159:160]
	v_fma_f64 v[245:246], v[117:118], v[153:154], -v[161:162]
	v_fma_f64 v[247:248], v[119:120], v[153:154], v[163:164]
	;; [unrolled: 2-line block ×4, first 2 shown]
	v_add_f64 v[181:182], v[93:94], 0
	v_add_f64 v[194:195], v[95:96], 0
	;; [unrolled: 1-line block ×6, first 2 shown]
	ds_store_b128 v198, v[155:158]
	ds_load_b128 v[161:164], v197 offset:784
	ds_store_b128 v198, v[245:248] offset:1072
	ds_load_b128 v[157:160], v197 offset:800
	ds_store_b128 v198, v[249:252] offset:2144
	;; [unrolled: 2-line block ×3, first 2 shown]
	s_waitcnt lgkmcnt(0)
	s_barrier
	buffer_gl0_inv
	ds_load_b128 v[199:202], v193
	ds_load_b128 v[93:96], v193 offset:16
	v_add_f64 v[141:142], v[181:182], v[89:90]
	v_add_f64 v[143:144], v[194:195], v[91:92]
	ds_load_b128 v[89:92], v193 offset:32
	s_waitcnt lgkmcnt(2)
	v_add_f64 v[199:200], v[199:200], 0
	v_add_f64 v[201:202], v[201:202], 0
	;; [unrolled: 1-line block ×4, first 2 shown]
	ds_load_b128 v[81:84], v193 offset:48
	s_waitcnt lgkmcnt(0)
	s_barrier
	buffer_gl0_inv
	v_add_f64 v[93:94], v[199:200], v[93:94]
	v_add_f64 v[95:96], v[201:202], v[95:96]
	;; [unrolled: 1-line block ×4, first 2 shown]
	s_delay_alu instid0(VALU_DEP_4) | instskip(NEXT) | instid1(VALU_DEP_4)
	v_add_f64 v[141:142], v[93:94], v[89:90]
	v_add_f64 v[143:144], v[95:96], v[91:92]
	;; [unrolled: 1-line block ×8, first 2 shown]
	ds_store_b128 v244, v[77:80]
	ds_store_b128 v244, v[93:96] offset:256
	ds_store_b128 v244, v[89:92] offset:512
	;; [unrolled: 1-line block ×3, first 2 shown]
	s_waitcnt lgkmcnt(0)
	s_barrier
	buffer_gl0_inv
	s_and_saveexec_b32 s1, s6
	s_cbranch_execz .LBB124_150
; %bb.149:                              ;   in Loop: Header=BB124_100 Depth=1
	ds_load_b128 v[77:80], v191
	ds_load_b128 v[81:84], v191 offset:16
	s_waitcnt lgkmcnt(0)
	v_add_f64 v[89:90], v[81:82], v[77:78]
	v_add_f64 v[91:92], v[83:84], v[79:80]
	ds_load_b128 v[77:80], v191 offset:32
	ds_load_b128 v[81:84], v191 offset:48
	s_waitcnt lgkmcnt(1)
	v_add_f64 v[77:78], v[89:90], v[77:78]
	v_add_f64 v[79:80], v[91:92], v[79:80]
	s_waitcnt lgkmcnt(0)
	s_delay_alu instid0(VALU_DEP_2) | instskip(NEXT) | instid1(VALU_DEP_2)
	v_add_f64 v[89:90], v[77:78], v[81:82]
	v_add_f64 v[91:92], v[79:80], v[83:84]
	ds_load_b128 v[77:80], v191 offset:64
	ds_load_b128 v[81:84], v191 offset:80
	s_waitcnt lgkmcnt(1)
	v_add_f64 v[77:78], v[89:90], v[77:78]
	v_add_f64 v[79:80], v[91:92], v[79:80]
	s_waitcnt lgkmcnt(0)
	s_delay_alu instid0(VALU_DEP_2) | instskip(NEXT) | instid1(VALU_DEP_2)
	;; [unrolled: 9-line block ×5, first 2 shown]
	v_add_f64 v[89:90], v[77:78], v[81:82]
	v_add_f64 v[91:92], v[79:80], v[83:84]
	ds_load_b128 v[77:80], v191 offset:192
	ds_load_b128 v[81:84], v191 offset:208
	s_waitcnt lgkmcnt(1)
	v_add_f64 v[77:78], v[89:90], v[77:78]
	v_add_f64 v[79:80], v[91:92], v[79:80]
	s_waitcnt lgkmcnt(0)
	s_delay_alu instid0(VALU_DEP_2)
	v_add_f64 v[89:90], v[77:78], v[81:82]
	scratch_load_b32 v81, off, off          ; 4-byte Folded Reload
	v_add_f64 v[91:92], v[79:80], v[83:84]
	ds_load_b128 v[77:80], v191 offset:224
	s_waitcnt vmcnt(0)
	ds_load_b128 v[81:84], v81
	s_waitcnt lgkmcnt(1)
	v_add_f64 v[77:78], v[89:90], v[77:78]
	v_add_f64 v[79:80], v[91:92], v[79:80]
	s_waitcnt lgkmcnt(0)
	s_delay_alu instid0(VALU_DEP_2) | instskip(NEXT) | instid1(VALU_DEP_2)
	v_add_f64 v[77:78], v[77:78], v[81:82]
	v_add_f64 v[79:80], v[79:80], v[83:84]
	v_add_nc_u32_e32 v81, s12, v211
	s_delay_alu instid0(VALU_DEP_1) | instskip(NEXT) | instid1(VALU_DEP_1)
	v_ashrrev_i32_e32 v82, 31, v81
	v_lshlrev_b64 v[81:82], 4, v[81:82]
	s_delay_alu instid0(VALU_DEP_1) | instskip(NEXT) | instid1(VALU_DEP_2)
	v_add_co_u32 v81, vcc_lo, s3, v81
	v_add_co_ci_u32_e32 v82, vcc_lo, s8, v82, vcc_lo
	global_store_b128 v[81:82], v[77:80], off
.LBB124_150:                            ;   in Loop: Header=BB124_100 Depth=1
	s_or_b32 exec_lo, exec_lo, s1
	v_mul_f64 v[77:78], v[11:12], v[23:24]
	v_mul_f64 v[23:24], v[9:10], v[23:24]
	;; [unrolled: 1-line block ×4, first 2 shown]
	v_add_co_u32 v212, vcc_lo, v212, s4
	v_add_co_ci_u32_e32 v213, vcc_lo, s5, v213, vcc_lo
	v_add_co_u32 v214, vcc_lo, v214, s4
	v_add_co_ci_u32_e32 v215, vcc_lo, s5, v215, vcc_lo
	;; [unrolled: 2-line block ×8, first 2 shown]
	v_add_co_u32 v228, vcc_lo, v228, s4
	v_fma_f64 v[9:10], v[9:10], v[21:22], -v[77:78]
	v_fma_f64 v[11:12], v[11:12], v[21:22], v[23:24]
	v_mul_f64 v[21:22], v[15:16], v[31:32]
	v_mul_f64 v[23:24], v[13:14], v[31:32]
	v_fma_f64 v[5:6], v[5:6], v[33:34], -v[79:80]
	v_fma_f64 v[7:8], v[7:8], v[33:34], v[35:36]
	v_add_co_ci_u32_e32 v229, vcc_lo, s5, v229, vcc_lo
	v_add_co_u32 v230, vcc_lo, v230, s4
	v_add_co_ci_u32_e32 v231, vcc_lo, s5, v231, vcc_lo
	v_add_co_u32 v232, vcc_lo, v232, s4
	;; [unrolled: 2-line block ×7, first 2 shown]
	v_add_co_ci_u32_e32 v243, vcc_lo, s5, v243, vcc_lo
	s_add_i32 s6, s14, 2
	s_add_i32 s1, s14, 1
	v_add_f64 v[0:1], v[0:1], v[9:10]
	v_add_f64 v[2:3], v[2:3], v[11:12]
	v_mul_f64 v[9:10], v[19:20], v[27:28]
	v_mul_f64 v[11:12], v[17:18], v[27:28]
	v_fma_f64 v[13:14], v[13:14], v[29:30], -v[21:22]
	v_fma_f64 v[15:16], v[15:16], v[29:30], v[23:24]
	s_add_i32 s12, s12, 64
	s_cmp_ge_u32 s6, s9
	s_waitcnt_vscnt null, 0x0
	s_barrier
	buffer_gl0_inv
	v_add_f64 v[0:1], v[0:1], v[5:6]
	v_add_f64 v[2:3], v[2:3], v[7:8]
	v_mul_f64 v[5:6], v[43:44], v[55:56]
	v_mul_f64 v[7:8], v[41:42], v[55:56]
	v_fma_f64 v[9:10], v[17:18], v[25:26], -v[9:10]
	v_fma_f64 v[11:12], v[19:20], v[25:26], v[11:12]
	v_add_f64 v[0:1], v[0:1], v[13:14]
	v_add_f64 v[2:3], v[2:3], v[15:16]
	v_mul_f64 v[13:14], v[39:40], v[67:68]
	v_mul_f64 v[15:16], v[37:38], v[67:68]
	v_fma_f64 v[5:6], v[41:42], v[53:54], -v[5:6]
	v_fma_f64 v[7:8], v[43:44], v[53:54], v[7:8]
	v_add_f64 v[0:1], v[0:1], v[9:10]
	v_add_f64 v[2:3], v[2:3], v[11:12]
	v_mul_f64 v[9:10], v[47:48], v[63:64]
	v_mul_f64 v[11:12], v[45:46], v[63:64]
	v_fma_f64 v[13:14], v[37:38], v[65:66], -v[13:14]
	v_fma_f64 v[15:16], v[39:40], v[65:66], v[15:16]
	v_add_f64 v[0:1], v[0:1], v[5:6]
	v_add_f64 v[2:3], v[2:3], v[7:8]
	v_mul_f64 v[5:6], v[51:52], v[59:60]
	v_mul_f64 v[7:8], v[49:50], v[59:60]
	v_fma_f64 v[9:10], v[45:46], v[61:62], -v[9:10]
	v_fma_f64 v[11:12], v[47:48], v[61:62], v[11:12]
	v_add_f64 v[0:1], v[0:1], v[13:14]
	v_add_f64 v[2:3], v[2:3], v[15:16]
	v_mul_f64 v[13:14], v[75:76], v[103:104]
	v_mul_f64 v[15:16], v[73:74], v[103:104]
	v_fma_f64 v[5:6], v[49:50], v[57:58], -v[5:6]
	v_fma_f64 v[7:8], v[51:52], v[57:58], v[7:8]
	v_add_f64 v[0:1], v[0:1], v[9:10]
	v_add_f64 v[2:3], v[2:3], v[11:12]
	v_mul_f64 v[9:10], v[71:72], v[115:116]
	v_mul_f64 v[11:12], v[69:70], v[115:116]
	v_fma_f64 v[13:14], v[73:74], v[101:102], -v[13:14]
	v_fma_f64 v[15:16], v[75:76], v[101:102], v[15:16]
	v_add_f64 v[0:1], v[0:1], v[5:6]
	v_add_f64 v[2:3], v[2:3], v[7:8]
	v_mul_f64 v[5:6], v[87:88], v[111:112]
	v_mul_f64 v[7:8], v[85:86], v[111:112]
	v_fma_f64 v[9:10], v[69:70], v[113:114], -v[9:10]
	v_fma_f64 v[11:12], v[71:72], v[113:114], v[11:12]
	v_add_f64 v[0:1], v[0:1], v[13:14]
	v_add_f64 v[2:3], v[2:3], v[15:16]
	v_mul_f64 v[13:14], v[99:100], v[107:108]
	v_mul_f64 v[15:16], v[97:98], v[107:108]
	v_fma_f64 v[5:6], v[85:86], v[109:110], -v[5:6]
	v_fma_f64 v[7:8], v[87:88], v[109:110], v[7:8]
	v_add_f64 v[0:1], v[0:1], v[9:10]
	v_add_f64 v[2:3], v[2:3], v[11:12]
	v_mul_f64 v[9:10], v[123:124], v[151:152]
	v_mul_f64 v[11:12], v[121:122], v[151:152]
	v_fma_f64 v[13:14], v[97:98], v[105:106], -v[13:14]
	v_fma_f64 v[15:16], v[99:100], v[105:106], v[15:16]
	v_add_f64 v[0:1], v[0:1], v[5:6]
	v_add_f64 v[2:3], v[2:3], v[7:8]
	v_mul_f64 v[5:6], v[119:120], v[163:164]
	v_mul_f64 v[7:8], v[117:118], v[163:164]
	v_fma_f64 v[9:10], v[121:122], v[149:150], -v[9:10]
	v_fma_f64 v[11:12], v[123:124], v[149:150], v[11:12]
	v_add_f64 v[0:1], v[0:1], v[13:14]
	v_add_f64 v[2:3], v[2:3], v[15:16]
	v_mul_f64 v[13:14], v[127:128], v[159:160]
	v_mul_f64 v[15:16], v[125:126], v[159:160]
	v_fma_f64 v[5:6], v[117:118], v[161:162], -v[5:6]
	v_fma_f64 v[7:8], v[119:120], v[161:162], v[7:8]
	v_add_f64 v[0:1], v[0:1], v[9:10]
	v_add_f64 v[2:3], v[2:3], v[11:12]
	v_mul_f64 v[9:10], v[147:148], v[155:156]
	v_mul_f64 v[11:12], v[145:146], v[155:156]
	v_fma_f64 v[13:14], v[125:126], v[157:158], -v[13:14]
	v_fma_f64 v[15:16], v[127:128], v[157:158], v[15:16]
	v_add_f64 v[0:1], v[0:1], v[5:6]
	v_add_f64 v[2:3], v[2:3], v[7:8]
	v_fma_f64 v[5:6], v[145:146], v[153:154], -v[9:10]
	v_fma_f64 v[7:8], v[147:148], v[153:154], v[11:12]
	s_delay_alu instid0(VALU_DEP_4) | instskip(NEXT) | instid1(VALU_DEP_4)
	v_add_f64 v[0:1], v[0:1], v[13:14]
	v_add_f64 v[2:3], v[2:3], v[15:16]
	s_delay_alu instid0(VALU_DEP_2) | instskip(NEXT) | instid1(VALU_DEP_2)
	v_add_f64 v[0:1], v[0:1], v[5:6]
	v_add_f64 v[2:3], v[2:3], v[7:8]
	s_cbranch_scc1 .LBB124_152
; %bb.151:                              ;   in Loop: Header=BB124_100 Depth=1
	s_mov_b32 s14, s1
	s_delay_alu instid0(SALU_CYCLE_1)
	s_cmp_eq_u32 s11, s14
	s_cselect_b32 s13, s24, 0
	s_and_saveexec_b32 s1, s2
	s_cbranch_execnz .LBB124_96
	s_branch .LBB124_100
.LBB124_152:
	scratch_load_b32 v4, off, off offset:4  ; 4-byte Folded Reload
	v_cmp_gt_i32_e32 vcc_lo, s10, v183
	s_or_b32 s0, s18, vcc_lo
	s_delay_alu instid0(SALU_CYCLE_1)
	s_and_b32 s0, s2, s0
	s_waitcnt vmcnt(0)
	v_mad_u32_u24 v4, 0x430, v4, v185
	ds_store_b128 v4, v[0:3]
	s_waitcnt lgkmcnt(0)
	s_barrier
	buffer_gl0_inv
	s_and_saveexec_b32 s1, s0
	s_cbranch_execz .LBB124_154
; %bb.153:
	ds_load_b128 v[0:3], v185 offset:1072
	ds_load_b128 v[4:7], v185
	s_waitcnt lgkmcnt(0)
	v_add_f64 v[8:9], v[0:1], v[4:5]
	v_add_f64 v[10:11], v[2:3], v[6:7]
	ds_load_b128 v[0:3], v185 offset:2144
	ds_load_b128 v[4:7], v185 offset:3216
	s_waitcnt lgkmcnt(1)
	v_add_f64 v[0:1], v[8:9], v[0:1]
	v_add_f64 v[2:3], v[10:11], v[2:3]
	s_waitcnt lgkmcnt(0)
	s_delay_alu instid0(VALU_DEP_2) | instskip(SKIP_4) | instid1(VALU_DEP_1)
	v_add_f64 v[0:1], v[0:1], v[4:5]
	scratch_load_b64 v[4:5], off, off offset:8 ; 8-byte Folded Reload
	v_add_f64 v[2:3], v[2:3], v[6:7]
	s_waitcnt vmcnt(0)
	v_lshlrev_b64 v[4:5], 4, v[4:5]
	v_add_co_u32 v4, vcc_lo, s3, v4
	s_delay_alu instid0(VALU_DEP_2)
	v_add_co_ci_u32_e32 v5, vcc_lo, s8, v5, vcc_lo
	global_store_b128 v[4:5], v[0:3], off
.LBB124_154:
	s_nop 0
	s_sendmsg sendmsg(MSG_DEALLOC_VGPRS)
	s_endpgm
	.section	.rodata,"a",@progbits
	.p2align	6, 0x0
	.amdhsa_kernel _ZL26rocblas_hemvn_kernel_upperILb0ELi64ELi4ELi33ELi32ELi16El19rocblas_complex_numIdEPKS1_PS1_EviT6_lT7_lT5_lS6_lS7_lS5_lT8_i
		.amdhsa_group_segment_fixed_size 19200
		.amdhsa_private_segment_fixed_size 20
		.amdhsa_kernarg_size 392
		.amdhsa_user_sgpr_count 14
		.amdhsa_user_sgpr_dispatch_ptr 0
		.amdhsa_user_sgpr_queue_ptr 0
		.amdhsa_user_sgpr_kernarg_segment_ptr 1
		.amdhsa_user_sgpr_dispatch_id 0
		.amdhsa_user_sgpr_private_segment_size 0
		.amdhsa_wavefront_size32 1
		.amdhsa_uses_dynamic_stack 0
		.amdhsa_enable_private_segment 1
		.amdhsa_system_sgpr_workgroup_id_x 1
		.amdhsa_system_sgpr_workgroup_id_y 0
		.amdhsa_system_sgpr_workgroup_id_z 1
		.amdhsa_system_sgpr_workgroup_info 0
		.amdhsa_system_vgpr_workitem_id 1
		.amdhsa_next_free_vgpr 256
		.amdhsa_next_free_sgpr 32
		.amdhsa_reserve_vcc 1
		.amdhsa_float_round_mode_32 0
		.amdhsa_float_round_mode_16_64 0
		.amdhsa_float_denorm_mode_32 3
		.amdhsa_float_denorm_mode_16_64 3
		.amdhsa_dx10_clamp 1
		.amdhsa_ieee_mode 1
		.amdhsa_fp16_overflow 0
		.amdhsa_workgroup_processor_mode 1
		.amdhsa_memory_ordered 1
		.amdhsa_forward_progress 0
		.amdhsa_shared_vgpr_count 0
		.amdhsa_exception_fp_ieee_invalid_op 0
		.amdhsa_exception_fp_denorm_src 0
		.amdhsa_exception_fp_ieee_div_zero 0
		.amdhsa_exception_fp_ieee_overflow 0
		.amdhsa_exception_fp_ieee_underflow 0
		.amdhsa_exception_fp_ieee_inexact 0
		.amdhsa_exception_int_div_zero 0
	.end_amdhsa_kernel
	.section	.text._ZL26rocblas_hemvn_kernel_upperILb0ELi64ELi4ELi33ELi32ELi16El19rocblas_complex_numIdEPKS1_PS1_EviT6_lT7_lT5_lS6_lS7_lS5_lT8_i,"axG",@progbits,_ZL26rocblas_hemvn_kernel_upperILb0ELi64ELi4ELi33ELi32ELi16El19rocblas_complex_numIdEPKS1_PS1_EviT6_lT7_lT5_lS6_lS7_lS5_lT8_i,comdat
.Lfunc_end124:
	.size	_ZL26rocblas_hemvn_kernel_upperILb0ELi64ELi4ELi33ELi32ELi16El19rocblas_complex_numIdEPKS1_PS1_EviT6_lT7_lT5_lS6_lS7_lS5_lT8_i, .Lfunc_end124-_ZL26rocblas_hemvn_kernel_upperILb0ELi64ELi4ELi33ELi32ELi16El19rocblas_complex_numIdEPKS1_PS1_EviT6_lT7_lT5_lS6_lS7_lS5_lT8_i
                                        ; -- End function
	.section	.AMDGPU.csdata,"",@progbits
; Kernel info:
; codeLenInByte = 12304
; NumSgprs: 34
; NumVgprs: 256
; ScratchSize: 20
; MemoryBound: 1
; FloatMode: 240
; IeeeMode: 1
; LDSByteSize: 19200 bytes/workgroup (compile time only)
; SGPRBlocks: 4
; VGPRBlocks: 31
; NumSGPRsForWavesPerEU: 34
; NumVGPRsForWavesPerEU: 256
; Occupancy: 5
; WaveLimiterHint : 0
; COMPUTE_PGM_RSRC2:SCRATCH_EN: 1
; COMPUTE_PGM_RSRC2:USER_SGPR: 14
; COMPUTE_PGM_RSRC2:TRAP_HANDLER: 0
; COMPUTE_PGM_RSRC2:TGID_X_EN: 1
; COMPUTE_PGM_RSRC2:TGID_Y_EN: 0
; COMPUTE_PGM_RSRC2:TGID_Z_EN: 1
; COMPUTE_PGM_RSRC2:TIDIG_COMP_CNT: 1
	.section	.text._ZL26rocblas_hemvn_kernel_upperILb0ELi64ELi4ELi33ELi32ELi16Ei19rocblas_complex_numIdEPKS1_PS1_EviT6_lT7_lT5_lS6_lS7_lS5_lT8_i,"axG",@progbits,_ZL26rocblas_hemvn_kernel_upperILb0ELi64ELi4ELi33ELi32ELi16Ei19rocblas_complex_numIdEPKS1_PS1_EviT6_lT7_lT5_lS6_lS7_lS5_lT8_i,comdat
	.globl	_ZL26rocblas_hemvn_kernel_upperILb0ELi64ELi4ELi33ELi32ELi16Ei19rocblas_complex_numIdEPKS1_PS1_EviT6_lT7_lT5_lS6_lS7_lS5_lT8_i ; -- Begin function _ZL26rocblas_hemvn_kernel_upperILb0ELi64ELi4ELi33ELi32ELi16Ei19rocblas_complex_numIdEPKS1_PS1_EviT6_lT7_lT5_lS6_lS7_lS5_lT8_i
	.p2align	8
	.type	_ZL26rocblas_hemvn_kernel_upperILb0ELi64ELi4ELi33ELi32ELi16Ei19rocblas_complex_numIdEPKS1_PS1_EviT6_lT7_lT5_lS6_lS7_lS5_lT8_i,@function
_ZL26rocblas_hemvn_kernel_upperILb0ELi64ELi4ELi33ELi32ELi16Ei19rocblas_complex_numIdEPKS1_PS1_EviT6_lT7_lT5_lS6_lS7_lS5_lT8_i: ; @_ZL26rocblas_hemvn_kernel_upperILb0ELi64ELi4ELi33ELi32ELi16Ei19rocblas_complex_numIdEPKS1_PS1_EviT6_lT7_lT5_lS6_lS7_lS5_lT8_i
; %bb.0:
	s_load_b64 s[4:5], s[0:1], 0x94
	s_add_u32 s2, s0, 0x88
	s_addc_u32 s3, s1, 0
	s_waitcnt lgkmcnt(0)
	s_lshr_b32 s6, s4, 16
	s_and_b32 s4, s4, 0xffff
	s_and_b32 s5, s5, 0xffff
	s_mul_i32 s4, s6, s4
	s_delay_alu instid0(SALU_CYCLE_1) | instskip(NEXT) | instid1(SALU_CYCLE_1)
	s_mul_i32 s4, s4, s5
	s_cmpk_lg_i32 s4, 0x100
	s_cbranch_scc1 .LBB125_154
; %bb.1:
	s_load_b128 s[4:7], s[0:1], 0x8
	s_waitcnt lgkmcnt(0)
	v_cmp_neq_f64_e64 s12, s[4:5], 0
	v_cmp_neq_f64_e64 s6, s[6:7], 0
	s_clause 0x1
	s_load_b128 s[8:11], s[0:1], 0x58
	s_load_b64 s[4:5], s[0:1], 0x68
	s_mov_b32 s7, -1
	s_delay_alu instid0(VALU_DEP_1) | instskip(NEXT) | instid1(SALU_CYCLE_1)
	s_or_b32 s6, s12, s6
	s_and_b32 vcc_lo, exec_lo, s6
	s_cbranch_vccnz .LBB125_3
; %bb.2:
	s_waitcnt lgkmcnt(0)
	v_cmp_neq_f64_e64 s7, s[10:11], 1.0
	v_cmp_neq_f64_e64 s4, s[4:5], 0
	s_delay_alu instid0(VALU_DEP_1)
	s_or_b32 s7, s7, s4
.LBB125_3:
	s_delay_alu instid0(SALU_CYCLE_1)
	s_and_not1_b32 vcc_lo, exec_lo, s7
	s_cbranch_vccnz .LBB125_154
; %bb.4:
	s_and_not1_b32 vcc_lo, exec_lo, s6
	s_cbranch_vccnz .LBB125_154
; %bb.5:
	s_waitcnt lgkmcnt(0)
	s_clause 0x2
	s_load_b128 s[4:7], s[0:1], 0x38
	s_load_b64 s[10:11], s[0:1], 0x48
	s_load_b32 s30, s[0:1], 0x50
	s_mul_i32 s9, s15, s9
	s_mul_hi_u32 s12, s15, s8
	s_mul_i32 s8, s15, s8
	s_add_i32 s9, s12, s9
	v_and_b32_e32 v170, 0x3ff, v0
	s_lshl_b64 s[12:13], s[8:9], 4
	s_load_b32 s9, s[0:1], 0x0
	s_load_b32 s26, s[2:3], 0x0
	v_bfe_u32 v0, v0, 10, 10
	scratch_store_b32 off, v0, off offset:8 ; 4-byte Folded Spill
	s_waitcnt lgkmcnt(0)
	s_add_u32 s8, s6, s12
	s_addc_u32 s12, s7, s13
	s_lshl_b64 s[6:7], s[10:11], 4
	s_delay_alu instid0(SALU_CYCLE_1) | instskip(SKIP_2) | instid1(SALU_CYCLE_1)
	s_add_u32 s6, s8, s6
	s_addc_u32 s7, s12, s7
	s_lshl_b32 s12, s14, 6
	v_add_nc_u32_e32 v2, s12, v170
	s_ashr_i32 s24, s9, 31
	s_add_i32 s3, s26, -1
	s_lshr_b32 s2, s24, 26
	s_delay_alu instid0(VALU_DEP_1) | instskip(SKIP_1) | instid1(SALU_CYCLE_1)
	v_mov_b32_e32 v1, v2
	s_add_i32 s2, s9, s2
	s_and_not1_b32 s2, s2, 63
	scratch_store_b64 off, v[1:2], off offset:12 ; 8-byte Folded Spill
	v_mul_lo_u32 v1, v2, s30
	s_sub_i32 s27, s9, s2
	v_cmp_eq_u32_e64 s2, 0, v0
	s_cmp_eq_u32 s14, s3
	s_cselect_b32 s10, s27, 0
	s_delay_alu instid0(VALU_DEP_2) | instskip(NEXT) | instid1(VALU_DEP_1)
	v_ashrrev_i32_e32 v2, 31, v1
	v_lshlrev_b64 v[1:2], 4, v[1:2]
	s_delay_alu instid0(VALU_DEP_1) | instskip(NEXT) | instid1(VALU_DEP_2)
	v_add_co_u32 v36, vcc_lo, s6, v1
	v_add_co_ci_u32_e32 v37, vcc_lo, s7, v2, vcc_lo
	s_mov_b32 s6, -1
	s_and_saveexec_b32 s3, s2
	s_cbranch_execz .LBB125_10
; %bb.6:
	v_cmp_le_i32_e32 vcc_lo, s10, v170
	s_cmp_lg_u32 s10, 0
	v_lshl_add_u32 v0, v170, 4, 0x4700
	s_cselect_b32 s7, -1, 0
	s_delay_alu instid0(SALU_CYCLE_1) | instskip(NEXT) | instid1(SALU_CYCLE_1)
	s_and_b32 s7, s7, vcc_lo
	s_and_saveexec_b32 s8, s7
	s_delay_alu instid0(SALU_CYCLE_1)
	s_xor_b32 s7, exec_lo, s8
	s_cbranch_execz .LBB125_8
; %bb.7:
	v_mov_b32_e32 v1, 0
	s_delay_alu instid0(VALU_DEP_1)
	v_mov_b32_e32 v2, v1
	v_mov_b32_e32 v3, v1
	;; [unrolled: 1-line block ×3, first 2 shown]
	ds_store_b128 v0, v[1:4]
                                        ; implicit-def: $vgpr0
.LBB125_8:
	s_and_not1_saveexec_b32 s7, s7
	s_cbranch_execz .LBB125_10
; %bb.9:
	global_load_b128 v[1:4], v[36:37], off
	s_waitcnt vmcnt(0)
	ds_store_2addr_b64 v0, v[1:2], v[3:4] offset1:1
.LBB125_10:
	s_or_b32 exec_lo, exec_lo, s3
	s_clause 0x1
	s_load_b128 s[20:23], s[0:1], 0x20
	s_load_b32 s16, s[0:1], 0x30
	scratch_load_b32 v0, off, off offset:8  ; 4-byte Folded Reload
	v_and_b32_e32 v4, 31, v170
	s_mul_i32 s3, s15, s5
	s_mul_hi_u32 s5, s15, s4
	s_mul_i32 s4, s15, s4
	s_add_i32 s5, s5, s3
	v_lshlrev_b32_e32 v13, 4, v4
	s_lshl_b64 s[4:5], s[4:5], 4
	s_waitcnt lgkmcnt(0)
	s_add_u32 s3, s20, s4
	s_addc_u32 s7, s21, s5
	s_lshl_b64 s[4:5], s[22:23], 4
	s_mul_i32 s18, s12, s16
	s_add_u32 s3, s3, s4
	s_addc_u32 s7, s7, s5
	s_ashr_i32 s13, s12, 31
	s_delay_alu instid0(SALU_CYCLE_1) | instskip(NEXT) | instid1(SALU_CYCLE_1)
	s_lshl_b64 s[4:5], s[12:13], 4
	s_add_u32 s8, s3, s4
	s_addc_u32 s7, s7, s5
	s_ashr_i32 s19, s18, 31
	v_cmp_gt_i32_e64 s3, s10, v4
	s_lshl_b64 s[4:5], s[18:19], 4
	s_delay_alu instid0(SALU_CYCLE_1)
	s_add_u32 s4, s4, s8
	s_addc_u32 s5, s5, s7
	s_cmp_eq_u32 s10, 0
	s_cselect_b32 s28, -1, 0
	s_cmp_lg_u32 s10, 0
	s_cselect_b32 s13, -1, 0
	s_waitcnt vmcnt(0)
	v_lshl_add_u32 v42, v0, 6, v170
	s_delay_alu instid0(VALU_DEP_1) | instskip(NEXT) | instid1(VALU_DEP_1)
	v_lshrrev_b32_e32 v11, 5, v42
	v_mad_u64_u32 v[0:1], null, v11, s16, v[4:5]
	v_mul_u32_u24_e32 v12, 33, v11
	s_delay_alu instid0(VALU_DEP_2) | instskip(NEXT) | instid1(VALU_DEP_1)
	v_ashrrev_i32_e32 v1, 31, v0
	v_lshlrev_b64 v[38:39], 4, v[0:1]
	s_delay_alu instid0(VALU_DEP_1) | instskip(NEXT) | instid1(VALU_DEP_2)
	v_add_co_u32 v0, vcc_lo, s4, v38
	v_add_co_ci_u32_e32 v1, vcc_lo, s5, v39, vcc_lo
	s_and_b32 vcc_lo, exec_lo, s13
	s_cbranch_vccz .LBB125_28
; %bb.11:
	s_delay_alu instid0(VALU_DEP_2)
	v_sub_co_u32 v2, vcc_lo, v0, v13
	s_ashr_i32 s11, s10, 31
	v_subrev_co_ci_u32_e32 v3, vcc_lo, 0, v1, vcc_lo
	s_lshl_b64 s[4:5], s[10:11], 4
	v_add_lshl_u32 v5, v12, v4, 4
	v_add_co_u32 v2, vcc_lo, v2, s4
	s_delay_alu instid0(VALU_DEP_3) | instskip(SKIP_1) | instid1(VALU_DEP_2)
	v_add_co_ci_u32_e32 v3, vcc_lo, s5, v3, vcc_lo
	s_mov_b32 s6, exec_lo
	v_add_co_u32 v2, vcc_lo, v2, -16
	s_delay_alu instid0(VALU_DEP_2) | instskip(NEXT) | instid1(VALU_DEP_2)
	v_add_co_ci_u32_e32 v3, vcc_lo, -1, v3, vcc_lo
	v_cndmask_b32_e64 v2, v2, v0, s3
	s_delay_alu instid0(VALU_DEP_2)
	v_cndmask_b32_e64 v3, v3, v1, s3
	v_cmpx_le_i32_e64 s10, v11
	s_xor_b32 s6, exec_lo, s6
	s_cbranch_execz .LBB125_13
; %bb.12:
	v_mov_b32_e32 v6, 0
	s_delay_alu instid0(VALU_DEP_1)
	v_mov_b32_e32 v7, v6
	v_mov_b32_e32 v8, v6
	;; [unrolled: 1-line block ×3, first 2 shown]
	ds_store_b128 v5, v[6:9]
.LBB125_13:
	s_and_not1_saveexec_b32 s6, s6
	s_cbranch_execz .LBB125_15
; %bb.14:
	global_load_b128 v[6:9], v[2:3], off
	s_waitcnt vmcnt(0)
	ds_store_2addr_b64 v5, v[6:7], v[8:9] offset1:1
.LBB125_15:
	s_or_b32 exec_lo, exec_lo, s6
	v_add_nc_u32_e32 v6, 8, v11
	s_mov_b32 s6, exec_lo
	s_delay_alu instid0(VALU_DEP_1)
	v_cmpx_le_i32_e64 s10, v6
	s_xor_b32 s6, exec_lo, s6
	s_cbranch_execz .LBB125_17
; %bb.16:
	v_mul_u32_u24_e32 v7, 33, v6
	v_mov_b32_e32 v6, 0
	s_delay_alu instid0(VALU_DEP_2) | instskip(NEXT) | instid1(VALU_DEP_2)
	v_add_lshl_u32 v10, v7, v4, 4
	v_mov_b32_e32 v7, v6
	v_mov_b32_e32 v8, v6
	;; [unrolled: 1-line block ×3, first 2 shown]
	ds_store_b128 v10, v[6:9]
.LBB125_17:
	s_and_not1_saveexec_b32 s6, s6
	s_cbranch_execz .LBB125_19
; %bb.18:
	s_lshl_b32 s18, s16, 3
	v_add_nc_u32_e32 v10, 0x1080, v5
	s_ashr_i32 s19, s18, 31
	s_delay_alu instid0(SALU_CYCLE_1) | instskip(NEXT) | instid1(SALU_CYCLE_1)
	s_lshl_b64 s[18:19], s[18:19], 4
	v_add_co_u32 v6, vcc_lo, v2, s18
	v_add_co_ci_u32_e32 v7, vcc_lo, s19, v3, vcc_lo
	global_load_b128 v[6:9], v[6:7], off
	s_waitcnt vmcnt(0)
	ds_store_2addr_b64 v10, v[6:7], v[8:9] offset1:1
.LBB125_19:
	s_or_b32 exec_lo, exec_lo, s6
	v_add_nc_u32_e32 v6, 16, v11
	s_mov_b32 s6, exec_lo
	s_delay_alu instid0(VALU_DEP_1)
	v_cmpx_le_i32_e64 s10, v6
	s_xor_b32 s6, exec_lo, s6
	s_cbranch_execz .LBB125_21
; %bb.20:
	v_mul_u32_u24_e32 v7, 33, v6
	v_mov_b32_e32 v6, 0
	s_delay_alu instid0(VALU_DEP_2) | instskip(NEXT) | instid1(VALU_DEP_2)
	v_add_lshl_u32 v10, v7, v4, 4
	v_mov_b32_e32 v7, v6
	v_mov_b32_e32 v8, v6
	;; [unrolled: 1-line block ×3, first 2 shown]
	ds_store_b128 v10, v[6:9]
.LBB125_21:
	s_and_not1_saveexec_b32 s6, s6
	s_cbranch_execz .LBB125_23
; %bb.22:
	s_lshl_b32 s18, s16, 4
	v_add_nc_u32_e32 v10, 0x2100, v5
	s_ashr_i32 s19, s18, 31
	s_delay_alu instid0(SALU_CYCLE_1) | instskip(NEXT) | instid1(SALU_CYCLE_1)
	s_lshl_b64 s[18:19], s[18:19], 4
	v_add_co_u32 v6, vcc_lo, v2, s18
	v_add_co_ci_u32_e32 v7, vcc_lo, s19, v3, vcc_lo
	global_load_b128 v[6:9], v[6:7], off
	s_waitcnt vmcnt(0)
	ds_store_2addr_b64 v10, v[6:7], v[8:9] offset1:1
.LBB125_23:
	s_or_b32 exec_lo, exec_lo, s6
	v_add_nc_u32_e32 v6, 24, v11
	s_mov_b32 s6, exec_lo
	s_delay_alu instid0(VALU_DEP_1)
	v_cmpx_le_i32_e64 s10, v6
	s_xor_b32 s6, exec_lo, s6
	s_cbranch_execz .LBB125_25
; %bb.24:
	v_mov_b32_e32 v6, 0
	s_delay_alu instid0(VALU_DEP_1)
	v_mov_b32_e32 v7, v6
	v_mov_b32_e32 v8, v6
	;; [unrolled: 1-line block ×3, first 2 shown]
	ds_store_b128 v5, v[6:9] offset:12672
                                        ; implicit-def: $vgpr5
.LBB125_25:
	s_and_not1_saveexec_b32 s6, s6
	s_cbranch_execz .LBB125_27
; %bb.26:
	s_mul_i32 s18, s16, 24
	v_add_nc_u32_e32 v5, 0x3180, v5
	s_ashr_i32 s19, s18, 31
	s_delay_alu instid0(SALU_CYCLE_1) | instskip(NEXT) | instid1(SALU_CYCLE_1)
	s_lshl_b64 s[18:19], s[18:19], 4
	v_add_co_u32 v6, vcc_lo, v2, s18
	v_add_co_ci_u32_e32 v7, vcc_lo, s19, v3, vcc_lo
	global_load_b128 v[6:9], v[6:7], off
	s_waitcnt vmcnt(0)
	ds_store_2addr_b64 v5, v[6:7], v[8:9] offset1:1
.LBB125_27:
	s_or_b32 exec_lo, exec_lo, s6
	v_add_co_u32 v2, vcc_lo, v2, v13
	v_add_co_ci_u32_e32 v3, vcc_lo, 0, v3, vcc_lo
	s_delay_alu instid0(VALU_DEP_2) | instskip(NEXT) | instid1(VALU_DEP_2)
	v_sub_co_u32 v2, vcc_lo, v2, s4
	v_subrev_co_ci_u32_e32 v3, vcc_lo, s5, v3, vcc_lo
	s_delay_alu instid0(VALU_DEP_2) | instskip(NEXT) | instid1(VALU_DEP_2)
	v_add_co_u32 v2, vcc_lo, v2, 16
	v_add_co_ci_u32_e32 v3, vcc_lo, 0, v3, vcc_lo
	s_delay_alu instid0(VALU_DEP_2) | instskip(NEXT) | instid1(VALU_DEP_2)
	v_cndmask_b32_e64 v5, v2, v0, s3
	v_cndmask_b32_e64 v6, v3, v1, s3
	s_branch .LBB125_30
.LBB125_28:
                                        ; implicit-def: $vgpr5_vgpr6
	s_and_b32 vcc_lo, exec_lo, s6
	s_cbranch_vccz .LBB125_30
; %bb.29:
	s_lshl_b32 s4, s16, 3
	s_ashr_i32 s17, s16, 31
	s_ashr_i32 s5, s4, 31
	s_delay_alu instid0(SALU_CYCLE_1) | instskip(NEXT) | instid1(SALU_CYCLE_1)
	s_lshl_b64 s[4:5], s[4:5], 4
	v_add_co_u32 v2, vcc_lo, v0, s4
	v_add_co_ci_u32_e32 v3, vcc_lo, s5, v1, vcc_lo
	s_lshl_b64 s[4:5], s[16:17], 7
	s_delay_alu instid0(VALU_DEP_2) | instid1(SALU_CYCLE_1)
	v_add_co_u32 v5, vcc_lo, v2, s4
	s_delay_alu instid0(VALU_DEP_2) | instskip(NEXT) | instid1(VALU_DEP_2)
	v_add_co_ci_u32_e32 v6, vcc_lo, s5, v3, vcc_lo
	v_add_co_u32 v22, vcc_lo, v5, s4
	s_delay_alu instid0(VALU_DEP_2)
	v_add_co_ci_u32_e32 v23, vcc_lo, s5, v6, vcc_lo
	s_clause 0x1
	global_load_b128 v[7:10], v[0:1], off
	global_load_b128 v[14:17], v[2:3], off
	;; [unrolled: 1-line block ×4, first 2 shown]
	v_add_lshl_u32 v2, v12, v4, 4
	v_dual_mov_b32 v6, v1 :: v_dual_mov_b32 v5, v0
	s_delay_alu instid0(VALU_DEP_2)
	v_add_nc_u32_e32 v3, 0x1080, v2
	v_add_nc_u32_e32 v26, 0x2100, v2
	;; [unrolled: 1-line block ×3, first 2 shown]
	s_waitcnt vmcnt(3)
	ds_store_2addr_b64 v2, v[7:8], v[9:10] offset1:1
	s_waitcnt vmcnt(2)
	ds_store_2addr_b64 v3, v[14:15], v[16:17] offset1:1
	;; [unrolled: 2-line block ×4, first 2 shown]
.LBB125_30:
	v_lshlrev_b32_e32 v0, 2, v11
	v_mul_u32_u24_e32 v14, 33, v4
	v_mul_u32_u24_e32 v1, 0x84, v11
	s_waitcnt lgkmcnt(0)
	s_waitcnt_vscnt null, 0x0
	s_barrier
	v_cmp_gt_u32_e64 s4, v0, v4
	v_add_lshl_u32 v9, v0, v14, 4
	buffer_gl0_inv
	s_and_saveexec_b32 s3, s4
	s_cbranch_execz .LBB125_32
; %bb.31:
	v_add_lshl_u32 v2, v1, v4, 4
	ds_load_b128 v[15:18], v2
	s_waitcnt lgkmcnt(0)
	ds_store_b128 v9, v[15:18]
.LBB125_32:
	s_or_b32 exec_lo, exec_lo, s3
	v_cmp_ge_u32_e64 s5, v0, v4
	s_delay_alu instid0(VALU_DEP_1)
	s_and_saveexec_b32 s3, s5
	s_cbranch_execz .LBB125_34
; %bb.33:
	v_or_b32_e32 v2, 1, v0
	s_delay_alu instid0(VALU_DEP_1) | instskip(NEXT) | instid1(VALU_DEP_1)
	v_mul_u32_u24_e32 v2, 33, v2
	v_add_lshl_u32 v2, v2, v4, 4
	ds_load_b128 v[15:18], v2
	s_waitcnt lgkmcnt(0)
	ds_store_b128 v9, v[15:18] offset:16
.LBB125_34:
	s_or_b32 exec_lo, exec_lo, s3
	v_or_b32_e32 v2, 2, v0
	s_delay_alu instid0(VALU_DEP_1) | instskip(NEXT) | instid1(VALU_DEP_1)
	v_cmp_gt_u32_e64 s6, v2, v4
	s_and_saveexec_b32 s3, s6
	s_cbranch_execz .LBB125_36
; %bb.35:
	v_mul_u32_u24_e32 v2, 33, v2
	s_delay_alu instid0(VALU_DEP_1)
	v_add_lshl_u32 v2, v2, v4, 4
	ds_load_b128 v[15:18], v2
	s_waitcnt lgkmcnt(0)
	ds_store_b128 v9, v[15:18] offset:32
.LBB125_36:
	s_or_b32 exec_lo, exec_lo, s3
	v_or_b32_e32 v2, 3, v0
	s_delay_alu instid0(VALU_DEP_1) | instskip(SKIP_1) | instid1(VALU_DEP_2)
	v_mad_u32_u24 v3, v2, 33, v4
	v_cmp_gt_u32_e64 s7, v2, v4
	v_lshlrev_b32_e32 v16, 4, v3
	s_delay_alu instid0(VALU_DEP_2)
	s_and_saveexec_b32 s3, s7
	s_cbranch_execz .LBB125_38
; %bb.37:
	ds_load_b128 v[17:20], v16
	s_waitcnt lgkmcnt(0)
	ds_store_b128 v9, v[17:20] offset:48
.LBB125_38:
	s_or_b32 exec_lo, exec_lo, s3
	v_lshlrev_b32_e32 v10, 4, v0
	v_add_lshl_u32 v15, v1, v4, 4
	s_waitcnt lgkmcnt(0)
	s_barrier
	buffer_gl0_inv
	ds_load_b128 v[0:3], v10 offset:18176
	ds_load_b128 v[17:20], v15
	v_add_nc_u32_e32 v24, 0xfffffbe0, v16
	ds_load_b128 v[25:28], v24
	ds_load_b128 v[29:32], v24 offset:528
	v_cmp_gt_u32_e64 s3, 32, v42
	s_waitcnt lgkmcnt(2)
	v_mul_f64 v[7:8], v[2:3], v[19:20]
	v_mul_f64 v[33:34], v[0:1], v[19:20]
	ds_load_b128 v[19:22], v10 offset:18192
	ds_load_b128 v[43:46], v10 offset:18208
	s_waitcnt lgkmcnt(1)
	v_mul_f64 v[40:41], v[21:22], v[27:28]
	v_mul_f64 v[27:28], v[19:20], v[27:28]
	v_fma_f64 v[0:1], v[0:1], v[17:18], -v[7:8]
	v_fma_f64 v[2:3], v[2:3], v[17:18], v[33:34]
	s_waitcnt lgkmcnt(0)
	v_mul_f64 v[7:8], v[45:46], v[31:32]
	v_mul_f64 v[31:32], v[43:44], v[31:32]
	v_fma_f64 v[33:34], v[19:20], v[25:26], -v[40:41]
	v_fma_f64 v[21:22], v[21:22], v[25:26], v[27:28]
	v_add_f64 v[25:26], v[0:1], 0
	v_add_f64 v[27:28], v[2:3], 0
	ds_load_b128 v[0:3], v10 offset:18224
	ds_load_b128 v[17:20], v16
	v_fma_f64 v[7:8], v[43:44], v[29:30], -v[7:8]
	v_fma_f64 v[29:30], v[45:46], v[29:30], v[31:32]
	v_add_lshl_u32 v44, v11, v14, 4
	s_waitcnt lgkmcnt(0)
	s_barrier
	buffer_gl0_inv
	v_lshlrev_b32_e32 v43, 4, v14
	v_mul_f64 v[40:41], v[2:3], v[19:20]
	v_mul_f64 v[19:20], v[0:1], v[19:20]
	v_add_f64 v[25:26], v[25:26], v[33:34]
	v_add_f64 v[21:22], v[27:28], v[21:22]
	s_delay_alu instid0(VALU_DEP_4) | instskip(NEXT) | instid1(VALU_DEP_4)
	v_fma_f64 v[0:1], v[0:1], v[17:18], -v[40:41]
	v_fma_f64 v[2:3], v[2:3], v[17:18], v[19:20]
	s_delay_alu instid0(VALU_DEP_4) | instskip(NEXT) | instid1(VALU_DEP_4)
	v_add_f64 v[7:8], v[25:26], v[7:8]
	v_add_f64 v[19:20], v[21:22], v[29:30]
	s_delay_alu instid0(VALU_DEP_2) | instskip(NEXT) | instid1(VALU_DEP_2)
	v_add_f64 v[17:18], v[7:8], v[0:1]
	v_add_f64 v[19:20], v[19:20], v[2:3]
	v_mov_b32_e32 v0, 0
	v_mov_b32_e32 v1, 0
	s_delay_alu instid0(VALU_DEP_1)
	v_dual_mov_b32 v3, v1 :: v_dual_mov_b32 v2, v0
	ds_store_b128 v44, v[17:20]
	s_waitcnt lgkmcnt(0)
	s_barrier
	buffer_gl0_inv
	s_and_saveexec_b32 s8, s3
	s_cbranch_execz .LBB125_40
; %bb.39:
	ds_load_b128 v[0:3], v43
	ds_load_b128 v[17:20], v43 offset:16
	s_waitcnt lgkmcnt(0)
	v_add_f64 v[7:8], v[17:18], v[0:1]
	v_add_f64 v[21:22], v[19:20], v[2:3]
	ds_load_b128 v[0:3], v43 offset:32
	ds_load_b128 v[17:20], v43 offset:48
	s_waitcnt lgkmcnt(1)
	v_add_f64 v[0:1], v[7:8], v[0:1]
	v_add_f64 v[2:3], v[21:22], v[2:3]
	s_waitcnt lgkmcnt(0)
	s_delay_alu instid0(VALU_DEP_2) | instskip(NEXT) | instid1(VALU_DEP_2)
	v_add_f64 v[7:8], v[0:1], v[17:18]
	v_add_f64 v[21:22], v[2:3], v[19:20]
	ds_load_b128 v[0:3], v43 offset:64
	ds_load_b128 v[17:20], v43 offset:80
	s_waitcnt lgkmcnt(1)
	v_add_f64 v[0:1], v[7:8], v[0:1]
	v_add_f64 v[2:3], v[21:22], v[2:3]
	s_waitcnt lgkmcnt(0)
	s_delay_alu instid0(VALU_DEP_2) | instskip(NEXT) | instid1(VALU_DEP_2)
	;; [unrolled: 9-line block ×3, first 2 shown]
	v_add_f64 v[0:1], v[0:1], v[17:18]
	v_add_f64 v[2:3], v[2:3], v[19:20]
.LBB125_40:
	s_or_b32 exec_lo, exec_lo, s8
	s_lshl_b32 s20, s16, 5
	s_delay_alu instid0(SALU_CYCLE_1)
	s_ashr_i32 s21, s20, 31
	s_barrier
	s_lshl_b64 s[18:19], s[20:21], 4
	buffer_gl0_inv
	v_add_co_u32 v17, vcc_lo, v5, s18
	v_add_co_ci_u32_e32 v18, vcc_lo, s19, v6, vcc_lo
	s_delay_alu instid0(VALU_DEP_2) | instskip(NEXT) | instid1(VALU_DEP_2)
	v_add_co_u32 v7, vcc_lo, 0x200, v17
	v_add_co_ci_u32_e32 v8, vcc_lo, 0, v18, vcc_lo
	s_and_b32 vcc_lo, exec_lo, s13
	s_cbranch_vccz .LBB125_58
; %bb.41:
	s_delay_alu instid0(VALU_DEP_2)
	v_sub_co_u32 v5, vcc_lo, v7, v13
	s_ashr_i32 s11, s10, 31
	v_subrev_co_ci_u32_e32 v6, vcc_lo, 0, v8, vcc_lo
	s_lshl_b64 s[22:23], s[10:11], 4
	v_or_b32_e32 v19, 32, v4
	v_add_co_u32 v5, vcc_lo, v5, s22
	s_delay_alu instid0(VALU_DEP_3) | instskip(SKIP_1) | instid1(VALU_DEP_2)
	v_add_co_ci_u32_e32 v6, vcc_lo, s23, v6, vcc_lo
	s_sub_i32 s11, s10, 32
	v_add_co_u32 v5, vcc_lo, 0xfffffdf0, v5
	s_delay_alu instid0(VALU_DEP_2) | instskip(SKIP_3) | instid1(VALU_DEP_4)
	v_add_co_ci_u32_e32 v6, vcc_lo, -1, v6, vcc_lo
	v_cmp_gt_i32_e32 vcc_lo, s10, v19
	v_cmp_le_i32_e64 s8, s11, v11
	v_add_lshl_u32 v19, v12, v4, 4
	v_dual_cndmask_b32 v6, v6, v8 :: v_dual_cndmask_b32 v5, v5, v7
	s_delay_alu instid0(VALU_DEP_3) | instskip(NEXT) | instid1(SALU_CYCLE_1)
	s_and_saveexec_b32 s17, s8
	s_xor_b32 s8, exec_lo, s17
	s_cbranch_execz .LBB125_43
; %bb.42:
	v_mov_b32_e32 v20, 0
	s_delay_alu instid0(VALU_DEP_1)
	v_mov_b32_e32 v21, v20
	v_mov_b32_e32 v22, v20
	v_mov_b32_e32 v23, v20
	ds_store_b128 v19, v[20:23]
.LBB125_43:
	s_and_not1_saveexec_b32 s8, s8
	s_cbranch_execz .LBB125_45
; %bb.44:
	global_load_b128 v[20:23], v[5:6], off
	s_waitcnt vmcnt(0)
	ds_store_2addr_b64 v19, v[20:21], v[22:23] offset1:1
.LBB125_45:
	s_or_b32 exec_lo, exec_lo, s8
	v_add_nc_u32_e32 v20, 8, v11
	s_delay_alu instid0(VALU_DEP_1) | instskip(NEXT) | instid1(VALU_DEP_1)
	v_cmp_le_i32_e64 s8, s11, v20
	s_and_saveexec_b32 s17, s8
	s_delay_alu instid0(SALU_CYCLE_1)
	s_xor_b32 s8, exec_lo, s17
	s_cbranch_execz .LBB125_47
; %bb.46:
	v_mul_u32_u24_e32 v21, 33, v20
	v_mov_b32_e32 v20, 0
	s_delay_alu instid0(VALU_DEP_2) | instskip(NEXT) | instid1(VALU_DEP_2)
	v_add_lshl_u32 v25, v21, v4, 4
	v_mov_b32_e32 v21, v20
	v_mov_b32_e32 v22, v20
	;; [unrolled: 1-line block ×3, first 2 shown]
	ds_store_b128 v25, v[20:23]
.LBB125_47:
	s_and_not1_saveexec_b32 s17, s8
	s_cbranch_execz .LBB125_49
; %bb.48:
	s_lshl_b32 s34, s16, 3
	v_add_nc_u32_e32 v25, 0x1080, v19
	s_ashr_i32 s35, s34, 31
	s_delay_alu instid0(SALU_CYCLE_1) | instskip(NEXT) | instid1(SALU_CYCLE_1)
	s_lshl_b64 s[34:35], s[34:35], 4
	v_add_co_u32 v20, s8, v5, s34
	s_delay_alu instid0(VALU_DEP_1)
	v_add_co_ci_u32_e64 v21, s8, s35, v6, s8
	global_load_b128 v[20:23], v[20:21], off
	s_waitcnt vmcnt(0)
	ds_store_2addr_b64 v25, v[20:21], v[22:23] offset1:1
.LBB125_49:
	s_or_b32 exec_lo, exec_lo, s17
	v_add_nc_u32_e32 v20, 16, v11
	s_delay_alu instid0(VALU_DEP_1) | instskip(NEXT) | instid1(VALU_DEP_1)
	v_cmp_le_i32_e64 s8, s11, v20
	s_and_saveexec_b32 s17, s8
	s_delay_alu instid0(SALU_CYCLE_1)
	s_xor_b32 s8, exec_lo, s17
	s_cbranch_execz .LBB125_51
; %bb.50:
	v_mul_u32_u24_e32 v21, 33, v20
	v_mov_b32_e32 v20, 0
	s_delay_alu instid0(VALU_DEP_2) | instskip(NEXT) | instid1(VALU_DEP_2)
	v_add_lshl_u32 v25, v21, v4, 4
	v_mov_b32_e32 v21, v20
	v_mov_b32_e32 v22, v20
	;; [unrolled: 1-line block ×3, first 2 shown]
	ds_store_b128 v25, v[20:23]
.LBB125_51:
	s_and_not1_saveexec_b32 s17, s8
	s_cbranch_execz .LBB125_53
; %bb.52:
	s_lshl_b32 s34, s16, 4
	v_add_nc_u32_e32 v25, 0x2100, v19
	s_ashr_i32 s35, s34, 31
	s_delay_alu instid0(SALU_CYCLE_1) | instskip(NEXT) | instid1(SALU_CYCLE_1)
	s_lshl_b64 s[34:35], s[34:35], 4
	v_add_co_u32 v20, s8, v5, s34
	s_delay_alu instid0(VALU_DEP_1)
	v_add_co_ci_u32_e64 v21, s8, s35, v6, s8
	global_load_b128 v[20:23], v[20:21], off
	s_waitcnt vmcnt(0)
	ds_store_2addr_b64 v25, v[20:21], v[22:23] offset1:1
.LBB125_53:
	s_or_b32 exec_lo, exec_lo, s17
	v_add_nc_u32_e32 v20, 24, v11
	s_delay_alu instid0(VALU_DEP_1) | instskip(NEXT) | instid1(VALU_DEP_1)
	v_cmp_le_i32_e64 s8, s11, v20
	s_and_saveexec_b32 s11, s8
	s_delay_alu instid0(SALU_CYCLE_1)
	s_xor_b32 s8, exec_lo, s11
	s_cbranch_execz .LBB125_55
; %bb.54:
	v_mov_b32_e32 v20, 0
	s_delay_alu instid0(VALU_DEP_1)
	v_mov_b32_e32 v21, v20
	v_mov_b32_e32 v22, v20
	;; [unrolled: 1-line block ×3, first 2 shown]
	ds_store_b128 v19, v[20:23] offset:12672
                                        ; implicit-def: $vgpr19
.LBB125_55:
	s_and_not1_saveexec_b32 s11, s8
	s_cbranch_execz .LBB125_57
; %bb.56:
	s_mul_i32 s34, s16, 24
	v_add_nc_u32_e32 v19, 0x3180, v19
	s_ashr_i32 s35, s34, 31
	s_delay_alu instid0(SALU_CYCLE_1) | instskip(NEXT) | instid1(SALU_CYCLE_1)
	s_lshl_b64 s[34:35], s[34:35], 4
	v_add_co_u32 v20, s8, v5, s34
	s_delay_alu instid0(VALU_DEP_1)
	v_add_co_ci_u32_e64 v21, s8, s35, v6, s8
	global_load_b128 v[20:23], v[20:21], off
	s_waitcnt vmcnt(0)
	ds_store_2addr_b64 v19, v[20:21], v[22:23] offset1:1
.LBB125_57:
	s_or_b32 exec_lo, exec_lo, s11
	v_add_co_u32 v5, s8, v5, v13
	s_delay_alu instid0(VALU_DEP_1) | instskip(NEXT) | instid1(VALU_DEP_2)
	v_add_co_ci_u32_e64 v6, s8, 0, v6, s8
	v_sub_co_u32 v5, s8, v5, s22
	s_delay_alu instid0(VALU_DEP_1) | instskip(NEXT) | instid1(VALU_DEP_2)
	v_subrev_co_ci_u32_e64 v6, s8, s23, v6, s8
	v_add_co_u32 v5, s8, 0x210, v5
	s_delay_alu instid0(VALU_DEP_1) | instskip(NEXT) | instid1(VALU_DEP_1)
	v_add_co_ci_u32_e64 v6, s8, 0, v6, s8
	v_dual_cndmask_b32 v5, v5, v7 :: v_dual_cndmask_b32 v6, v6, v8
	s_branch .LBB125_60
.LBB125_58:
                                        ; implicit-def: $vgpr5_vgpr6
	s_cbranch_execz .LBB125_60
; %bb.59:
	s_lshl_b32 s22, s16, 3
	s_ashr_i32 s17, s16, 31
	s_ashr_i32 s23, s22, 31
	s_delay_alu instid0(SALU_CYCLE_1) | instskip(NEXT) | instid1(SALU_CYCLE_1)
	s_lshl_b64 s[22:23], s[22:23], 4
	v_add_co_u32 v5, vcc_lo, v17, s22
	v_add_co_ci_u32_e32 v6, vcc_lo, s23, v18, vcc_lo
	s_lshl_b64 s[22:23], s[16:17], 7
	s_delay_alu instid0(VALU_DEP_2) | instid1(SALU_CYCLE_1)
	v_add_co_u32 v21, vcc_lo, v5, s22
	s_delay_alu instid0(VALU_DEP_2) | instskip(NEXT) | instid1(VALU_DEP_2)
	v_add_co_ci_u32_e32 v22, vcc_lo, s23, v6, vcc_lo
	v_add_co_u32 v33, vcc_lo, v21, s22
	s_delay_alu instid0(VALU_DEP_2)
	v_add_co_ci_u32_e32 v34, vcc_lo, s23, v22, vcc_lo
	s_clause 0x3
	global_load_b128 v[17:20], v[7:8], off
	global_load_b128 v[25:28], v[5:6], off offset:512
	global_load_b128 v[29:32], v[21:22], off offset:512
	;; [unrolled: 1-line block ×3, first 2 shown]
	v_add_lshl_u32 v21, v12, v4, 4
	v_dual_mov_b32 v5, v7 :: v_dual_mov_b32 v6, v8
	s_delay_alu instid0(VALU_DEP_2)
	v_add_nc_u32_e32 v22, 0x1080, v21
	v_add_nc_u32_e32 v23, 0x2100, v21
	;; [unrolled: 1-line block ×3, first 2 shown]
	s_waitcnt vmcnt(3)
	ds_store_2addr_b64 v21, v[17:18], v[19:20] offset1:1
	s_waitcnt vmcnt(2)
	ds_store_2addr_b64 v22, v[25:26], v[27:28] offset1:1
	;; [unrolled: 2-line block ×4, first 2 shown]
.LBB125_60:
	s_waitcnt lgkmcnt(0)
	s_barrier
	buffer_gl0_inv
	s_and_saveexec_b32 s8, s4
	s_cbranch_execnz .LBB125_85
; %bb.61:
	s_or_b32 exec_lo, exec_lo, s8
	s_and_saveexec_b32 s4, s5
	s_cbranch_execnz .LBB125_86
.LBB125_62:
	s_or_b32 exec_lo, exec_lo, s4
	s_and_saveexec_b32 s4, s6
	s_cbranch_execnz .LBB125_87
.LBB125_63:
	s_or_b32 exec_lo, exec_lo, s4
	v_add_nc_u32_e32 v25, 0x4700, v10
	s_and_saveexec_b32 s4, s7
	s_cbranch_execz .LBB125_65
.LBB125_64:
	ds_load_b128 v[17:20], v16
	s_waitcnt lgkmcnt(0)
	ds_store_b128 v9, v[17:20] offset:48
.LBB125_65:
	s_or_b32 exec_lo, exec_lo, s4
	s_waitcnt lgkmcnt(0)
	s_barrier
	buffer_gl0_inv
	ds_load_b128 v[7:10], v25 offset:512
	ds_load_b128 v[17:20], v15
	v_cmp_eq_u32_e64 s4, 1, v11
	s_waitcnt lgkmcnt(0)
	v_mul_f64 v[34:35], v[9:10], v[19:20]
	v_mul_f64 v[40:41], v[7:8], v[19:20]
	ds_load_b128 v[19:22], v24
	ds_load_b128 v[26:29], v25 offset:528
	ds_load_b128 v[30:33], v25 offset:544
	s_waitcnt lgkmcnt(1)
	v_mul_f64 v[49:50], v[28:29], v[21:22]
	v_mul_f64 v[21:22], v[26:27], v[21:22]
	v_fma_f64 v[34:35], v[7:8], v[17:18], -v[34:35]
	v_fma_f64 v[17:18], v[9:10], v[17:18], v[40:41]
	ds_load_b128 v[7:10], v24 offset:528
	ds_load_b128 v[45:48], v16
	s_waitcnt lgkmcnt(1)
	v_mul_f64 v[40:41], v[32:33], v[9:10]
	v_mul_f64 v[9:10], v[30:31], v[9:10]
	v_fma_f64 v[26:27], v[26:27], v[19:20], -v[49:50]
	v_fma_f64 v[21:22], v[28:29], v[19:20], v[21:22]
	v_add_f64 v[28:29], v[34:35], 0
	v_add_f64 v[34:35], v[17:18], 0
	ds_load_b128 v[17:20], v25 offset:560
	s_waitcnt lgkmcnt(0)
	s_barrier
	buffer_gl0_inv
	v_fma_f64 v[30:31], v[30:31], v[7:8], -v[40:41]
	v_mul_f64 v[49:50], v[19:20], v[47:48]
	v_mul_f64 v[47:48], v[17:18], v[47:48]
	v_fma_f64 v[7:8], v[32:33], v[7:8], v[9:10]
	v_add_f64 v[9:10], v[28:29], v[26:27]
	v_add_f64 v[21:22], v[34:35], v[21:22]
	v_fma_f64 v[17:18], v[17:18], v[45:46], -v[49:50]
	v_fma_f64 v[19:20], v[19:20], v[45:46], v[47:48]
	s_delay_alu instid0(VALU_DEP_4) | instskip(NEXT) | instid1(VALU_DEP_4)
	v_add_f64 v[9:10], v[9:10], v[30:31]
	v_add_f64 v[21:22], v[21:22], v[7:8]
	s_delay_alu instid0(VALU_DEP_2) | instskip(NEXT) | instid1(VALU_DEP_2)
	v_add_f64 v[7:8], v[9:10], v[17:18]
	v_add_f64 v[9:10], v[21:22], v[19:20]
	ds_store_b128 v44, v[7:10]
	s_waitcnt lgkmcnt(0)
	s_barrier
	buffer_gl0_inv
	s_and_saveexec_b32 s5, s4
	s_cbranch_execz .LBB125_67
; %bb.66:
	ds_load_b128 v[0:3], v43
	ds_load_b128 v[7:10], v43 offset:16
	s_waitcnt lgkmcnt(0)
	v_add_f64 v[17:18], v[7:8], v[0:1]
	v_add_f64 v[19:20], v[9:10], v[2:3]
	ds_load_b128 v[0:3], v43 offset:32
	ds_load_b128 v[7:10], v43 offset:48
	s_waitcnt lgkmcnt(1)
	v_add_f64 v[0:1], v[17:18], v[0:1]
	v_add_f64 v[2:3], v[19:20], v[2:3]
	s_waitcnt lgkmcnt(0)
	s_delay_alu instid0(VALU_DEP_2) | instskip(NEXT) | instid1(VALU_DEP_2)
	v_add_f64 v[17:18], v[0:1], v[7:8]
	v_add_f64 v[19:20], v[2:3], v[9:10]
	ds_load_b128 v[0:3], v43 offset:64
	ds_load_b128 v[7:10], v43 offset:80
	s_waitcnt lgkmcnt(1)
	v_add_f64 v[0:1], v[17:18], v[0:1]
	v_add_f64 v[2:3], v[19:20], v[2:3]
	s_waitcnt lgkmcnt(0)
	s_delay_alu instid0(VALU_DEP_2) | instskip(NEXT) | instid1(VALU_DEP_2)
	;; [unrolled: 9-line block ×3, first 2 shown]
	v_add_f64 v[0:1], v[0:1], v[7:8]
	v_add_f64 v[2:3], v[2:3], v[9:10]
.LBB125_67:
	s_or_b32 exec_lo, exec_lo, s5
	v_add_co_u32 v7, vcc_lo, 0xfffffe00, v5
	v_add_co_ci_u32_e32 v8, vcc_lo, -1, v6, vcc_lo
	s_and_b32 vcc_lo, exec_lo, s13
	s_barrier
	buffer_gl0_inv
	s_cbranch_vccz .LBB125_88
; %bb.68:
	v_sub_co_u32 v9, vcc_lo, v5, v13
	s_ashr_i32 s11, s10, 31
	v_subrev_co_ci_u32_e32 v10, vcc_lo, 0, v6, vcc_lo
	s_lshl_b64 s[6:7], s[10:11], 4
	s_sub_i32 s8, s10, 32
	v_add_co_u32 v9, vcc_lo, v9, s6
	s_delay_alu instid0(VALU_DEP_2) | instskip(SKIP_1) | instid1(VALU_DEP_3)
	v_add_co_ci_u32_e32 v10, vcc_lo, s7, v10, vcc_lo
	v_cmp_le_i32_e64 s5, s8, v11
	v_add_co_u32 v9, vcc_lo, 0xfffffdf0, v9
	s_delay_alu instid0(VALU_DEP_3) | instskip(SKIP_2) | instid1(VALU_DEP_3)
	v_add_co_ci_u32_e32 v10, vcc_lo, -1, v10, vcc_lo
	v_cmp_gt_i32_e32 vcc_lo, s10, v4
	v_add_lshl_u32 v20, v12, v4, 4
	v_dual_cndmask_b32 v10, v10, v8 :: v_dual_cndmask_b32 v9, v9, v7
	s_and_saveexec_b32 s11, s5
	s_delay_alu instid0(SALU_CYCLE_1)
	s_xor_b32 s5, exec_lo, s11
	s_cbranch_execz .LBB125_70
; %bb.69:
	v_mov_b32_e32 v26, 0
	s_delay_alu instid0(VALU_DEP_1)
	v_mov_b32_e32 v27, v26
	v_mov_b32_e32 v28, v26
	;; [unrolled: 1-line block ×3, first 2 shown]
	ds_store_b128 v20, v[26:29]
.LBB125_70:
	s_and_not1_saveexec_b32 s5, s5
	s_cbranch_execz .LBB125_72
; %bb.71:
	global_load_b128 v[26:29], v[9:10], off
	s_waitcnt vmcnt(0)
	ds_store_2addr_b64 v20, v[26:27], v[28:29] offset1:1
.LBB125_72:
	s_or_b32 exec_lo, exec_lo, s5
	v_add_nc_u32_e32 v17, 8, v11
	s_delay_alu instid0(VALU_DEP_1) | instskip(NEXT) | instid1(VALU_DEP_1)
	v_cmp_le_i32_e64 s5, s8, v17
	s_and_saveexec_b32 s11, s5
	s_delay_alu instid0(SALU_CYCLE_1)
	s_xor_b32 s5, exec_lo, s11
	s_cbranch_execz .LBB125_74
; %bb.73:
	v_mul_u32_u24_e32 v18, 33, v17
	v_mov_b32_e32 v26, 0
	s_delay_alu instid0(VALU_DEP_2) | instskip(NEXT) | instid1(VALU_DEP_2)
	v_add_lshl_u32 v18, v18, v4, 4
	v_mov_b32_e32 v27, v26
	v_mov_b32_e32 v28, v26
	;; [unrolled: 1-line block ×3, first 2 shown]
	ds_store_b128 v18, v[26:29]
.LBB125_74:
	s_and_not1_saveexec_b32 s11, s5
	s_cbranch_execz .LBB125_76
; %bb.75:
	s_lshl_b32 s22, s16, 3
	s_delay_alu instid0(SALU_CYCLE_1) | instskip(NEXT) | instid1(SALU_CYCLE_1)
	s_ashr_i32 s23, s22, 31
	s_lshl_b64 s[22:23], s[22:23], 4
	s_delay_alu instid0(SALU_CYCLE_1) | instskip(NEXT) | instid1(VALU_DEP_1)
	v_add_co_u32 v18, s5, v9, s22
	v_add_co_ci_u32_e64 v19, s5, s23, v10, s5
	global_load_b128 v[26:29], v[18:19], off
	v_add_nc_u32_e32 v18, 0x1080, v20
	s_waitcnt vmcnt(0)
	ds_store_2addr_b64 v18, v[26:27], v[28:29] offset1:1
.LBB125_76:
	s_or_b32 exec_lo, exec_lo, s11
	v_add_nc_u32_e32 v18, 16, v11
	s_delay_alu instid0(VALU_DEP_1) | instskip(NEXT) | instid1(VALU_DEP_1)
	v_cmp_le_i32_e64 s5, s8, v18
	s_and_saveexec_b32 s11, s5
	s_delay_alu instid0(SALU_CYCLE_1)
	s_xor_b32 s5, exec_lo, s11
	s_cbranch_execz .LBB125_78
; %bb.77:
	v_mul_u32_u24_e32 v19, 33, v18
	v_mov_b32_e32 v26, 0
	s_delay_alu instid0(VALU_DEP_2) | instskip(NEXT) | instid1(VALU_DEP_2)
	v_add_lshl_u32 v19, v19, v4, 4
	v_mov_b32_e32 v27, v26
	v_mov_b32_e32 v28, v26
	;; [unrolled: 1-line block ×3, first 2 shown]
	ds_store_b128 v19, v[26:29]
.LBB125_78:
	s_and_not1_saveexec_b32 s11, s5
	s_cbranch_execz .LBB125_80
; %bb.79:
	s_lshl_b32 s22, s16, 4
	v_add_nc_u32_e32 v19, 0x2100, v20
	s_ashr_i32 s23, s22, 31
	s_delay_alu instid0(SALU_CYCLE_1) | instskip(NEXT) | instid1(SALU_CYCLE_1)
	s_lshl_b64 s[22:23], s[22:23], 4
	v_add_co_u32 v21, s5, v9, s22
	s_delay_alu instid0(VALU_DEP_1)
	v_add_co_ci_u32_e64 v22, s5, s23, v10, s5
	global_load_b128 v[26:29], v[21:22], off
	s_waitcnt vmcnt(0)
	ds_store_2addr_b64 v19, v[26:27], v[28:29] offset1:1
.LBB125_80:
	s_or_b32 exec_lo, exec_lo, s11
	v_add_nc_u32_e32 v19, 24, v11
	s_delay_alu instid0(VALU_DEP_1) | instskip(NEXT) | instid1(VALU_DEP_1)
	v_cmp_le_i32_e64 s5, s8, v19
	s_and_saveexec_b32 s8, s5
	s_delay_alu instid0(SALU_CYCLE_1)
	s_xor_b32 s5, exec_lo, s8
	s_cbranch_execz .LBB125_82
; %bb.81:
	v_mov_b32_e32 v26, 0
	s_delay_alu instid0(VALU_DEP_1)
	v_mov_b32_e32 v27, v26
	v_mov_b32_e32 v28, v26
	;; [unrolled: 1-line block ×3, first 2 shown]
	ds_store_b128 v20, v[26:29] offset:12672
                                        ; implicit-def: $vgpr20
.LBB125_82:
	s_and_not1_saveexec_b32 s8, s5
	s_cbranch_execz .LBB125_84
; %bb.83:
	s_mul_i32 s22, s16, 24
	v_add_nc_u32_e32 v20, 0x3180, v20
	s_ashr_i32 s23, s22, 31
	s_delay_alu instid0(SALU_CYCLE_1) | instskip(NEXT) | instid1(SALU_CYCLE_1)
	s_lshl_b64 s[22:23], s[22:23], 4
	v_add_co_u32 v21, s5, v9, s22
	s_delay_alu instid0(VALU_DEP_1)
	v_add_co_ci_u32_e64 v22, s5, s23, v10, s5
	global_load_b128 v[26:29], v[21:22], off
	s_waitcnt vmcnt(0)
	ds_store_2addr_b64 v20, v[26:27], v[28:29] offset1:1
.LBB125_84:
	s_or_b32 exec_lo, exec_lo, s8
	v_add_co_u32 v9, s5, v9, v13
	s_delay_alu instid0(VALU_DEP_1) | instskip(NEXT) | instid1(VALU_DEP_2)
	v_add_co_ci_u32_e64 v10, s5, 0, v10, s5
	v_sub_co_u32 v9, s5, v9, s6
	s_delay_alu instid0(VALU_DEP_1) | instskip(NEXT) | instid1(VALU_DEP_2)
	v_subrev_co_ci_u32_e64 v10, s5, s7, v10, s5
	v_add_co_u32 v9, s5, v9, 16
	s_delay_alu instid0(VALU_DEP_1) | instskip(NEXT) | instid1(VALU_DEP_1)
	v_add_co_ci_u32_e64 v10, s5, 0, v10, s5
	v_dual_cndmask_b32 v40, v9, v7 :: v_dual_cndmask_b32 v41, v10, v8
	s_branch .LBB125_90
.LBB125_85:
	ds_load_b128 v[17:20], v15
	s_waitcnt lgkmcnt(0)
	ds_store_b128 v9, v[17:20]
	s_or_b32 exec_lo, exec_lo, s8
	s_and_saveexec_b32 s4, s5
	s_cbranch_execz .LBB125_62
.LBB125_86:
	ds_load_b128 v[17:20], v24
	s_waitcnt lgkmcnt(0)
	ds_store_b128 v9, v[17:20] offset:16
	s_or_b32 exec_lo, exec_lo, s4
	s_and_saveexec_b32 s4, s6
	s_cbranch_execz .LBB125_63
.LBB125_87:
	v_add_nc_u32_e32 v7, 0x210, v24
	ds_load_b128 v[17:20], v7
	s_waitcnt lgkmcnt(0)
	ds_store_b128 v9, v[17:20] offset:32
	s_or_b32 exec_lo, exec_lo, s4
	v_add_nc_u32_e32 v25, 0x4700, v10
	s_and_saveexec_b32 s4, s7
	s_cbranch_execnz .LBB125_64
	s_branch .LBB125_65
.LBB125_88:
                                        ; implicit-def: $vgpr40_vgpr41
                                        ; implicit-def: $vgpr17
                                        ; implicit-def: $vgpr18
                                        ; implicit-def: $vgpr19
	s_cbranch_execz .LBB125_90
; %bb.89:
	s_lshl_b32 s6, s16, 3
	s_ashr_i32 s17, s16, 31
	s_ashr_i32 s7, s6, 31
	v_add_lshl_u32 v4, v12, v4, 4
	s_lshl_b64 s[6:7], s[6:7], 4
	v_add_nc_u32_e32 v19, 24, v11
	v_add_co_u32 v5, vcc_lo, v5, s6
	v_add_co_ci_u32_e32 v6, vcc_lo, s7, v6, vcc_lo
	s_lshl_b64 s[6:7], s[16:17], 7
	v_mov_b32_e32 v41, v8
	s_delay_alu instid0(VALU_DEP_3) | instskip(NEXT) | instid1(VALU_DEP_3)
	v_add_co_u32 v9, vcc_lo, v5, s6
	v_add_co_ci_u32_e32 v10, vcc_lo, s7, v6, vcc_lo
	v_mov_b32_e32 v40, v7
	s_delay_alu instid0(VALU_DEP_3) | instskip(NEXT) | instid1(VALU_DEP_3)
	v_add_co_u32 v17, vcc_lo, v9, s6
	v_add_co_ci_u32_e32 v18, vcc_lo, s7, v10, vcc_lo
	s_clause 0x3
	global_load_b128 v[20:23], v[7:8], off
	global_load_b128 v[26:29], v[5:6], off offset:-512
	global_load_b128 v[30:33], v[9:10], off offset:-512
	;; [unrolled: 1-line block ×3, first 2 shown]
	v_add_nc_u32_e32 v18, 16, v11
	v_add_nc_u32_e32 v17, 8, v11
	;; [unrolled: 1-line block ×5, first 2 shown]
	s_waitcnt vmcnt(3)
	ds_store_2addr_b64 v4, v[20:21], v[22:23] offset1:1
	s_waitcnt vmcnt(2)
	ds_store_2addr_b64 v5, v[26:27], v[28:29] offset1:1
	;; [unrolled: 2-line block ×4, first 2 shown]
.LBB125_90:
	v_lshlrev_b32_e32 v4, 4, v11
	s_waitcnt lgkmcnt(0)
	s_barrier
	buffer_gl0_inv
	v_add_lshl_u32 v12, v17, v14, 4
	ds_load_b128 v[8:11], v4 offset:18176
	ds_load_b128 v[20:23], v44
	ds_load_b128 v[4:7], v24 offset:528
	ds_load_b128 v[26:29], v12
	s_waitcnt lgkmcnt(2)
	v_mul_f64 v[34:35], v[22:23], v[10:11]
	v_mul_f64 v[45:46], v[20:21], v[10:11]
	v_lshlrev_b32_e32 v10, 4, v17
	v_add_lshl_u32 v17, v18, v14, 4
	v_add_lshl_u32 v14, v19, v14, 4
	ds_load_b128 v[10:13], v10 offset:18176
	ds_load_b128 v[30:33], v17
	v_lshlrev_b32_e32 v17, 4, v18
	v_fma_f64 v[34:35], v[20:21], v[8:9], -v[34:35]
	v_fma_f64 v[8:9], v[22:23], v[8:9], v[45:46]
	ds_load_b128 v[45:48], v14
	s_waitcnt lgkmcnt(2)
	v_mul_f64 v[49:50], v[28:29], v[12:13]
	v_mul_f64 v[12:13], v[26:27], v[12:13]
	ds_load_b128 v[20:23], v17 offset:18176
	s_waitcnt lgkmcnt(0)
	v_mul_f64 v[17:18], v[32:33], v[22:23]
	v_mul_f64 v[22:23], v[30:31], v[22:23]
	v_add_f64 v[34:35], v[34:35], 0
	v_add_f64 v[51:52], v[8:9], 0
	v_lshlrev_b32_e32 v8, 4, v19
	v_fma_f64 v[49:50], v[26:27], v[10:11], -v[49:50]
	v_fma_f64 v[12:13], v[28:29], v[10:11], v[12:13]
	ds_load_b128 v[26:29], v8 offset:18176
	ds_load_b128 v[8:11], v16
	v_fma_f64 v[16:17], v[30:31], v[20:21], -v[17:18]
	s_waitcnt lgkmcnt(1)
	v_mul_f64 v[53:54], v[47:48], v[28:29]
	v_mul_f64 v[28:29], v[45:46], v[28:29]
	v_fma_f64 v[18:19], v[32:33], v[20:21], v[22:23]
	v_add_f64 v[20:21], v[34:35], v[49:50]
	v_add_f64 v[12:13], v[51:52], v[12:13]
	v_fma_f64 v[22:23], v[45:46], v[26:27], -v[53:54]
	v_fma_f64 v[26:27], v[47:48], v[26:27], v[28:29]
	s_delay_alu instid0(VALU_DEP_4) | instskip(NEXT) | instid1(VALU_DEP_4)
	v_add_f64 v[16:17], v[20:21], v[16:17]
	v_add_f64 v[12:13], v[12:13], v[18:19]
	s_delay_alu instid0(VALU_DEP_2) | instskip(NEXT) | instid1(VALU_DEP_2)
	v_add_f64 v[45:46], v[16:17], v[22:23]
	v_add_f64 v[47:48], v[12:13], v[26:27]
	ds_load_b128 v[20:23], v25 offset:528
	ds_load_b128 v[16:19], v25 offset:544
	;; [unrolled: 1-line block ×3, first 2 shown]
	ds_load_b128 v[32:35], v15
	ds_load_b128 v[12:15], v25 offset:560
	ds_load_b128 v[24:27], v24
	s_waitcnt lgkmcnt(0)
	s_barrier
	buffer_gl0_inv
	ds_store_b128 v44, v[45:48]
	s_waitcnt lgkmcnt(0)
	s_barrier
	buffer_gl0_inv
	s_and_saveexec_b32 s5, s4
	s_cbranch_execz .LBB125_92
; %bb.91:
	ds_load_b128 v[45:48], v43
	ds_load_b128 v[49:52], v43 offset:16
	s_waitcnt lgkmcnt(1)
	v_add_f64 v[0:1], v[0:1], v[45:46]
	v_add_f64 v[2:3], v[2:3], v[47:48]
	s_waitcnt lgkmcnt(0)
	s_delay_alu instid0(VALU_DEP_2) | instskip(NEXT) | instid1(VALU_DEP_2)
	v_add_f64 v[49:50], v[0:1], v[49:50]
	v_add_f64 v[51:52], v[2:3], v[51:52]
	ds_load_b128 v[0:3], v43 offset:32
	ds_load_b128 v[45:48], v43 offset:48
	s_waitcnt lgkmcnt(1)
	v_add_f64 v[0:1], v[49:50], v[0:1]
	v_add_f64 v[2:3], v[51:52], v[2:3]
	s_waitcnt lgkmcnt(0)
	s_delay_alu instid0(VALU_DEP_2) | instskip(NEXT) | instid1(VALU_DEP_2)
	v_add_f64 v[49:50], v[0:1], v[45:46]
	v_add_f64 v[51:52], v[2:3], v[47:48]
	ds_load_b128 v[0:3], v43 offset:64
	;; [unrolled: 9-line block ×3, first 2 shown]
	ds_load_b128 v[45:48], v43 offset:112
	s_waitcnt lgkmcnt(1)
	v_add_f64 v[0:1], v[49:50], v[0:1]
	v_add_f64 v[2:3], v[51:52], v[2:3]
	s_waitcnt lgkmcnt(0)
	s_delay_alu instid0(VALU_DEP_2) | instskip(NEXT) | instid1(VALU_DEP_2)
	v_add_f64 v[0:1], v[0:1], v[45:46]
	v_add_f64 v[2:3], v[2:3], v[47:48]
.LBB125_92:
	s_or_b32 exec_lo, exec_lo, s5
	v_mul_f64 v[45:46], v[30:31], v[34:35]
	v_mul_f64 v[34:35], v[28:29], v[34:35]
	;; [unrolled: 1-line block ×4, first 2 shown]
	s_barrier
	buffer_gl0_inv
	v_fma_f64 v[28:29], v[28:29], v[32:33], -v[45:46]
	v_fma_f64 v[30:31], v[30:31], v[32:33], v[34:35]
	v_mul_f64 v[32:33], v[18:19], v[6:7]
	v_mul_f64 v[6:7], v[16:17], v[6:7]
	v_fma_f64 v[20:21], v[20:21], v[24:25], -v[47:48]
	v_fma_f64 v[22:23], v[22:23], v[24:25], v[26:27]
	v_add_f64 v[24:25], v[28:29], 0
	v_add_f64 v[26:27], v[30:31], 0
	v_mul_f64 v[28:29], v[14:15], v[10:11]
	v_mul_f64 v[10:11], v[12:13], v[10:11]
	v_fma_f64 v[16:17], v[16:17], v[4:5], -v[32:33]
	v_fma_f64 v[4:5], v[18:19], v[4:5], v[6:7]
	v_add_f64 v[6:7], v[24:25], v[20:21]
	v_add_f64 v[18:19], v[26:27], v[22:23]
	v_fma_f64 v[12:13], v[12:13], v[8:9], -v[28:29]
	v_fma_f64 v[8:9], v[14:15], v[8:9], v[10:11]
	s_delay_alu instid0(VALU_DEP_4) | instskip(NEXT) | instid1(VALU_DEP_4)
	v_add_f64 v[6:7], v[6:7], v[16:17]
	v_add_f64 v[10:11], v[18:19], v[4:5]
	s_delay_alu instid0(VALU_DEP_2) | instskip(NEXT) | instid1(VALU_DEP_2)
	v_add_f64 v[4:5], v[6:7], v[12:13]
	v_add_f64 v[6:7], v[10:11], v[8:9]
	ds_store_b128 v44, v[4:7]
	s_waitcnt lgkmcnt(0)
	s_barrier
	buffer_gl0_inv
	s_and_saveexec_b32 s4, s3
	s_cbranch_execz .LBB125_94
; %bb.93:
	ds_load_b128 v[4:7], v43
	ds_load_b128 v[8:11], v43 offset:16
	s_waitcnt lgkmcnt(1)
	v_add_f64 v[0:1], v[0:1], v[4:5]
	v_add_f64 v[2:3], v[2:3], v[6:7]
	s_waitcnt lgkmcnt(0)
	s_delay_alu instid0(VALU_DEP_2) | instskip(NEXT) | instid1(VALU_DEP_2)
	v_add_f64 v[8:9], v[0:1], v[8:9]
	v_add_f64 v[10:11], v[2:3], v[10:11]
	ds_load_b128 v[0:3], v43 offset:32
	ds_load_b128 v[4:7], v43 offset:48
	s_waitcnt lgkmcnt(1)
	v_add_f64 v[0:1], v[8:9], v[0:1]
	v_add_f64 v[2:3], v[10:11], v[2:3]
	s_waitcnt lgkmcnt(0)
	s_delay_alu instid0(VALU_DEP_2) | instskip(NEXT) | instid1(VALU_DEP_2)
	v_add_f64 v[8:9], v[0:1], v[4:5]
	v_add_f64 v[10:11], v[2:3], v[6:7]
	ds_load_b128 v[0:3], v43 offset:64
	;; [unrolled: 9-line block ×3, first 2 shown]
	ds_load_b128 v[4:7], v43 offset:112
	s_waitcnt lgkmcnt(1)
	v_add_f64 v[0:1], v[8:9], v[0:1]
	v_add_f64 v[2:3], v[10:11], v[2:3]
	s_waitcnt lgkmcnt(0)
	s_delay_alu instid0(VALU_DEP_2) | instskip(NEXT) | instid1(VALU_DEP_2)
	v_add_f64 v[0:1], v[0:1], v[4:5]
	v_add_f64 v[2:3], v[2:3], v[6:7]
.LBB125_94:
	s_or_b32 exec_lo, exec_lo, s4
	s_load_b64 s[0:1], s[0:1], 0x78
	s_mul_hi_u32 s3, s9, s15
	s_mul_i32 s24, s24, s15
	s_mul_i32 s4, s9, s15
	s_add_i32 s3, s3, s24
	s_mul_hi_u32 s5, s4, s26
	s_mul_i32 s3, s3, s26
	s_mul_i32 s4, s4, s26
	s_add_i32 s5, s5, s3
	s_mul_hi_i32 s7, s9, s14
	s_lshl_b64 s[4:5], s[4:5], 4
	s_mul_i32 s6, s9, s14
	v_lshlrev_b32_e32 v172, 4, v170
	s_waitcnt lgkmcnt(0)
	s_barrier
	buffer_gl0_inv
	s_add_u32 s3, s0, s4
	s_addc_u32 s4, s1, s5
	s_lshl_b64 s[0:1], s[6:7], 4
	s_delay_alu instid0(SALU_CYCLE_1) | instskip(SKIP_2) | instid1(SALU_CYCLE_1)
	s_add_u32 s3, s3, s0
	s_addc_u32 s11, s4, s1
	s_add_i32 s1, s14, 1
	s_cmp_ge_u32 s1, s26
	s_cbranch_scc1 .LBB125_152
; %bb.95:
	scratch_load_b32 v12, off, off offset:8 ; 4-byte Folded Reload
	v_and_b32_e32 v8, 48, v170
	v_add_nc_u32_e32 v9, 0x4300, v172
	s_mul_i32 s4, s12, s30
	v_and_b32_e32 v6, 15, v170
	v_lshrrev_b32_e32 v7, 4, v42
	s_ashr_i32 s5, s4, 31
	scratch_store_b32 off, v9, off          ; 4-byte Folded Spill
	v_lshlrev_b32_e32 v9, 4, v8
	v_or_b32_e32 v10, 0xf0, v172
	s_lshl_b64 s[4:5], s[4:5], 4
	v_lshlrev_b32_e32 v11, 6, v7
	v_sub_co_u32 v176, vcc_lo, v36, s4
	v_mad_u32_u24 v180, 0x430, v6, v9
	v_mad_u32_u24 v9, 0x430, v6, v10
	v_mul_i32_i24_e32 v10, 0xffffffd0, v7
	v_add_nc_u32_e32 v7, s12, v8
	v_subrev_co_ci_u32_e32 v177, vcc_lo, s5, v37, vcc_lo
	v_sub_co_u32 v200, vcc_lo, 0, v38
	v_sub_co_ci_u32_e32 v201, vcc_lo, 0, v39, vcc_lo
	v_mad_u32_u24 v182, 0x430, v6, v11
	scratch_store_b32 off, v9, off offset:4 ; 4-byte Folded Spill
	s_lshl_b32 s22, s16, 4
	s_mul_i32 s34, s16, 3
	s_ashr_i32 s17, s16, 31
	s_ashr_i32 s35, s34, 31
	s_lshl_b32 s29, s30, 6
	s_lshl_b64 s[12:13], s[34:35], 4
	s_ashr_i32 s23, s22, 31
	s_lshl_b32 s24, s16, 1
	s_mul_i32 s30, s30, s1
	s_lshl_b64 s[8:9], s[16:17], 4
	s_mul_i32 s1, s16, 0x300
	s_add_i32 s15, s26, -2
	s_ashr_i32 s25, s24, 31
	s_lshl_b32 s4, s30, 6
	s_lshl_b64 s[6:7], s[22:23], 6
	s_mul_hi_i32 s5, s22, 48
	v_add_nc_u32_e32 v179, 0x4700, v172
	v_cmp_gt_u32_e64 s0, 64, v42
	v_add_nc_u32_e32 v242, v182, v10
	s_waitcnt vmcnt(0)
	v_lshlrev_b32_e32 v175, 2, v12
	v_lshl_add_u32 v186, v12, 6, 0x4300
	v_mad_u32_u24 v187, 0x10c0, v12, v172
	s_delay_alu instid0(VALU_DEP_3) | instskip(SKIP_2) | instid1(SALU_CYCLE_1)
	v_mad_u64_u32 v[4:5], null, v175, s16, v[170:171]
	v_add3_u32 v171, v7, v6, 64
	s_lshl_b64 s[16:17], s[16:17], 5
	s_add_u32 s30, s16, s18
	s_addc_u32 s31, s17, s19
	s_add_u32 s1, s1, s16
	s_delay_alu instid0(VALU_DEP_2) | instskip(SKIP_1) | instid1(VALU_DEP_1)
	v_ashrrev_i32_e32 v5, 31, v4
	s_addc_u32 s5, s5, s17
	v_lshlrev_b64 v[6:7], 4, v[4:5]
	v_add_co_u32 v4, vcc_lo, s20, v4
	v_add_co_ci_u32_e32 v5, vcc_lo, s21, v5, vcc_lo
	s_delay_alu instid0(VALU_DEP_3) | instskip(NEXT) | instid1(VALU_DEP_2)
	v_add_co_u32 v8, vcc_lo, s18, v6
	v_lshlrev_b64 v[4:5], 4, v[4:5]
	v_add_co_ci_u32_e32 v9, vcc_lo, s19, v7, vcc_lo
	s_delay_alu instid0(VALU_DEP_3) | instskip(NEXT) | instid1(VALU_DEP_2)
	v_add_co_u32 v11, vcc_lo, v8, v40
	v_add_co_ci_u32_e32 v12, vcc_lo, v9, v41, vcc_lo
	s_delay_alu instid0(VALU_DEP_4) | instskip(NEXT) | instid1(VALU_DEP_3)
	v_mad_i64_i32 v[8:9], null, s22, 48, v[4:5]
	v_add_co_u32 v202, vcc_lo, v11, 8
	s_delay_alu instid0(VALU_DEP_3) | instskip(NEXT) | instid1(VALU_DEP_3)
	v_add_co_ci_u32_e32 v203, vcc_lo, 0, v12, vcc_lo
	v_add_co_u32 v11, vcc_lo, v8, s12
	s_delay_alu instid0(VALU_DEP_4) | instskip(NEXT) | instid1(VALU_DEP_2)
	v_add_co_ci_u32_e32 v12, vcc_lo, s13, v9, vcc_lo
	v_add_co_u32 v204, vcc_lo, v40, v11
	s_delay_alu instid0(VALU_DEP_2) | instskip(SKIP_4) | instid1(VALU_DEP_4)
	v_add_co_ci_u32_e32 v205, vcc_lo, v41, v12, vcc_lo
	v_add_co_u32 v11, vcc_lo, s30, v6
	v_add_co_ci_u32_e32 v12, vcc_lo, s31, v7, vcc_lo
	v_add_co_u32 v4, vcc_lo, s1, v4
	;; [unrolled: 2-line block ×3, first 2 shown]
	s_delay_alu instid0(VALU_DEP_4) | instskip(NEXT) | instid1(VALU_DEP_4)
	v_add_co_ci_u32_e32 v207, vcc_lo, v41, v12, vcc_lo
	v_add_co_u32 v4, vcc_lo, v4, v40
	s_add_u32 s1, s8, s18
	v_add_co_ci_u32_e32 v5, vcc_lo, v5, v41, vcc_lo
	s_addc_u32 s5, s9, s19
	v_add_co_u32 v11, vcc_lo, s1, v6
	v_add_co_ci_u32_e32 v12, vcc_lo, s5, v7, vcc_lo
	v_add_co_u32 v208, vcc_lo, v4, 8
	v_add_co_ci_u32_e32 v209, vcc_lo, 0, v5, vcc_lo
	s_delay_alu instid0(VALU_DEP_4) | instskip(NEXT) | instid1(VALU_DEP_4)
	v_add_co_u32 v4, vcc_lo, v11, v40
	v_add_co_ci_u32_e32 v5, vcc_lo, v12, v41, vcc_lo
	s_lshl_b64 s[16:17], s[24:25], 4
	s_delay_alu instid0(VALU_DEP_2) | instskip(SKIP_1) | instid1(VALU_DEP_2)
	v_add_co_u32 v210, vcc_lo, v4, 8
	s_add_u32 s20, s18, s16
	v_add_co_ci_u32_e32 v211, vcc_lo, 0, v5, vcc_lo
	s_addc_u32 s21, s19, s17
	v_add_co_u32 v4, vcc_lo, s20, v6
	v_add_co_ci_u32_e32 v5, vcc_lo, s21, v7, vcc_lo
	v_add_co_u32 v11, vcc_lo, v8, s16
	v_add_co_ci_u32_e32 v12, vcc_lo, s17, v9, vcc_lo
	s_delay_alu instid0(VALU_DEP_4) | instskip(NEXT) | instid1(VALU_DEP_4)
	v_add_co_u32 v4, vcc_lo, v4, v40
	v_add_co_ci_u32_e32 v5, vcc_lo, v5, v41, vcc_lo
	s_delay_alu instid0(VALU_DEP_4) | instskip(NEXT) | instid1(VALU_DEP_4)
	;; [unrolled: 3-line block ×3, first 2 shown]
	v_add_co_u32 v214, vcc_lo, v4, 8
	v_add_co_ci_u32_e32 v215, vcc_lo, 0, v5, vcc_lo
	v_add_co_u32 v4, vcc_lo, v8, s8
	s_add_u32 s20, s18, s12
	v_add_co_ci_u32_e32 v5, vcc_lo, s9, v9, vcc_lo
	s_addc_u32 s21, s19, s13
	v_add_co_u32 v11, vcc_lo, s20, v6
	v_add_co_ci_u32_e32 v12, vcc_lo, s21, v7, vcc_lo
	v_add_co_u32 v216, vcc_lo, v40, v4
	v_add_co_ci_u32_e32 v217, vcc_lo, v41, v5, vcc_lo
	s_delay_alu instid0(VALU_DEP_4) | instskip(NEXT) | instid1(VALU_DEP_4)
	v_add_co_u32 v4, vcc_lo, v11, v40
	v_add_co_ci_u32_e32 v5, vcc_lo, v12, v41, vcc_lo
	s_lshl_b64 s[20:21], s[22:23], 4
	s_delay_alu instid0(VALU_DEP_2) | instskip(SKIP_1) | instid1(VALU_DEP_2)
	v_add_co_u32 v218, vcc_lo, v4, 8
	s_add_u32 s24, s18, s20
	v_add_co_ci_u32_e32 v219, vcc_lo, 0, v5, vcc_lo
	s_addc_u32 s25, s19, s21
	v_add_co_u32 v4, vcc_lo, s24, v6
	v_add_co_ci_u32_e32 v5, vcc_lo, s25, v7, vcc_lo
	v_add_co_u32 v220, vcc_lo, v40, v8
	v_add_co_ci_u32_e32 v221, vcc_lo, v41, v9, vcc_lo
	s_delay_alu instid0(VALU_DEP_4) | instskip(NEXT) | instid1(VALU_DEP_4)
	v_add_co_u32 v4, vcc_lo, v4, v40
	v_add_co_ci_u32_e32 v5, vcc_lo, v5, v41, vcc_lo
	s_lshl_b64 s[22:23], s[22:23], 5
	s_delay_alu instid0(VALU_DEP_2)
	v_add_co_u32 v222, vcc_lo, v4, 8
	s_add_u32 s18, s22, s18
	s_addc_u32 s19, s23, s19
	s_add_u32 s33, s18, s12
	v_add_co_ci_u32_e32 v223, vcc_lo, 0, v5, vcc_lo
	s_addc_u32 s34, s19, s13
	v_add_co_u32 v4, vcc_lo, s33, v6
	s_add_u32 s1, s1, s20
	v_add_co_ci_u32_e32 v5, vcc_lo, s34, v7, vcc_lo
	s_addc_u32 s5, s5, s21
	v_add_co_u32 v8, vcc_lo, s1, v6
	v_add_co_ci_u32_e32 v9, vcc_lo, s5, v7, vcc_lo
	v_add_co_u32 v224, vcc_lo, v40, v4
	v_add_co_ci_u32_e32 v225, vcc_lo, v41, v5, vcc_lo
	s_delay_alu instid0(VALU_DEP_4)
	v_add_co_u32 v4, vcc_lo, v8, v40
	s_add_u32 s1, s30, s22
	v_add_co_ci_u32_e32 v5, vcc_lo, v9, v41, vcc_lo
	s_addc_u32 s5, s31, s23
	v_add_co_u32 v8, vcc_lo, s1, v6
	v_add_co_ci_u32_e32 v9, vcc_lo, s5, v7, vcc_lo
	v_add_co_u32 v226, vcc_lo, v4, 8
	v_add_co_ci_u32_e32 v227, vcc_lo, 0, v5, vcc_lo
	s_delay_alu instid0(VALU_DEP_4)
	;; [unrolled: 9-line block ×4, first 2 shown]
	v_add_co_u32 v232, vcc_lo, v40, v8
	s_add_u32 s1, s30, s20
	v_add_co_ci_u32_e32 v233, vcc_lo, v41, v9, vcc_lo
	s_addc_u32 s5, s31, s21
	v_add_co_u32 v4, vcc_lo, s1, v6
	s_add_u32 s1, s18, s8
	v_add_co_ci_u32_e32 v5, vcc_lo, s5, v7, vcc_lo
	s_addc_u32 s5, s19, s9
	v_add_co_u32 v8, vcc_lo, s1, v6
	v_add_co_ci_u32_e32 v9, vcc_lo, s5, v7, vcc_lo
	v_add_co_u32 v234, vcc_lo, v40, v4
	v_add_co_ci_u32_e32 v235, vcc_lo, v41, v5, vcc_lo
	s_delay_alu instid0(VALU_DEP_4)
	v_add_co_u32 v236, vcc_lo, v40, v8
	s_add_u32 s1, s24, s12
	v_add_co_ci_u32_e32 v237, vcc_lo, v41, v9, vcc_lo
	s_addc_u32 s5, s25, s13
	v_add_co_u32 v4, vcc_lo, s1, v6
	v_add_co_ci_u32_e32 v5, vcc_lo, s5, v7, vcc_lo
	v_add_co_u32 v6, vcc_lo, s18, v6
	v_add_co_ci_u32_e32 v7, vcc_lo, s19, v7, vcc_lo
	s_delay_alu instid0(VALU_DEP_4) | instskip(NEXT) | instid1(VALU_DEP_4)
	v_add_co_u32 v4, vcc_lo, v4, v40
	v_add_co_ci_u32_e32 v5, vcc_lo, v5, v41, vcc_lo
	s_delay_alu instid0(VALU_DEP_4) | instskip(NEXT) | instid1(VALU_DEP_4)
	v_add_co_u32 v6, vcc_lo, v6, v40
	v_add_co_ci_u32_e32 v7, vcc_lo, v7, v41, vcc_lo
	s_delay_alu instid0(VALU_DEP_4)
	v_add_co_u32 v238, vcc_lo, v4, 8
	v_mov_b32_e32 v4, 0
	v_add_co_ci_u32_e32 v239, vcc_lo, 0, v5, vcc_lo
	v_add_co_u32 v240, vcc_lo, v6, 8
	v_or_b32_e32 v185, 3, v175
	v_add_nc_u32_e32 v255, 16, v175
	v_add_nc_u32_e32 v169, 17, v175
	;; [unrolled: 1-line block ×12, first 2 shown]
	v_add_co_ci_u32_e32 v241, vcc_lo, 0, v7, vcc_lo
	s_cmp_eq_u32 s15, s14
	s_cselect_b32 s12, s27, 0
	s_and_saveexec_b32 s1, s2
	s_cbranch_execz .LBB125_100
.LBB125_96:
	v_cmp_le_i32_e32 vcc_lo, s12, v170
	s_cmp_lg_u32 s12, 0
	s_cselect_b32 s5, -1, 0
	s_delay_alu instid0(SALU_CYCLE_1) | instskip(NEXT) | instid1(SALU_CYCLE_1)
	s_and_b32 s5, s5, vcc_lo
	s_and_saveexec_b32 s8, s5
	s_delay_alu instid0(SALU_CYCLE_1)
	s_xor_b32 s5, exec_lo, s8
	s_cbranch_execz .LBB125_98
; %bb.97:
	scratch_load_b32 v8, off, off           ; 4-byte Folded Reload
	v_mov_b32_e32 v5, v4
	v_mov_b32_e32 v6, v4
	;; [unrolled: 1-line block ×3, first 2 shown]
	s_waitcnt vmcnt(0)
	ds_store_b128 v8, v[4:7]
.LBB125_98:
	s_and_not1_saveexec_b32 s5, s5
	s_cbranch_execz .LBB125_100
; %bb.99:
	s_ashr_i32 s5, s4, 31
	s_delay_alu instid0(SALU_CYCLE_1) | instskip(NEXT) | instid1(SALU_CYCLE_1)
	s_lshl_b64 s[8:9], s[4:5], 4
	v_add_co_u32 v5, vcc_lo, v176, s8
	v_add_co_ci_u32_e32 v6, vcc_lo, s9, v177, vcc_lo
	global_load_b128 v[5:8], v[5:6], off
	scratch_load_b32 v9, off, off           ; 4-byte Folded Reload
	s_waitcnt vmcnt(0)
	ds_store_2addr_b64 v9, v[5:6], v[7:8] offset1:1
.LBB125_100:                            ; =>This Inner Loop Header: Depth=1
	s_or_b32 exec_lo, exec_lo, s1
	s_cmp_eq_u32 s12, 0
	v_add_co_u32 v17, vcc_lo, v202, v200
	s_cselect_b32 s5, -1, 0
	s_cmp_lg_u32 s12, 0
	v_add_co_ci_u32_e32 v18, vcc_lo, v203, v201, vcc_lo
	s_cselect_b32 s1, -1, 0
	s_waitcnt lgkmcnt(0)
	s_waitcnt_vscnt null, 0x0
	s_and_b32 vcc_lo, exec_lo, s1
	s_barrier
	buffer_gl0_inv
	s_cbranch_vccz .LBB125_108
; %bb.101:                              ;   in Loop: Header=BB125_100 Depth=1
	v_mov_b32_e32 v5, 0
	v_mov_b32_e32 v6, 0
	s_mov_b32 s8, exec_lo
	s_delay_alu instid0(VALU_DEP_1)
	v_dual_mov_b32 v10, v6 :: v_dual_mov_b32 v9, v5
	v_dual_mov_b32 v12, v6 :: v_dual_mov_b32 v11, v5
	v_cmpx_gt_i32_e64 s12, v175
	s_cbranch_execz .LBB125_103
; %bb.102:                              ;   in Loop: Header=BB125_100 Depth=1
	global_load_b128 v[9:12], v[17:18], off offset:-8
.LBB125_103:                            ;   in Loop: Header=BB125_100 Depth=1
	s_or_b32 exec_lo, exec_lo, s8
	v_or_b32_e32 v7, 1, v175
	s_delay_alu instid0(VALU_DEP_1)
	v_cmp_gt_i32_e32 vcc_lo, s12, v7
	v_dual_mov_b32 v8, v6 :: v_dual_mov_b32 v7, v5
	s_and_saveexec_b32 s8, vcc_lo
	s_cbranch_execz .LBB125_105
; %bb.104:                              ;   in Loop: Header=BB125_100 Depth=1
	v_add_co_u32 v5, vcc_lo, v210, v200
	v_add_co_ci_u32_e32 v6, vcc_lo, v211, v201, vcc_lo
	global_load_b128 v[5:8], v[5:6], off offset:-8
.LBB125_105:                            ;   in Loop: Header=BB125_100 Depth=1
	s_or_b32 exec_lo, exec_lo, s8
	v_mov_b32_e32 v13, 0
	v_mov_b32_e32 v14, 0
	v_or_b32_e32 v15, 2, v175
	s_mov_b64 s[8:9], 0
	s_delay_alu instid0(VALU_DEP_1) | instskip(NEXT) | instid1(VALU_DEP_3)
	v_cmp_gt_i32_e32 vcc_lo, s12, v15
	v_dual_mov_b32 v16, v14 :: v_dual_mov_b32 v15, v13
	s_and_saveexec_b32 s13, vcc_lo
	s_cbranch_execz .LBB125_107
; %bb.106:                              ;   in Loop: Header=BB125_100 Depth=1
	v_add_co_u32 v13, vcc_lo, v214, v200
	v_add_co_ci_u32_e32 v14, vcc_lo, v215, v201, vcc_lo
	global_load_b128 v[13:16], v[13:14], off offset:-8
.LBB125_107:                            ;   in Loop: Header=BB125_100 Depth=1
	s_or_b32 exec_lo, exec_lo, s13
	v_cmp_gt_i32_e64 s13, s12, v185
	s_branch .LBB125_110
.LBB125_108:                            ;   in Loop: Header=BB125_100 Depth=1
	s_mov_b32 s13, 0
                                        ; implicit-def: $sgpr8_sgpr9
                                        ; implicit-def: $vgpr15_vgpr16
                                        ; implicit-def: $vgpr7_vgpr8
                                        ; implicit-def: $vgpr11_vgpr12
	s_cbranch_execz .LBB125_110
; %bb.109:                              ;   in Loop: Header=BB125_100 Depth=1
	s_waitcnt vmcnt(0)
	v_add_co_u32 v5, vcc_lo, v210, v200
	v_add_co_ci_u32_e32 v6, vcc_lo, v211, v201, vcc_lo
	v_add_co_u32 v13, vcc_lo, v206, v200
	v_add_co_ci_u32_e32 v14, vcc_lo, v207, v201, vcc_lo
	global_load_b128 v[9:12], v[17:18], off offset:-8
	global_load_b128 v[5:8], v[5:6], off offset:-8
	global_load_b128 v[13:16], v[13:14], off
	s_or_b32 s13, s13, exec_lo
                                        ; implicit-def: $sgpr8_sgpr9
.LBB125_110:                            ;   in Loop: Header=BB125_100 Depth=1
	v_dual_mov_b32 v18, s9 :: v_dual_mov_b32 v17, s8
	v_dual_mov_b32 v20, s9 :: v_dual_mov_b32 v19, s8
	s_delay_alu instid0(VALU_DEP_3)
	s_and_saveexec_b32 s8, s13
	s_cbranch_execz .LBB125_112
; %bb.111:                              ;   in Loop: Header=BB125_100 Depth=1
	v_add_co_u32 v17, vcc_lo, v218, v200
	v_add_co_ci_u32_e32 v18, vcc_lo, v219, v201, vcc_lo
	global_load_b128 v[17:20], v[17:18], off offset:-8
.LBB125_112:                            ;   in Loop: Header=BB125_100 Depth=1
	s_or_b32 exec_lo, exec_lo, s8
	ds_load_b128 v[25:28], v179
	ds_load_b128 v[21:24], v186
	v_add_co_u32 v49, vcc_lo, v222, v200
	v_cndmask_b32_e64 v117, 0, 1, s1
	v_add_co_ci_u32_e32 v50, vcc_lo, v223, v201, vcc_lo
	s_and_not1_b32 vcc_lo, exec_lo, s1
	s_waitcnt vmcnt(0) lgkmcnt(1)
	v_mul_f64 v[29:30], v[11:12], v[27:28]
	v_mul_f64 v[31:32], v[9:10], v[27:28]
	v_mul_f64 v[33:34], v[7:8], v[27:28]
	v_mul_f64 v[35:36], v[5:6], v[27:28]
	v_mul_f64 v[41:42], v[15:16], v[27:28]
	v_mul_f64 v[43:44], v[13:14], v[27:28]
	v_mul_f64 v[45:46], v[19:20], v[27:28]
	v_mul_f64 v[47:48], v[17:18], v[27:28]
	v_fma_f64 v[27:28], v[9:10], v[25:26], -v[29:30]
	v_fma_f64 v[29:30], v[11:12], v[25:26], v[31:32]
	v_fma_f64 v[37:38], v[5:6], v[25:26], -v[33:34]
	v_fma_f64 v[39:40], v[7:8], v[25:26], v[35:36]
	;; [unrolled: 2-line block ×4, first 2 shown]
	ds_store_b128 v187, v[27:30]
	ds_load_b128 v[33:36], v186 offset:16
	ds_store_b128 v187, v[37:40] offset:1072
	ds_load_b128 v[29:32], v186 offset:32
	ds_store_b128 v187, v[41:44] offset:2144
	;; [unrolled: 2-line block ×3, first 2 shown]
	s_waitcnt lgkmcnt(0)
	s_barrier
	buffer_gl0_inv
	ds_load_b128 v[93:96], v182
	ds_load_b128 v[89:92], v182 offset:16
	ds_load_b128 v[85:88], v182 offset:32
	;; [unrolled: 1-line block ×3, first 2 shown]
	s_waitcnt lgkmcnt(0)
	s_barrier
	buffer_gl0_inv
	s_cbranch_vccnz .LBB125_120
; %bb.113:                              ;   in Loop: Header=BB125_100 Depth=1
	v_mov_b32_e32 v37, 0
	v_mov_b32_e32 v38, 0
	s_mov_b32 s1, exec_lo
	s_delay_alu instid0(VALU_DEP_1)
	v_dual_mov_b32 v42, v38 :: v_dual_mov_b32 v41, v37
	v_dual_mov_b32 v44, v38 :: v_dual_mov_b32 v43, v37
	v_cmpx_gt_i32_e64 s12, v255
	s_cbranch_execz .LBB125_115
; %bb.114:                              ;   in Loop: Header=BB125_100 Depth=1
	global_load_b128 v[41:44], v[49:50], off offset:-8
.LBB125_115:                            ;   in Loop: Header=BB125_100 Depth=1
	s_or_b32 exec_lo, exec_lo, s1
	v_dual_mov_b32 v40, v38 :: v_dual_mov_b32 v39, v37
	s_mov_b32 s1, exec_lo
	v_cmpx_gt_i32_e64 s12, v169
	s_cbranch_execz .LBB125_117
; %bb.116:                              ;   in Loop: Header=BB125_100 Depth=1
	v_add_co_u32 v37, vcc_lo, v226, v200
	v_add_co_ci_u32_e32 v38, vcc_lo, v227, v201, vcc_lo
	global_load_b128 v[37:40], v[37:38], off offset:-8
.LBB125_117:                            ;   in Loop: Header=BB125_100 Depth=1
	s_or_b32 exec_lo, exec_lo, s1
	v_mov_b32_e32 v45, 0
	v_mov_b32_e32 v46, 0
	s_mov_b64 s[8:9], 0
	s_mov_b32 s1, exec_lo
	s_delay_alu instid0(VALU_DEP_1)
	v_dual_mov_b32 v48, v46 :: v_dual_mov_b32 v47, v45
	v_cmpx_gt_i32_e64 s12, v173
	s_cbranch_execz .LBB125_119
; %bb.118:                              ;   in Loop: Header=BB125_100 Depth=1
	v_add_co_u32 v45, vcc_lo, v230, v200
	v_add_co_ci_u32_e32 v46, vcc_lo, v231, v201, vcc_lo
	global_load_b128 v[45:48], v[45:46], off offset:-8
.LBB125_119:                            ;   in Loop: Header=BB125_100 Depth=1
	s_or_b32 exec_lo, exec_lo, s1
	v_cmp_gt_i32_e64 s1, s12, v174
	s_branch .LBB125_122
.LBB125_120:                            ;   in Loop: Header=BB125_100 Depth=1
	s_mov_b32 s1, 0
                                        ; implicit-def: $sgpr8_sgpr9
                                        ; implicit-def: $vgpr47_vgpr48
                                        ; implicit-def: $vgpr39_vgpr40
                                        ; implicit-def: $vgpr43_vgpr44
	s_cbranch_execz .LBB125_122
; %bb.121:                              ;   in Loop: Header=BB125_100 Depth=1
	s_waitcnt vmcnt(0)
	v_add_co_u32 v37, vcc_lo, v226, v200
	v_add_co_ci_u32_e32 v38, vcc_lo, v227, v201, vcc_lo
	v_add_co_u32 v45, vcc_lo, v234, v200
	v_add_co_ci_u32_e32 v46, vcc_lo, v235, v201, vcc_lo
	global_load_b128 v[41:44], v[49:50], off offset:-8
	global_load_b128 v[37:40], v[37:38], off offset:-8
	global_load_b128 v[45:48], v[45:46], off
	s_or_b32 s1, s1, exec_lo
                                        ; implicit-def: $sgpr8_sgpr9
.LBB125_122:                            ;   in Loop: Header=BB125_100 Depth=1
	v_dual_mov_b32 v50, s9 :: v_dual_mov_b32 v49, s8
	v_dual_mov_b32 v52, s9 :: v_dual_mov_b32 v51, s8
	s_delay_alu instid0(VALU_DEP_3)
	s_and_saveexec_b32 s8, s1
	s_cbranch_execz .LBB125_124
; %bb.123:                              ;   in Loop: Header=BB125_100 Depth=1
	v_add_co_u32 v49, vcc_lo, v238, v200
	v_add_co_ci_u32_e32 v50, vcc_lo, v239, v201, vcc_lo
	global_load_b128 v[49:52], v[49:50], off offset:-8
.LBB125_124:                            ;   in Loop: Header=BB125_100 Depth=1
	s_or_b32 exec_lo, exec_lo, s8
	ds_load_b128 v[57:60], v179
	ds_load_b128 v[53:56], v186 offset:256
	v_cmp_ne_u32_e32 vcc_lo, 1, v117
	v_add_co_u32 v97, s1, v240, v200
	s_delay_alu instid0(VALU_DEP_1)
	v_add_co_ci_u32_e64 v98, s1, v241, v201, s1
	s_and_b32 vcc_lo, exec_lo, vcc_lo
	s_waitcnt vmcnt(0) lgkmcnt(1)
	v_mul_f64 v[61:62], v[43:44], v[59:60]
	v_mul_f64 v[63:64], v[41:42], v[59:60]
	;; [unrolled: 1-line block ×8, first 2 shown]
	v_fma_f64 v[59:60], v[41:42], v[57:58], -v[61:62]
	v_fma_f64 v[61:62], v[43:44], v[57:58], v[63:64]
	v_fma_f64 v[69:70], v[37:38], v[57:58], -v[65:66]
	v_fma_f64 v[71:72], v[39:40], v[57:58], v[67:68]
	;; [unrolled: 2-line block ×4, first 2 shown]
	ds_store_b128 v187, v[59:62]
	ds_load_b128 v[65:68], v186 offset:272
	ds_store_b128 v187, v[69:72] offset:1072
	ds_load_b128 v[61:64], v186 offset:288
	ds_store_b128 v187, v[73:76] offset:2144
	ds_load_b128 v[57:60], v186 offset:304
	ds_store_b128 v187, v[77:80] offset:3216
	s_waitcnt lgkmcnt(0)
	s_barrier
	buffer_gl0_inv
	ds_load_b128 v[141:144], v182
	ds_load_b128 v[137:140], v182 offset:16
	ds_load_b128 v[133:136], v182 offset:32
	;; [unrolled: 1-line block ×3, first 2 shown]
	s_waitcnt lgkmcnt(0)
	s_barrier
	buffer_gl0_inv
	s_cbranch_vccnz .LBB125_132
; %bb.125:                              ;   in Loop: Header=BB125_100 Depth=1
	v_mov_b32_e32 v69, 0
	v_mov_b32_e32 v70, 0
	s_mov_b32 s1, exec_lo
	s_delay_alu instid0(VALU_DEP_1)
	v_dual_mov_b32 v74, v70 :: v_dual_mov_b32 v73, v69
	v_dual_mov_b32 v76, v70 :: v_dual_mov_b32 v75, v69
	v_cmpx_gt_i32_e64 s12, v178
	s_cbranch_execz .LBB125_127
; %bb.126:                              ;   in Loop: Header=BB125_100 Depth=1
	global_load_b128 v[73:76], v[97:98], off offset:-8
.LBB125_127:                            ;   in Loop: Header=BB125_100 Depth=1
	s_or_b32 exec_lo, exec_lo, s1
	v_dual_mov_b32 v72, v70 :: v_dual_mov_b32 v71, v69
	s_mov_b32 s1, exec_lo
	v_cmpx_gt_i32_e64 s12, v181
	s_cbranch_execz .LBB125_129
; %bb.128:                              ;   in Loop: Header=BB125_100 Depth=1
	v_add_co_u32 v69, vcc_lo, v236, v200
	v_add_co_ci_u32_e32 v70, vcc_lo, v237, v201, vcc_lo
	global_load_b128 v[69:72], v[69:70], off
.LBB125_129:                            ;   in Loop: Header=BB125_100 Depth=1
	s_or_b32 exec_lo, exec_lo, s1
	v_mov_b32_e32 v77, 0
	v_mov_b32_e32 v78, 0
	s_mov_b64 s[8:9], 0
	s_mov_b32 s1, exec_lo
	s_delay_alu instid0(VALU_DEP_1)
	v_dual_mov_b32 v80, v78 :: v_dual_mov_b32 v79, v77
	v_cmpx_gt_i32_e64 s12, v183
	s_cbranch_execz .LBB125_131
; %bb.130:                              ;   in Loop: Header=BB125_100 Depth=1
	v_add_co_u32 v77, vcc_lo, v232, v200
	v_add_co_ci_u32_e32 v78, vcc_lo, v233, v201, vcc_lo
	global_load_b128 v[77:80], v[77:78], off
.LBB125_131:                            ;   in Loop: Header=BB125_100 Depth=1
	s_or_b32 exec_lo, exec_lo, s1
	v_cmp_gt_i32_e64 s1, s12, v184
	s_branch .LBB125_134
.LBB125_132:                            ;   in Loop: Header=BB125_100 Depth=1
	s_mov_b32 s1, 0
                                        ; implicit-def: $sgpr8_sgpr9
                                        ; implicit-def: $vgpr79_vgpr80
                                        ; implicit-def: $vgpr71_vgpr72
                                        ; implicit-def: $vgpr75_vgpr76
	s_cbranch_execz .LBB125_134
; %bb.133:                              ;   in Loop: Header=BB125_100 Depth=1
	s_waitcnt vmcnt(0)
	v_add_co_u32 v69, vcc_lo, v236, v200
	v_add_co_ci_u32_e32 v70, vcc_lo, v237, v201, vcc_lo
	v_add_co_u32 v77, vcc_lo, v228, v200
	v_add_co_ci_u32_e32 v78, vcc_lo, v229, v201, vcc_lo
	global_load_b128 v[73:76], v[97:98], off offset:-8
	global_load_b128 v[69:72], v[69:70], off
	global_load_b128 v[77:80], v[77:78], off offset:-8
	s_or_b32 s1, s1, exec_lo
                                        ; implicit-def: $sgpr8_sgpr9
.LBB125_134:                            ;   in Loop: Header=BB125_100 Depth=1
	v_dual_mov_b32 v98, s9 :: v_dual_mov_b32 v97, s8
	v_dual_mov_b32 v100, s9 :: v_dual_mov_b32 v99, s8
	s_delay_alu instid0(VALU_DEP_3)
	s_and_saveexec_b32 s8, s1
	s_cbranch_execz .LBB125_136
; %bb.135:                              ;   in Loop: Header=BB125_100 Depth=1
	v_add_co_u32 v97, vcc_lo, v224, v200
	v_add_co_ci_u32_e32 v98, vcc_lo, v225, v201, vcc_lo
	global_load_b128 v[97:100], v[97:98], off
.LBB125_136:                            ;   in Loop: Header=BB125_100 Depth=1
	s_or_b32 exec_lo, exec_lo, s8
	ds_load_b128 v[105:108], v179
	ds_load_b128 v[101:104], v186 offset:512
	v_cmp_ne_u32_e32 vcc_lo, 1, v117
	s_and_b32 vcc_lo, exec_lo, vcc_lo
	s_waitcnt vmcnt(0) lgkmcnt(1)
	v_mul_f64 v[109:110], v[75:76], v[107:108]
	v_mul_f64 v[111:112], v[73:74], v[107:108]
	;; [unrolled: 1-line block ×8, first 2 shown]
	v_fma_f64 v[107:108], v[73:74], v[105:106], -v[109:110]
	v_fma_f64 v[109:110], v[75:76], v[105:106], v[111:112]
	v_fma_f64 v[118:119], v[69:70], v[105:106], -v[113:114]
	v_fma_f64 v[120:121], v[71:72], v[105:106], v[115:116]
	;; [unrolled: 2-line block ×4, first 2 shown]
	ds_store_b128 v187, v[107:110]
	ds_load_b128 v[113:116], v186 offset:528
	ds_store_b128 v187, v[118:121] offset:1072
	ds_load_b128 v[109:112], v186 offset:544
	ds_store_b128 v187, v[122:125] offset:2144
	;; [unrolled: 2-line block ×3, first 2 shown]
	s_waitcnt lgkmcnt(0)
	s_barrier
	buffer_gl0_inv
	ds_load_b128 v[165:168], v182
	ds_load_b128 v[161:164], v182 offset:16
	ds_load_b128 v[153:156], v182 offset:32
	;; [unrolled: 1-line block ×3, first 2 shown]
	v_add_co_u32 v145, s1, v220, v200
	s_delay_alu instid0(VALU_DEP_1)
	v_add_co_ci_u32_e64 v146, s1, v221, v201, s1
	s_waitcnt lgkmcnt(0)
	s_barrier
	buffer_gl0_inv
	s_cbranch_vccnz .LBB125_144
; %bb.137:                              ;   in Loop: Header=BB125_100 Depth=1
	v_mov_b32_e32 v117, 0
	v_mov_b32_e32 v118, 0
	s_mov_b32 s1, exec_lo
	s_delay_alu instid0(VALU_DEP_1)
	v_dual_mov_b32 v122, v118 :: v_dual_mov_b32 v121, v117
	v_dual_mov_b32 v124, v118 :: v_dual_mov_b32 v123, v117
	v_cmpx_gt_i32_e64 s12, v196
	s_cbranch_execz .LBB125_139
; %bb.138:                              ;   in Loop: Header=BB125_100 Depth=1
	global_load_b128 v[121:124], v[145:146], off
.LBB125_139:                            ;   in Loop: Header=BB125_100 Depth=1
	s_or_b32 exec_lo, exec_lo, s1
	v_dual_mov_b32 v120, v118 :: v_dual_mov_b32 v119, v117
	s_mov_b32 s1, exec_lo
	v_cmpx_gt_i32_e64 s12, v197
	s_cbranch_execz .LBB125_141
; %bb.140:                              ;   in Loop: Header=BB125_100 Depth=1
	v_add_co_u32 v117, vcc_lo, v216, v200
	v_add_co_ci_u32_e32 v118, vcc_lo, v217, v201, vcc_lo
	global_load_b128 v[117:120], v[117:118], off
.LBB125_141:                            ;   in Loop: Header=BB125_100 Depth=1
	s_or_b32 exec_lo, exec_lo, s1
	v_mov_b32_e32 v125, 0
	v_mov_b32_e32 v126, 0
	s_mov_b64 s[8:9], 0
	s_mov_b32 s1, exec_lo
	s_delay_alu instid0(VALU_DEP_1)
	v_dual_mov_b32 v128, v126 :: v_dual_mov_b32 v127, v125
	v_cmpx_gt_i32_e64 s12, v198
	s_cbranch_execz .LBB125_143
; %bb.142:                              ;   in Loop: Header=BB125_100 Depth=1
	v_add_co_u32 v125, vcc_lo, v212, v200
	v_add_co_ci_u32_e32 v126, vcc_lo, v213, v201, vcc_lo
	global_load_b128 v[125:128], v[125:126], off
.LBB125_143:                            ;   in Loop: Header=BB125_100 Depth=1
	s_or_b32 exec_lo, exec_lo, s1
	v_cmp_gt_i32_e64 s1, s12, v199
	s_branch .LBB125_146
.LBB125_144:                            ;   in Loop: Header=BB125_100 Depth=1
	s_mov_b32 s1, 0
                                        ; implicit-def: $sgpr8_sgpr9
                                        ; implicit-def: $vgpr127_vgpr128
                                        ; implicit-def: $vgpr119_vgpr120
                                        ; implicit-def: $vgpr123_vgpr124
	s_cbranch_execz .LBB125_146
; %bb.145:                              ;   in Loop: Header=BB125_100 Depth=1
	s_waitcnt vmcnt(0)
	v_add_co_u32 v117, vcc_lo, v216, v200
	v_add_co_ci_u32_e32 v118, vcc_lo, v217, v201, vcc_lo
	v_add_co_u32 v125, vcc_lo, v208, v200
	v_add_co_ci_u32_e32 v126, vcc_lo, v209, v201, vcc_lo
	global_load_b128 v[121:124], v[145:146], off
	global_load_b128 v[117:120], v[117:118], off
	global_load_b128 v[125:128], v[125:126], off offset:-8
	s_or_b32 s1, s1, exec_lo
                                        ; implicit-def: $sgpr8_sgpr9
.LBB125_146:                            ;   in Loop: Header=BB125_100 Depth=1
	v_dual_mov_b32 v146, s9 :: v_dual_mov_b32 v145, s8
	v_dual_mov_b32 v148, s9 :: v_dual_mov_b32 v147, s8
	s_delay_alu instid0(VALU_DEP_3)
	s_and_saveexec_b32 s8, s1
	s_cbranch_execz .LBB125_148
; %bb.147:                              ;   in Loop: Header=BB125_100 Depth=1
	v_add_co_u32 v145, vcc_lo, v204, v200
	v_add_co_ci_u32_e32 v146, vcc_lo, v205, v201, vcc_lo
	global_load_b128 v[145:148], v[145:146], off
.LBB125_148:                            ;   in Loop: Header=BB125_100 Depth=1
	s_or_b32 exec_lo, exec_lo, s8
	v_add_f64 v[93:94], v[93:94], 0
	v_add_f64 v[95:96], v[95:96], 0
	ds_load_b128 v[243:246], v179
	ds_load_b128 v[157:160], v186 offset:768
	v_add_f64 v[165:166], v[165:166], 0
	v_add_f64 v[167:168], v[167:168], 0
	v_cmp_gt_i32_e32 vcc_lo, s12, v170
	s_or_b32 s1, s5, vcc_lo
	s_delay_alu instid0(SALU_CYCLE_1)
	s_and_b32 s5, s0, s1
	s_waitcnt vmcnt(0) lgkmcnt(1)
	v_mul_f64 v[188:189], v[123:124], v[245:246]
	v_mul_f64 v[190:191], v[121:122], v[245:246]
	;; [unrolled: 1-line block ×4, first 2 shown]
	v_add_f64 v[89:90], v[93:94], v[89:90]
	v_add_f64 v[91:92], v[95:96], v[91:92]
	;; [unrolled: 1-line block ×4, first 2 shown]
	v_fma_f64 v[247:248], v[121:122], v[243:244], -v[188:189]
	v_fma_f64 v[249:250], v[123:124], v[243:244], v[190:191]
	v_mul_f64 v[188:189], v[119:120], v[245:246]
	v_mul_f64 v[190:191], v[117:118], v[245:246]
	v_fma_f64 v[192:193], v[145:146], v[243:244], -v[192:193]
	v_fma_f64 v[194:195], v[147:148], v[243:244], v[194:195]
	v_add_f64 v[85:86], v[89:90], v[85:86]
	v_add_f64 v[87:88], v[91:92], v[87:88]
	;; [unrolled: 1-line block ×4, first 2 shown]
	ds_store_b128 v187, v[247:250]
	v_fma_f64 v[251:252], v[117:118], v[243:244], -v[188:189]
	v_fma_f64 v[253:254], v[119:120], v[243:244], v[190:191]
	v_mul_f64 v[188:189], v[127:128], v[245:246]
	v_mul_f64 v[190:191], v[125:126], v[245:246]
	ds_load_b128 v[89:92], v186 offset:784
	v_add_f64 v[93:94], v[85:86], v[81:82]
	v_add_f64 v[95:96], v[87:88], v[83:84]
	;; [unrolled: 1-line block ×6, first 2 shown]
	ds_store_b128 v187, v[251:254] offset:1072
	v_fma_f64 v[188:189], v[125:126], v[243:244], -v[188:189]
	v_fma_f64 v[190:191], v[127:128], v[243:244], v[190:191]
	ds_load_b128 v[85:88], v186 offset:800
	v_add_f64 v[81:82], v[81:82], v[137:138]
	v_add_f64 v[83:84], v[83:84], v[139:140]
	ds_store_b128 v187, v[188:191] offset:2144
	v_add_f64 v[81:82], v[81:82], v[133:134]
	v_add_f64 v[83:84], v[83:84], v[135:136]
	s_delay_alu instid0(VALU_DEP_2) | instskip(NEXT) | instid1(VALU_DEP_2)
	v_add_f64 v[129:130], v[81:82], v[129:130]
	v_add_f64 v[131:132], v[83:84], v[131:132]
	ds_load_b128 v[81:84], v186 offset:816
	ds_store_b128 v187, v[192:195] offset:3216
	s_waitcnt lgkmcnt(0)
	s_barrier
	buffer_gl0_inv
	ds_load_b128 v[133:136], v182
	ds_load_b128 v[137:140], v182 offset:16
	s_waitcnt lgkmcnt(1)
	v_add_f64 v[133:134], v[133:134], 0
	v_add_f64 v[135:136], v[135:136], 0
	s_waitcnt lgkmcnt(0)
	s_delay_alu instid0(VALU_DEP_2) | instskip(NEXT) | instid1(VALU_DEP_2)
	v_add_f64 v[141:142], v[133:134], v[137:138]
	v_add_f64 v[143:144], v[135:136], v[139:140]
	ds_load_b128 v[133:136], v182 offset:32
	ds_load_b128 v[137:140], v182 offset:48
	s_waitcnt lgkmcnt(0)
	s_barrier
	buffer_gl0_inv
	ds_store_b128 v242, v[93:96]
	ds_store_b128 v242, v[129:132] offset:256
	ds_store_b128 v242, v[149:152] offset:512
	v_add_f64 v[133:134], v[141:142], v[133:134]
	v_add_f64 v[135:136], v[143:144], v[135:136]
	s_delay_alu instid0(VALU_DEP_2) | instskip(NEXT) | instid1(VALU_DEP_2)
	v_add_f64 v[133:134], v[133:134], v[137:138]
	v_add_f64 v[135:136], v[135:136], v[139:140]
	ds_store_b128 v242, v[133:136] offset:768
	s_waitcnt lgkmcnt(0)
	s_barrier
	buffer_gl0_inv
	s_and_saveexec_b32 s1, s5
	s_cbranch_execz .LBB125_150
; %bb.149:                              ;   in Loop: Header=BB125_100 Depth=1
	ds_load_b128 v[93:96], v180
	ds_load_b128 v[129:132], v180 offset:16
	s_waitcnt lgkmcnt(0)
	v_add_f64 v[133:134], v[129:130], v[93:94]
	v_add_f64 v[135:136], v[131:132], v[95:96]
	ds_load_b128 v[93:96], v180 offset:32
	ds_load_b128 v[129:132], v180 offset:48
	s_waitcnt lgkmcnt(1)
	v_add_f64 v[93:94], v[133:134], v[93:94]
	v_add_f64 v[95:96], v[135:136], v[95:96]
	s_waitcnt lgkmcnt(0)
	s_delay_alu instid0(VALU_DEP_2) | instskip(NEXT) | instid1(VALU_DEP_2)
	v_add_f64 v[133:134], v[93:94], v[129:130]
	v_add_f64 v[135:136], v[95:96], v[131:132]
	ds_load_b128 v[93:96], v180 offset:64
	ds_load_b128 v[129:132], v180 offset:80
	s_waitcnt lgkmcnt(1)
	v_add_f64 v[93:94], v[133:134], v[93:94]
	v_add_f64 v[95:96], v[135:136], v[95:96]
	s_waitcnt lgkmcnt(0)
	s_delay_alu instid0(VALU_DEP_2) | instskip(NEXT) | instid1(VALU_DEP_2)
	;; [unrolled: 9-line block ×5, first 2 shown]
	v_add_f64 v[133:134], v[93:94], v[129:130]
	v_add_f64 v[135:136], v[95:96], v[131:132]
	ds_load_b128 v[93:96], v180 offset:192
	ds_load_b128 v[129:132], v180 offset:208
	s_waitcnt lgkmcnt(1)
	v_add_f64 v[93:94], v[133:134], v[93:94]
	v_add_f64 v[95:96], v[135:136], v[95:96]
	s_waitcnt lgkmcnt(0)
	s_delay_alu instid0(VALU_DEP_2)
	v_add_f64 v[133:134], v[93:94], v[129:130]
	scratch_load_b32 v129, off, off offset:4 ; 4-byte Folded Reload
	v_add_f64 v[135:136], v[95:96], v[131:132]
	ds_load_b128 v[93:96], v180 offset:224
	s_waitcnt vmcnt(0)
	ds_load_b128 v[129:132], v129
	s_waitcnt lgkmcnt(1)
	v_add_f64 v[93:94], v[133:134], v[93:94]
	v_add_f64 v[95:96], v[135:136], v[95:96]
	s_waitcnt lgkmcnt(0)
	s_delay_alu instid0(VALU_DEP_2) | instskip(NEXT) | instid1(VALU_DEP_2)
	v_add_f64 v[93:94], v[93:94], v[129:130]
	v_add_f64 v[95:96], v[95:96], v[131:132]
	v_mov_b32_e32 v131, v172
	v_ashrrev_i32_e32 v172, 31, v171
	s_delay_alu instid0(VALU_DEP_1) | instskip(NEXT) | instid1(VALU_DEP_3)
	v_lshlrev_b64 v[129:130], 4, v[171:172]
	v_mov_b32_e32 v172, v131
	s_delay_alu instid0(VALU_DEP_2) | instskip(NEXT) | instid1(VALU_DEP_3)
	v_add_co_u32 v129, vcc_lo, s3, v129
	v_add_co_ci_u32_e32 v130, vcc_lo, s11, v130, vcc_lo
	global_store_b128 v[129:130], v[93:96], off
.LBB125_150:                            ;   in Loop: Header=BB125_100 Depth=1
	s_or_b32 exec_lo, exec_lo, s1
	v_mul_f64 v[93:94], v[11:12], v[23:24]
	v_mul_f64 v[23:24], v[9:10], v[23:24]
	;; [unrolled: 1-line block ×4, first 2 shown]
	v_add_co_u32 v202, vcc_lo, v202, s6
	v_add_co_ci_u32_e32 v203, vcc_lo, s7, v203, vcc_lo
	v_add_co_u32 v204, vcc_lo, v204, s6
	v_add_co_ci_u32_e32 v205, vcc_lo, s7, v205, vcc_lo
	;; [unrolled: 2-line block ×8, first 2 shown]
	v_add_co_u32 v218, vcc_lo, v218, s6
	v_fma_f64 v[9:10], v[9:10], v[21:22], -v[93:94]
	v_fma_f64 v[11:12], v[11:12], v[21:22], v[23:24]
	v_mul_f64 v[21:22], v[15:16], v[31:32]
	v_mul_f64 v[23:24], v[13:14], v[31:32]
	v_fma_f64 v[5:6], v[5:6], v[33:34], -v[95:96]
	v_fma_f64 v[7:8], v[7:8], v[33:34], v[35:36]
	v_add_co_ci_u32_e32 v219, vcc_lo, s7, v219, vcc_lo
	v_add_co_u32 v220, vcc_lo, v220, s6
	v_add_co_ci_u32_e32 v221, vcc_lo, s7, v221, vcc_lo
	v_add_co_u32 v222, vcc_lo, v222, s6
	;; [unrolled: 2-line block ×8, first 2 shown]
	v_add_f64 v[0:1], v[0:1], v[9:10]
	v_add_f64 v[2:3], v[2:3], v[11:12]
	v_mul_f64 v[9:10], v[19:20], v[27:28]
	v_mul_f64 v[11:12], v[17:18], v[27:28]
	v_fma_f64 v[13:14], v[13:14], v[29:30], -v[21:22]
	v_fma_f64 v[15:16], v[15:16], v[29:30], v[23:24]
	v_add_co_ci_u32_e32 v235, vcc_lo, s7, v235, vcc_lo
	v_add_co_u32 v236, vcc_lo, v236, s6
	v_add_co_ci_u32_e32 v237, vcc_lo, s7, v237, vcc_lo
	v_add_co_u32 v238, vcc_lo, v238, s6
	;; [unrolled: 2-line block ×3, first 2 shown]
	v_add_nc_u32_e32 v171, 64, v171
	v_add_co_ci_u32_e32 v241, vcc_lo, s7, v241, vcc_lo
	s_add_i32 s5, s14, 2
	s_add_i32 s1, s14, 1
	;; [unrolled: 1-line block ×3, first 2 shown]
	s_cmp_ge_u32 s5, s26
	s_waitcnt_vscnt null, 0x0
	s_barrier
	buffer_gl0_inv
	v_add_f64 v[0:1], v[0:1], v[5:6]
	v_add_f64 v[2:3], v[2:3], v[7:8]
	v_mul_f64 v[5:6], v[43:44], v[55:56]
	v_mul_f64 v[7:8], v[41:42], v[55:56]
	v_fma_f64 v[9:10], v[17:18], v[25:26], -v[9:10]
	v_fma_f64 v[11:12], v[19:20], v[25:26], v[11:12]
	v_add_f64 v[0:1], v[0:1], v[13:14]
	v_add_f64 v[2:3], v[2:3], v[15:16]
	v_mul_f64 v[13:14], v[39:40], v[67:68]
	v_mul_f64 v[15:16], v[37:38], v[67:68]
	v_fma_f64 v[5:6], v[41:42], v[53:54], -v[5:6]
	v_fma_f64 v[7:8], v[43:44], v[53:54], v[7:8]
	;; [unrolled: 6-line block ×12, first 2 shown]
	v_add_f64 v[0:1], v[0:1], v[5:6]
	v_add_f64 v[2:3], v[2:3], v[7:8]
	v_fma_f64 v[5:6], v[145:146], v[81:82], -v[9:10]
	v_fma_f64 v[7:8], v[147:148], v[81:82], v[11:12]
	s_delay_alu instid0(VALU_DEP_4) | instskip(NEXT) | instid1(VALU_DEP_4)
	v_add_f64 v[0:1], v[0:1], v[13:14]
	v_add_f64 v[2:3], v[2:3], v[15:16]
	s_delay_alu instid0(VALU_DEP_2) | instskip(NEXT) | instid1(VALU_DEP_2)
	v_add_f64 v[0:1], v[0:1], v[5:6]
	v_add_f64 v[2:3], v[2:3], v[7:8]
	s_cbranch_scc1 .LBB125_152
; %bb.151:                              ;   in Loop: Header=BB125_100 Depth=1
	s_mov_b32 s14, s1
	s_delay_alu instid0(SALU_CYCLE_1)
	s_cmp_eq_u32 s15, s14
	s_cselect_b32 s12, s27, 0
	s_and_saveexec_b32 s1, s2
	s_cbranch_execnz .LBB125_96
	s_branch .LBB125_100
.LBB125_152:
	scratch_load_b32 v4, off, off offset:8  ; 4-byte Folded Reload
	v_cmp_gt_i32_e32 vcc_lo, s10, v170
	s_or_b32 s0, s28, vcc_lo
	s_delay_alu instid0(SALU_CYCLE_1)
	s_and_b32 s0, s2, s0
	s_waitcnt vmcnt(0)
	v_mad_u32_u24 v4, 0x430, v4, v172
	ds_store_b128 v4, v[0:3]
	s_waitcnt lgkmcnt(0)
	s_barrier
	buffer_gl0_inv
	s_and_saveexec_b32 s1, s0
	s_cbranch_execz .LBB125_154
; %bb.153:
	ds_load_b128 v[0:3], v172 offset:1072
	ds_load_b128 v[4:7], v172
	s_waitcnt lgkmcnt(0)
	v_add_f64 v[8:9], v[0:1], v[4:5]
	v_add_f64 v[10:11], v[2:3], v[6:7]
	ds_load_b128 v[0:3], v172 offset:2144
	ds_load_b128 v[4:7], v172 offset:3216
	s_waitcnt lgkmcnt(1)
	v_add_f64 v[0:1], v[8:9], v[0:1]
	v_add_f64 v[2:3], v[10:11], v[2:3]
	s_waitcnt lgkmcnt(0)
	s_delay_alu instid0(VALU_DEP_2) | instskip(SKIP_4) | instid1(VALU_DEP_1)
	v_add_f64 v[0:1], v[0:1], v[4:5]
	scratch_load_b64 v[4:5], off, off offset:12 ; 8-byte Folded Reload
	v_add_f64 v[2:3], v[2:3], v[6:7]
	s_waitcnt vmcnt(0)
	v_ashrrev_i32_e32 v5, 31, v4
	v_lshlrev_b64 v[4:5], 4, v[4:5]
	s_delay_alu instid0(VALU_DEP_1) | instskip(NEXT) | instid1(VALU_DEP_2)
	v_add_co_u32 v4, vcc_lo, s3, v4
	v_add_co_ci_u32_e32 v5, vcc_lo, s11, v5, vcc_lo
	global_store_b128 v[4:5], v[0:3], off
.LBB125_154:
	s_nop 0
	s_sendmsg sendmsg(MSG_DEALLOC_VGPRS)
	s_endpgm
	.section	.rodata,"a",@progbits
	.p2align	6, 0x0
	.amdhsa_kernel _ZL26rocblas_hemvn_kernel_upperILb0ELi64ELi4ELi33ELi32ELi16Ei19rocblas_complex_numIdEPKS1_PS1_EviT6_lT7_lT5_lS6_lS7_lS5_lT8_i
		.amdhsa_group_segment_fixed_size 19200
		.amdhsa_private_segment_fixed_size 24
		.amdhsa_kernarg_size 392
		.amdhsa_user_sgpr_count 14
		.amdhsa_user_sgpr_dispatch_ptr 0
		.amdhsa_user_sgpr_queue_ptr 0
		.amdhsa_user_sgpr_kernarg_segment_ptr 1
		.amdhsa_user_sgpr_dispatch_id 0
		.amdhsa_user_sgpr_private_segment_size 0
		.amdhsa_wavefront_size32 1
		.amdhsa_uses_dynamic_stack 0
		.amdhsa_enable_private_segment 1
		.amdhsa_system_sgpr_workgroup_id_x 1
		.amdhsa_system_sgpr_workgroup_id_y 0
		.amdhsa_system_sgpr_workgroup_id_z 1
		.amdhsa_system_sgpr_workgroup_info 0
		.amdhsa_system_vgpr_workitem_id 1
		.amdhsa_next_free_vgpr 256
		.amdhsa_next_free_sgpr 36
		.amdhsa_reserve_vcc 1
		.amdhsa_float_round_mode_32 0
		.amdhsa_float_round_mode_16_64 0
		.amdhsa_float_denorm_mode_32 3
		.amdhsa_float_denorm_mode_16_64 3
		.amdhsa_dx10_clamp 1
		.amdhsa_ieee_mode 1
		.amdhsa_fp16_overflow 0
		.amdhsa_workgroup_processor_mode 1
		.amdhsa_memory_ordered 1
		.amdhsa_forward_progress 0
		.amdhsa_shared_vgpr_count 0
		.amdhsa_exception_fp_ieee_invalid_op 0
		.amdhsa_exception_fp_denorm_src 0
		.amdhsa_exception_fp_ieee_div_zero 0
		.amdhsa_exception_fp_ieee_overflow 0
		.amdhsa_exception_fp_ieee_underflow 0
		.amdhsa_exception_fp_ieee_inexact 0
		.amdhsa_exception_int_div_zero 0
	.end_amdhsa_kernel
	.section	.text._ZL26rocblas_hemvn_kernel_upperILb0ELi64ELi4ELi33ELi32ELi16Ei19rocblas_complex_numIdEPKS1_PS1_EviT6_lT7_lT5_lS6_lS7_lS5_lT8_i,"axG",@progbits,_ZL26rocblas_hemvn_kernel_upperILb0ELi64ELi4ELi33ELi32ELi16Ei19rocblas_complex_numIdEPKS1_PS1_EviT6_lT7_lT5_lS6_lS7_lS5_lT8_i,comdat
.Lfunc_end125:
	.size	_ZL26rocblas_hemvn_kernel_upperILb0ELi64ELi4ELi33ELi32ELi16Ei19rocblas_complex_numIdEPKS1_PS1_EviT6_lT7_lT5_lS6_lS7_lS5_lT8_i, .Lfunc_end125-_ZL26rocblas_hemvn_kernel_upperILb0ELi64ELi4ELi33ELi32ELi16Ei19rocblas_complex_numIdEPKS1_PS1_EviT6_lT7_lT5_lS6_lS7_lS5_lT8_i
                                        ; -- End function
	.section	.AMDGPU.csdata,"",@progbits
; Kernel info:
; codeLenInByte = 12364
; NumSgprs: 38
; NumVgprs: 256
; ScratchSize: 24
; MemoryBound: 1
; FloatMode: 240
; IeeeMode: 1
; LDSByteSize: 19200 bytes/workgroup (compile time only)
; SGPRBlocks: 4
; VGPRBlocks: 31
; NumSGPRsForWavesPerEU: 38
; NumVGPRsForWavesPerEU: 256
; Occupancy: 5
; WaveLimiterHint : 1
; COMPUTE_PGM_RSRC2:SCRATCH_EN: 1
; COMPUTE_PGM_RSRC2:USER_SGPR: 14
; COMPUTE_PGM_RSRC2:TRAP_HANDLER: 0
; COMPUTE_PGM_RSRC2:TGID_X_EN: 1
; COMPUTE_PGM_RSRC2:TGID_Y_EN: 0
; COMPUTE_PGM_RSRC2:TGID_Z_EN: 1
; COMPUTE_PGM_RSRC2:TIDIG_COMP_CNT: 1
	.section	.text._ZL26rocblas_hemvn_kernel_lowerILb0ELi64ELi4ELi33ELi32ELi16ElPK19rocblas_complex_numIdES3_PS1_EviT6_lT7_lT5_lS6_lS7_lS5_lT8_i,"axG",@progbits,_ZL26rocblas_hemvn_kernel_lowerILb0ELi64ELi4ELi33ELi32ELi16ElPK19rocblas_complex_numIdES3_PS1_EviT6_lT7_lT5_lS6_lS7_lS5_lT8_i,comdat
	.globl	_ZL26rocblas_hemvn_kernel_lowerILb0ELi64ELi4ELi33ELi32ELi16ElPK19rocblas_complex_numIdES3_PS1_EviT6_lT7_lT5_lS6_lS7_lS5_lT8_i ; -- Begin function _ZL26rocblas_hemvn_kernel_lowerILb0ELi64ELi4ELi33ELi32ELi16ElPK19rocblas_complex_numIdES3_PS1_EviT6_lT7_lT5_lS6_lS7_lS5_lT8_i
	.p2align	8
	.type	_ZL26rocblas_hemvn_kernel_lowerILb0ELi64ELi4ELi33ELi32ELi16ElPK19rocblas_complex_numIdES3_PS1_EviT6_lT7_lT5_lS6_lS7_lS5_lT8_i,@function
_ZL26rocblas_hemvn_kernel_lowerILb0ELi64ELi4ELi33ELi32ELi16ElPK19rocblas_complex_numIdES3_PS1_EviT6_lT7_lT5_lS6_lS7_lS5_lT8_i: ; @_ZL26rocblas_hemvn_kernel_lowerILb0ELi64ELi4ELi33ELi32ELi16ElPK19rocblas_complex_numIdES3_PS1_EviT6_lT7_lT5_lS6_lS7_lS5_lT8_i
; %bb.0:
	s_load_b64 s[4:5], s[0:1], 0x84
	s_add_u32 s2, s0, 0x78
	s_addc_u32 s3, s1, 0
	s_waitcnt lgkmcnt(0)
	s_lshr_b32 s6, s4, 16
	s_and_b32 s4, s4, 0xffff
	s_and_b32 s5, s5, 0xffff
	s_mul_i32 s4, s6, s4
	s_delay_alu instid0(SALU_CYCLE_1) | instskip(NEXT) | instid1(SALU_CYCLE_1)
	s_mul_i32 s4, s4, s5
	s_cmpk_lg_i32 s4, 0x100
	s_cbranch_scc1 .LBB126_103
; %bb.1:
	s_load_b512 s[16:31], s[0:1], 0x8
	s_waitcnt lgkmcnt(0)
	s_mul_i32 s5, s15, s19
	s_mul_hi_u32 s6, s15, s18
	s_mul_i32 s4, s15, s18
	s_add_i32 s5, s6, s5
	s_delay_alu instid0(SALU_CYCLE_1) | instskip(NEXT) | instid1(SALU_CYCLE_1)
	s_lshl_b64 s[4:5], s[4:5], 4
	s_add_u32 s4, s16, s4
	s_addc_u32 s5, s17, s5
	s_load_b128 s[4:7], s[4:5], 0x0
	s_clause 0x1
	s_load_b64 s[8:9], s[0:1], 0x68
	s_load_b256 s[36:43], s[0:1], 0x48
	s_waitcnt lgkmcnt(0)
	v_cmp_neq_f64_e64 s4, s[4:5], 0
	v_cmp_neq_f64_e64 s5, s[6:7], 0
	s_delay_alu instid0(VALU_DEP_1)
	s_or_b32 s4, s4, s5
	s_mov_b32 s5, -1
	s_and_b32 vcc_lo, exec_lo, s4
	s_cbranch_vccnz .LBB126_3
; %bb.2:
	s_mul_i32 s5, s15, s43
	s_mul_hi_u32 s7, s15, s42
	s_mul_i32 s6, s15, s42
	s_add_i32 s7, s7, s5
	s_delay_alu instid0(SALU_CYCLE_1) | instskip(NEXT) | instid1(SALU_CYCLE_1)
	s_lshl_b64 s[6:7], s[6:7], 4
	s_add_u32 s6, s40, s6
	s_addc_u32 s7, s41, s7
	s_load_b128 s[16:19], s[6:7], 0x0
	s_waitcnt lgkmcnt(0)
	v_cmp_neq_f64_e64 s5, s[16:17], 1.0
	v_cmp_neq_f64_e64 s6, s[18:19], 0
	s_delay_alu instid0(VALU_DEP_1)
	s_or_b32 s5, s5, s6
.LBB126_3:
	s_delay_alu instid0(SALU_CYCLE_1)
	s_and_not1_b32 vcc_lo, exec_lo, s5
	s_cbranch_vccnz .LBB126_103
; %bb.4:
	s_and_not1_b32 vcc_lo, exec_lo, s4
	s_cbranch_vccnz .LBB126_103
; %bb.5:
	s_mul_i32 s5, s15, s39
	s_mul_hi_u32 s6, s15, s38
	s_mul_i32 s4, s15, s38
	s_add_i32 s5, s6, s5
	s_load_b32 s33, s[0:1], 0x0
	s_lshl_b64 s[4:5], s[4:5], 4
	v_and_b32_e32 v42, 0x3ff, v0
	s_add_u32 s4, s28, s4
	s_addc_u32 s5, s29, s5
	s_lshl_b64 s[0:1], s[30:31], 4
	s_load_b32 s28, s[2:3], 0x0
	s_add_u32 s4, s4, s0
	s_addc_u32 s1, s5, s1
	s_lshl_b32 s10, s14, 6
	v_bfe_u32 v138, v0, 10, 10
	v_add_nc_u32_e32 v132, s10, v42
	s_delay_alu instid0(VALU_DEP_1)
	v_ashrrev_i32_e32 v133, 31, v132
	v_mul_lo_u32 v3, v132, s37
	v_mad_u64_u32 v[1:2], null, v132, s36, 0
	s_waitcnt lgkmcnt(0)
	s_ashr_i32 s29, s33, 31
	v_mul_lo_u32 v4, v133, s36
	s_lshr_b32 s0, s29, 26
	s_delay_alu instid0(SALU_CYCLE_1) | instskip(SKIP_4) | instid1(VALU_DEP_2)
	s_add_i32 s2, s33, s0
	v_cmp_ne_u32_e64 s0, 0, v138
	s_and_not1_b32 s2, s2, 63
	s_add_i32 s3, s28, -1
	s_sub_i32 s5, s33, s2
	v_add3_u32 v2, v2, v3, v4
	s_cmp_eq_u32 s14, s3
	s_mov_b32 s2, -1
	s_cselect_b32 s12, s5, 0
	s_delay_alu instid0(VALU_DEP_1) | instskip(NEXT) | instid1(VALU_DEP_1)
	v_lshlrev_b64 v[0:1], 4, v[1:2]
	v_add_co_u32 v36, vcc_lo, s4, v0
	s_delay_alu instid0(VALU_DEP_2) | instskip(SKIP_1) | instid1(VALU_DEP_1)
	v_add_co_ci_u32_e32 v37, vcc_lo, s1, v1, vcc_lo
	v_cmp_eq_u32_e64 s1, 0, v138
	s_and_saveexec_b32 s3, s1
	s_cbranch_execz .LBB126_10
; %bb.6:
	v_cmp_le_i32_e32 vcc_lo, s12, v42
	s_cmp_lg_u32 s12, 0
	v_lshl_add_u32 v0, v42, 4, 0x4700
	s_cselect_b32 s4, -1, 0
	s_delay_alu instid0(SALU_CYCLE_1) | instskip(NEXT) | instid1(SALU_CYCLE_1)
	s_and_b32 s4, s4, vcc_lo
	s_and_saveexec_b32 s5, s4
	s_delay_alu instid0(SALU_CYCLE_1)
	s_xor_b32 s4, exec_lo, s5
	s_cbranch_execz .LBB126_8
; %bb.7:
	v_mov_b32_e32 v1, 0
	s_delay_alu instid0(VALU_DEP_1)
	v_mov_b32_e32 v2, v1
	v_mov_b32_e32 v3, v1
	;; [unrolled: 1-line block ×3, first 2 shown]
	ds_store_b128 v0, v[1:4]
                                        ; implicit-def: $vgpr0
.LBB126_8:
	s_and_not1_saveexec_b32 s4, s4
	s_cbranch_execz .LBB126_10
; %bb.9:
	global_load_b128 v[1:4], v[36:37], off
	s_waitcnt vmcnt(0)
	ds_store_2addr_b64 v0, v[1:2], v[3:4] offset1:1
.LBB126_10:
	s_or_b32 exec_lo, exec_lo, s3
	v_lshl_add_u32 v43, v138, 6, v42
	v_dual_mov_b32 v5, 0 :: v_dual_and_b32 v4, 31, v42
	s_mul_i32 s3, s15, s27
	s_mul_hi_u32 s5, s15, s26
	s_delay_alu instid0(VALU_DEP_2)
	v_lshrrev_b32_e32 v9, 5, v43
	s_mul_i32 s4, s15, s26
	s_add_i32 s5, s5, s3
	s_mul_i32 s7, s10, s25
	s_lshl_b64 s[4:5], s[4:5], 4
	v_mad_u64_u32 v[0:1], null, v9, s24, v[4:5]
	s_add_u32 s3, s20, s4
	s_addc_u32 s6, s21, s5
	s_lshl_b64 s[4:5], s[22:23], 4
	s_mul_hi_u32 s13, s10, s24
	s_add_u32 s3, s3, s4
	s_addc_u32 s6, s6, s5
	s_delay_alu instid0(VALU_DEP_1) | instskip(SKIP_1) | instid1(SALU_CYCLE_1)
	v_mad_u64_u32 v[2:3], null, v9, s25, v[1:2]
	s_ashr_i32 s11, s10, 31
	s_lshl_b64 s[4:5], s[10:11], 4
	s_mul_i32 s16, s11, s24
	s_add_u32 s3, s3, s4
	s_addc_u32 s6, s6, s5
	s_delay_alu instid0(VALU_DEP_1) | instskip(SKIP_3) | instid1(SALU_CYCLE_1)
	v_mov_b32_e32 v1, v2
	s_add_i32 s5, s13, s7
	s_mul_i32 s4, s10, s24
	s_add_i32 s5, s5, s16
	s_lshl_b64 s[16:17], s[4:5], 4
	v_lshlrev_b64 v[38:39], 4, v[0:1]
	s_add_u32 s3, s16, s3
	s_addc_u32 s4, s17, s6
	s_cmp_lg_u32 s12, 0
	s_cselect_b32 s20, -1, 0
	s_delay_alu instid0(VALU_DEP_1)
	v_add_co_u32 v5, vcc_lo, s3, v38
	v_add_co_ci_u32_e32 v6, vcc_lo, s4, v39, vcc_lo
	s_cmp_eq_u32 s12, 0
	s_cselect_b32 s7, -1, 0
	s_and_b32 vcc_lo, exec_lo, s20
	s_cbranch_vccnz .LBB126_12
; %bb.11:
	v_mad_u64_u32 v[7:8], null, 0x180, s24, v[5:6]
	s_lshl_b64 s[2:3], s[24:25], 7
	s_delay_alu instid0(SALU_CYCLE_1) | instskip(SKIP_1) | instid1(VALU_DEP_3)
	v_add_co_u32 v10, vcc_lo, v5, s2
	v_add_co_ci_u32_e32 v11, vcc_lo, s3, v6, vcc_lo
	v_mov_b32_e32 v0, v8
	s_delay_alu instid0(VALU_DEP_3) | instskip(NEXT) | instid1(VALU_DEP_3)
	v_add_co_u32 v14, vcc_lo, v10, s2
	v_add_co_ci_u32_e32 v15, vcc_lo, s3, v11, vcc_lo
	s_delay_alu instid0(VALU_DEP_3) | instskip(SKIP_1) | instid1(VALU_DEP_1)
	v_mad_u64_u32 v[1:2], null, 0x180, s25, v[0:1]
	s_mov_b32 s2, 0
	v_mov_b32_e32 v8, v1
	s_clause 0x1
	global_load_b128 v[0:3], v[5:6], off
	global_load_b128 v[10:13], v[10:11], off
	;; [unrolled: 1-line block ×4, first 2 shown]
	v_mul_u32_u24_e32 v7, 33, v9
	s_delay_alu instid0(VALU_DEP_1) | instskip(NEXT) | instid1(VALU_DEP_1)
	v_add_lshl_u32 v7, v7, v4, 4
	v_add_nc_u32_e32 v23, 0x3180, v7
	v_add_nc_u32_e32 v22, 0x2100, v7
	;; [unrolled: 1-line block ×3, first 2 shown]
	s_waitcnt vmcnt(3)
	ds_store_2addr_b64 v7, v[0:1], v[2:3] offset1:1
	s_waitcnt vmcnt(2)
	ds_store_2addr_b64 v8, v[10:11], v[12:13] offset1:1
	;; [unrolled: 2-line block ×4, first 2 shown]
.LBB126_12:
	s_and_not1_b32 vcc_lo, exec_lo, s2
	s_cbranch_vccnz .LBB126_30
; %bb.13:
	v_lshlrev_b32_e32 v2, 4, v4
	s_ashr_i32 s13, s12, 31
	v_mul_u32_u24_e32 v3, 33, v9
	s_lshl_b64 s[4:5], s[12:13], 4
	v_cmp_le_i32_e64 s2, s12, v9
	v_sub_co_u32 v0, vcc_lo, v5, v2
	v_subrev_co_ci_u32_e32 v1, vcc_lo, 0, v6, vcc_lo
	v_add_lshl_u32 v3, v3, v4, 4
	s_delay_alu instid0(VALU_DEP_3) | instskip(NEXT) | instid1(VALU_DEP_3)
	v_add_co_u32 v0, vcc_lo, v0, s4
	v_add_co_ci_u32_e32 v1, vcc_lo, s5, v1, vcc_lo
	s_delay_alu instid0(VALU_DEP_2) | instskip(NEXT) | instid1(VALU_DEP_2)
	v_add_co_u32 v0, vcc_lo, v0, -16
	v_add_co_ci_u32_e32 v1, vcc_lo, -1, v1, vcc_lo
	v_cmp_gt_i32_e32 vcc_lo, s12, v4
	s_delay_alu instid0(VALU_DEP_2) | instskip(SKIP_1) | instid1(SALU_CYCLE_1)
	v_dual_cndmask_b32 v1, v1, v6 :: v_dual_cndmask_b32 v0, v0, v5
	s_and_saveexec_b32 s3, s2
	s_xor_b32 s2, exec_lo, s3
	s_cbranch_execz .LBB126_15
; %bb.14:
	v_mov_b32_e32 v10, 0
	s_delay_alu instid0(VALU_DEP_1)
	v_mov_b32_e32 v11, v10
	v_mov_b32_e32 v12, v10
	;; [unrolled: 1-line block ×3, first 2 shown]
	ds_store_b128 v3, v[10:13]
.LBB126_15:
	s_and_not1_saveexec_b32 s2, s2
	s_cbranch_execz .LBB126_17
; %bb.16:
	global_load_b128 v[10:13], v[0:1], off
	s_waitcnt vmcnt(0)
	ds_store_2addr_b64 v3, v[10:11], v[12:13] offset1:1
.LBB126_17:
	s_or_b32 exec_lo, exec_lo, s2
	v_add_nc_u32_e32 v7, 8, v9
	s_delay_alu instid0(VALU_DEP_1) | instskip(NEXT) | instid1(VALU_DEP_1)
	v_cmp_le_i32_e64 s2, s12, v7
	s_and_saveexec_b32 s3, s2
	s_delay_alu instid0(SALU_CYCLE_1)
	s_xor_b32 s2, exec_lo, s3
	s_cbranch_execz .LBB126_19
; %bb.18:
	v_mul_u32_u24_e32 v7, 33, v7
	v_mov_b32_e32 v10, 0
	s_delay_alu instid0(VALU_DEP_2) | instskip(NEXT) | instid1(VALU_DEP_2)
	v_add_lshl_u32 v7, v7, v4, 4
	v_mov_b32_e32 v11, v10
	v_mov_b32_e32 v12, v10
	;; [unrolled: 1-line block ×3, first 2 shown]
	ds_store_b128 v7, v[10:13]
.LBB126_19:
	s_and_not1_saveexec_b32 s3, s2
	s_cbranch_execz .LBB126_21
; %bb.20:
	s_lshl_b64 s[18:19], s[24:25], 7
	s_delay_alu instid0(SALU_CYCLE_1) | instskip(NEXT) | instid1(VALU_DEP_1)
	v_add_co_u32 v7, s2, v0, s18
	v_add_co_ci_u32_e64 v8, s2, s19, v1, s2
	global_load_b128 v[10:13], v[7:8], off
	v_add_nc_u32_e32 v7, 0x1080, v3
	s_waitcnt vmcnt(0)
	ds_store_2addr_b64 v7, v[10:11], v[12:13] offset1:1
.LBB126_21:
	s_or_b32 exec_lo, exec_lo, s3
	v_add_nc_u32_e32 v7, 16, v9
	s_delay_alu instid0(VALU_DEP_1) | instskip(NEXT) | instid1(VALU_DEP_1)
	v_cmp_le_i32_e64 s2, s12, v7
	s_and_saveexec_b32 s3, s2
	s_delay_alu instid0(SALU_CYCLE_1)
	s_xor_b32 s2, exec_lo, s3
	s_cbranch_execz .LBB126_23
; %bb.22:
	v_mov_b32_e32 v10, 0
	s_delay_alu instid0(VALU_DEP_1)
	v_mov_b32_e32 v11, v10
	v_mov_b32_e32 v12, v10
	;; [unrolled: 1-line block ×3, first 2 shown]
	ds_store_b128 v3, v[10:13] offset:8448
.LBB126_23:
	s_and_not1_saveexec_b32 s3, s2
	s_cbranch_execz .LBB126_25
; %bb.24:
	s_lshl_b64 s[18:19], s[24:25], 8
	s_delay_alu instid0(SALU_CYCLE_1) | instskip(NEXT) | instid1(VALU_DEP_1)
	v_add_co_u32 v7, s2, v0, s18
	v_add_co_ci_u32_e64 v8, s2, s19, v1, s2
	global_load_b128 v[10:13], v[7:8], off
	v_add_nc_u32_e32 v7, 0x2100, v3
	s_waitcnt vmcnt(0)
	ds_store_2addr_b64 v7, v[10:11], v[12:13] offset1:1
.LBB126_25:
	s_or_b32 exec_lo, exec_lo, s3
	v_add_nc_u32_e32 v7, 24, v9
	s_delay_alu instid0(VALU_DEP_1) | instskip(NEXT) | instid1(VALU_DEP_1)
	v_cmp_le_i32_e64 s2, s12, v7
	s_and_saveexec_b32 s3, s2
	s_delay_alu instid0(SALU_CYCLE_1)
	s_xor_b32 s2, exec_lo, s3
	s_cbranch_execz .LBB126_27
; %bb.26:
	v_mov_b32_e32 v10, 0
	s_delay_alu instid0(VALU_DEP_1)
	v_mov_b32_e32 v11, v10
	v_mov_b32_e32 v12, v10
	;; [unrolled: 1-line block ×3, first 2 shown]
	ds_store_b128 v3, v[10:13] offset:12672
                                        ; implicit-def: $vgpr3
.LBB126_27:
	s_and_not1_saveexec_b32 s2, s2
	s_cbranch_execz .LBB126_29
; %bb.28:
	v_mad_u64_u32 v[7:8], null, 0x180, s24, v[0:1]
	v_add_nc_u32_e32 v3, 0x3180, v3
	s_delay_alu instid0(VALU_DEP_2) | instskip(NEXT) | instid1(VALU_DEP_1)
	v_mad_u64_u32 v[10:11], null, 0x180, s25, v[8:9]
	v_mov_b32_e32 v8, v10
	global_load_b128 v[10:13], v[7:8], off
	s_waitcnt vmcnt(0)
	ds_store_2addr_b64 v3, v[10:11], v[12:13] offset1:1
.LBB126_29:
	s_or_b32 exec_lo, exec_lo, s2
	v_add_co_u32 v0, s2, v0, v2
	s_delay_alu instid0(VALU_DEP_1) | instskip(NEXT) | instid1(VALU_DEP_2)
	v_add_co_ci_u32_e64 v1, s2, 0, v1, s2
	v_sub_co_u32 v0, s2, v0, s4
	s_delay_alu instid0(VALU_DEP_1) | instskip(NEXT) | instid1(VALU_DEP_2)
	v_subrev_co_ci_u32_e64 v1, s2, s5, v1, s2
	v_add_co_u32 v0, s2, v0, 16
	s_delay_alu instid0(VALU_DEP_1) | instskip(NEXT) | instid1(VALU_DEP_1)
	v_add_co_ci_u32_e64 v1, s2, 0, v1, s2
	v_dual_cndmask_b32 v5, v0, v5 :: v_dual_cndmask_b32 v6, v1, v6
.LBB126_30:
	v_lshlrev_b32_e32 v0, 2, v9
	v_mul_u32_u24_e32 v44, 33, v4
	v_mul_u32_u24_e32 v1, 0x84, v9
	s_waitcnt lgkmcnt(0)
	s_barrier
	v_cmp_lt_u32_e64 s3, v0, v4
	v_add_lshl_u32 v12, v0, v44, 4
	buffer_gl0_inv
	s_and_saveexec_b32 s2, s3
	s_cbranch_execz .LBB126_32
; %bb.31:
	v_add_lshl_u32 v2, v1, v4, 4
	ds_load_b128 v[13:16], v2
	s_waitcnt lgkmcnt(0)
	ds_store_b128 v12, v[13:16]
.LBB126_32:
	s_or_b32 exec_lo, exec_lo, s2
	v_or_b32_e32 v2, 1, v0
	s_delay_alu instid0(VALU_DEP_1) | instskip(NEXT) | instid1(VALU_DEP_1)
	v_cmp_lt_u32_e64 s4, v2, v4
	s_and_saveexec_b32 s2, s4
	s_cbranch_execz .LBB126_34
; %bb.33:
	v_mul_u32_u24_e32 v2, 33, v2
	s_delay_alu instid0(VALU_DEP_1)
	v_add_lshl_u32 v2, v2, v4, 4
	ds_load_b128 v[13:16], v2
	s_waitcnt lgkmcnt(0)
	ds_store_b128 v12, v[13:16] offset:16
.LBB126_34:
	s_or_b32 exec_lo, exec_lo, s2
	v_or_b32_e32 v2, 2, v0
	s_delay_alu instid0(VALU_DEP_1) | instskip(NEXT) | instid1(VALU_DEP_1)
	v_cmp_lt_u32_e64 s5, v2, v4
	s_and_saveexec_b32 s2, s5
	s_cbranch_execz .LBB126_36
; %bb.35:
	v_mul_u32_u24_e32 v2, 33, v2
	s_delay_alu instid0(VALU_DEP_1)
	v_add_lshl_u32 v2, v2, v4, 4
	ds_load_b128 v[13:16], v2
	s_waitcnt lgkmcnt(0)
	ds_store_b128 v12, v[13:16] offset:32
.LBB126_36:
	s_or_b32 exec_lo, exec_lo, s2
	v_or_b32_e32 v2, 3, v0
	s_delay_alu instid0(VALU_DEP_1) | instskip(SKIP_1) | instid1(VALU_DEP_2)
	v_mad_u32_u24 v3, v2, 33, v4
	v_cmp_lt_u32_e64 s6, v2, v4
	v_lshlrev_b32_e32 v10, 4, v3
	s_delay_alu instid0(VALU_DEP_2)
	s_and_saveexec_b32 s2, s6
	s_cbranch_execz .LBB126_38
; %bb.37:
	ds_load_b128 v[13:16], v10
	s_waitcnt lgkmcnt(0)
	ds_store_b128 v12, v[13:16] offset:48
.LBB126_38:
	s_or_b32 exec_lo, exec_lo, s2
	v_lshlrev_b32_e32 v13, 4, v0
	v_add_lshl_u32 v14, v1, v4, 4
	s_waitcnt lgkmcnt(0)
	s_barrier
	buffer_gl0_inv
	ds_load_b128 v[0:3], v13 offset:18176
	ds_load_b128 v[15:18], v14
	v_add_nc_u32_e32 v11, 0xfffffbe0, v10
	ds_load_b128 v[19:22], v11
	ds_load_b128 v[23:26], v11 offset:528
	ds_load_b128 v[27:30], v13 offset:18192
	;; [unrolled: 1-line block ×3, first 2 shown]
	v_add_lshl_u32 v45, v9, v44, 4
	v_cmp_gt_u32_e64 s2, 32, v43
	s_waitcnt lgkmcnt(4)
	v_mul_f64 v[7:8], v[2:3], v[17:18]
	v_mul_f64 v[17:18], v[0:1], v[17:18]
	s_waitcnt lgkmcnt(1)
	v_mul_f64 v[40:41], v[29:30], v[21:22]
	v_mul_f64 v[21:22], v[27:28], v[21:22]
	s_delay_alu instid0(VALU_DEP_4) | instskip(NEXT) | instid1(VALU_DEP_4)
	v_fma_f64 v[0:1], v[0:1], v[15:16], -v[7:8]
	v_fma_f64 v[2:3], v[2:3], v[15:16], v[17:18]
	s_waitcnt lgkmcnt(0)
	v_mul_f64 v[7:8], v[33:34], v[25:26]
	v_mul_f64 v[25:26], v[31:32], v[25:26]
	v_fma_f64 v[27:28], v[27:28], v[19:20], -v[40:41]
	v_fma_f64 v[19:20], v[29:30], v[19:20], v[21:22]
	v_add_f64 v[21:22], v[0:1], 0
	v_add_f64 v[29:30], v[2:3], 0
	ds_load_b128 v[0:3], v13 offset:18224
	ds_load_b128 v[15:18], v10
	v_fma_f64 v[7:8], v[31:32], v[23:24], -v[7:8]
	v_fma_f64 v[23:24], v[33:34], v[23:24], v[25:26]
	s_waitcnt lgkmcnt(0)
	s_barrier
	buffer_gl0_inv
	v_mul_f64 v[40:41], v[2:3], v[17:18]
	v_mul_f64 v[17:18], v[0:1], v[17:18]
	v_add_f64 v[21:22], v[21:22], v[27:28]
	v_add_f64 v[19:20], v[29:30], v[19:20]
	s_delay_alu instid0(VALU_DEP_4) | instskip(NEXT) | instid1(VALU_DEP_4)
	v_fma_f64 v[0:1], v[0:1], v[15:16], -v[40:41]
	v_fma_f64 v[2:3], v[2:3], v[15:16], v[17:18]
	s_delay_alu instid0(VALU_DEP_4) | instskip(NEXT) | instid1(VALU_DEP_4)
	v_add_f64 v[7:8], v[21:22], v[7:8]
	v_add_f64 v[17:18], v[19:20], v[23:24]
	s_delay_alu instid0(VALU_DEP_2) | instskip(NEXT) | instid1(VALU_DEP_2)
	v_add_f64 v[15:16], v[7:8], v[0:1]
	v_add_f64 v[17:18], v[17:18], v[2:3]
	v_mov_b32_e32 v0, 0
	v_mov_b32_e32 v1, 0
	s_delay_alu instid0(VALU_DEP_1)
	v_dual_mov_b32 v3, v1 :: v_dual_mov_b32 v2, v0
	ds_store_b128 v45, v[15:18]
	s_waitcnt lgkmcnt(0)
	s_barrier
	buffer_gl0_inv
	s_and_saveexec_b32 s13, s2
	s_cbranch_execz .LBB126_40
; %bb.39:
	v_lshlrev_b32_e32 v21, 4, v44
	ds_load_b128 v[0:3], v21
	ds_load_b128 v[15:18], v21 offset:16
	s_waitcnt lgkmcnt(0)
	v_add_f64 v[7:8], v[15:16], v[0:1]
	v_add_f64 v[19:20], v[17:18], v[2:3]
	ds_load_b128 v[0:3], v21 offset:32
	ds_load_b128 v[15:18], v21 offset:48
	s_waitcnt lgkmcnt(1)
	v_add_f64 v[0:1], v[7:8], v[0:1]
	v_add_f64 v[2:3], v[19:20], v[2:3]
	s_waitcnt lgkmcnt(0)
	s_delay_alu instid0(VALU_DEP_2) | instskip(NEXT) | instid1(VALU_DEP_2)
	v_add_f64 v[7:8], v[0:1], v[15:16]
	v_add_f64 v[19:20], v[2:3], v[17:18]
	ds_load_b128 v[0:3], v21 offset:64
	ds_load_b128 v[15:18], v21 offset:80
	s_waitcnt lgkmcnt(1)
	v_add_f64 v[0:1], v[7:8], v[0:1]
	v_add_f64 v[2:3], v[19:20], v[2:3]
	s_waitcnt lgkmcnt(0)
	s_delay_alu instid0(VALU_DEP_2) | instskip(NEXT) | instid1(VALU_DEP_2)
	;; [unrolled: 9-line block ×3, first 2 shown]
	v_add_f64 v[0:1], v[0:1], v[15:16]
	v_add_f64 v[2:3], v[2:3], v[17:18]
.LBB126_40:
	s_or_b32 exec_lo, exec_lo, s13
	s_lshl_b64 s[18:19], s[24:25], 9
	v_cndmask_b32_e64 v15, 0, 1, s7
	v_add_co_u32 v7, vcc_lo, v5, s18
	v_add_co_ci_u32_e32 v8, vcc_lo, s19, v6, vcc_lo
	s_delay_alu instid0(VALU_DEP_2) | instskip(NEXT) | instid1(VALU_DEP_2)
	v_add_co_u32 v5, vcc_lo, 0x200, v7
	v_add_co_ci_u32_e32 v6, vcc_lo, 0, v8, vcc_lo
	s_and_not1_b32 vcc_lo, exec_lo, s7
	s_barrier
	buffer_gl0_inv
	s_cbranch_vccnz .LBB126_42
; %bb.41:
	v_mad_u64_u32 v[28:29], null, 0x180, s24, v[7:8]
	s_lshl_b64 s[18:19], s[24:25], 7
	s_delay_alu instid0(SALU_CYCLE_1) | instskip(SKIP_1) | instid1(VALU_DEP_3)
	v_add_co_u32 v7, vcc_lo, v7, s18
	v_add_co_ci_u32_e32 v8, vcc_lo, s19, v8, vcc_lo
	v_mov_b32_e32 v16, v29
	s_delay_alu instid0(VALU_DEP_3) | instskip(NEXT) | instid1(VALU_DEP_3)
	v_add_co_u32 v24, vcc_lo, v7, s18
	v_add_co_ci_u32_e32 v25, vcc_lo, s19, v8, vcc_lo
	s_delay_alu instid0(VALU_DEP_3) | instskip(NEXT) | instid1(VALU_DEP_1)
	v_mad_u64_u32 v[17:18], null, 0x180, s25, v[16:17]
	v_mov_b32_e32 v29, v17
	s_clause 0x3
	global_load_b128 v[16:19], v[5:6], off
	global_load_b128 v[20:23], v[7:8], off offset:512
	global_load_b128 v[24:27], v[24:25], off offset:512
	;; [unrolled: 1-line block ×3, first 2 shown]
	v_mul_u32_u24_e32 v7, 33, v9
	s_delay_alu instid0(VALU_DEP_1) | instskip(NEXT) | instid1(VALU_DEP_1)
	v_add_lshl_u32 v7, v7, v4, 4
	v_add_nc_u32_e32 v8, 0x1080, v7
	v_add_nc_u32_e32 v32, 0x2100, v7
	;; [unrolled: 1-line block ×3, first 2 shown]
	s_waitcnt vmcnt(3)
	ds_store_2addr_b64 v7, v[16:17], v[18:19] offset1:1
	s_waitcnt vmcnt(2)
	ds_store_2addr_b64 v8, v[20:21], v[22:23] offset1:1
	;; [unrolled: 2-line block ×4, first 2 shown]
	s_cbranch_execz .LBB126_43
	s_branch .LBB126_60
.LBB126_42:
.LBB126_43:
	v_lshlrev_b32_e32 v16, 4, v4
	s_ashr_i32 s13, s12, 31
	v_or_b32_e32 v17, 32, v4
	s_lshl_b64 s[18:19], s[12:13], 4
	s_sub_i32 s13, s12, 32
	v_sub_co_u32 v7, vcc_lo, v5, v16
	v_subrev_co_ci_u32_e32 v8, vcc_lo, 0, v6, vcc_lo
	v_cmp_le_i32_e64 s7, s13, v9
	s_delay_alu instid0(VALU_DEP_3) | instskip(NEXT) | instid1(VALU_DEP_3)
	v_add_co_u32 v7, vcc_lo, v7, s18
	v_add_co_ci_u32_e32 v8, vcc_lo, s19, v8, vcc_lo
	s_delay_alu instid0(VALU_DEP_2) | instskip(NEXT) | instid1(VALU_DEP_2)
	v_add_co_u32 v7, vcc_lo, 0xfffffdf0, v7
	v_add_co_ci_u32_e32 v8, vcc_lo, -1, v8, vcc_lo
	v_cmp_gt_i32_e32 vcc_lo, s12, v17
	v_mul_u32_u24_e32 v17, 33, v9
	s_delay_alu instid0(VALU_DEP_3) | instskip(NEXT) | instid1(VALU_DEP_2)
	v_dual_cndmask_b32 v7, v7, v5 :: v_dual_cndmask_b32 v8, v8, v6
	v_add_lshl_u32 v17, v17, v4, 4
	s_and_saveexec_b32 s21, s7
	s_delay_alu instid0(SALU_CYCLE_1)
	s_xor_b32 s7, exec_lo, s21
	s_cbranch_execz .LBB126_45
; %bb.44:
	v_mov_b32_e32 v18, 0
	s_delay_alu instid0(VALU_DEP_1)
	v_mov_b32_e32 v19, v18
	v_mov_b32_e32 v20, v18
	;; [unrolled: 1-line block ×3, first 2 shown]
	ds_store_b128 v17, v[18:21]
.LBB126_45:
	s_and_not1_saveexec_b32 s7, s7
	s_cbranch_execz .LBB126_47
; %bb.46:
	global_load_b128 v[18:21], v[7:8], off
	s_waitcnt vmcnt(0)
	ds_store_2addr_b64 v17, v[18:19], v[20:21] offset1:1
.LBB126_47:
	s_or_b32 exec_lo, exec_lo, s7
	v_add_nc_u32_e32 v18, 8, v9
	s_delay_alu instid0(VALU_DEP_1) | instskip(NEXT) | instid1(VALU_DEP_1)
	v_cmp_le_i32_e64 s7, s13, v18
	s_and_saveexec_b32 s21, s7
	s_delay_alu instid0(SALU_CYCLE_1)
	s_xor_b32 s7, exec_lo, s21
	s_cbranch_execz .LBB126_49
; %bb.48:
	v_mul_u32_u24_e32 v19, 33, v18
	v_mov_b32_e32 v18, 0
	s_delay_alu instid0(VALU_DEP_2) | instskip(NEXT) | instid1(VALU_DEP_2)
	v_add_lshl_u32 v22, v19, v4, 4
	v_mov_b32_e32 v19, v18
	v_mov_b32_e32 v20, v18
	;; [unrolled: 1-line block ×3, first 2 shown]
	ds_store_b128 v22, v[18:21]
.LBB126_49:
	s_and_not1_saveexec_b32 s21, s7
	s_cbranch_execz .LBB126_51
; %bb.50:
	s_lshl_b64 s[22:23], s[24:25], 7
	v_add_nc_u32_e32 v22, 0x1080, v17
	v_add_co_u32 v18, s7, v7, s22
	s_delay_alu instid0(VALU_DEP_1)
	v_add_co_ci_u32_e64 v19, s7, s23, v8, s7
	global_load_b128 v[18:21], v[18:19], off
	s_waitcnt vmcnt(0)
	ds_store_2addr_b64 v22, v[18:19], v[20:21] offset1:1
.LBB126_51:
	s_or_b32 exec_lo, exec_lo, s21
	v_add_nc_u32_e32 v18, 16, v9
	s_delay_alu instid0(VALU_DEP_1) | instskip(NEXT) | instid1(VALU_DEP_1)
	v_cmp_le_i32_e64 s7, s13, v18
	s_and_saveexec_b32 s21, s7
	s_delay_alu instid0(SALU_CYCLE_1)
	s_xor_b32 s7, exec_lo, s21
	s_cbranch_execz .LBB126_53
; %bb.52:
	v_mov_b32_e32 v18, 0
	s_delay_alu instid0(VALU_DEP_1)
	v_mov_b32_e32 v19, v18
	v_mov_b32_e32 v20, v18
	;; [unrolled: 1-line block ×3, first 2 shown]
	ds_store_b128 v17, v[18:21] offset:8448
.LBB126_53:
	s_and_not1_saveexec_b32 s21, s7
	s_cbranch_execz .LBB126_55
; %bb.54:
	s_lshl_b64 s[22:23], s[24:25], 8
	v_add_nc_u32_e32 v22, 0x2100, v17
	v_add_co_u32 v18, s7, v7, s22
	s_delay_alu instid0(VALU_DEP_1)
	v_add_co_ci_u32_e64 v19, s7, s23, v8, s7
	global_load_b128 v[18:21], v[18:19], off
	s_waitcnt vmcnt(0)
	ds_store_2addr_b64 v22, v[18:19], v[20:21] offset1:1
.LBB126_55:
	s_or_b32 exec_lo, exec_lo, s21
	v_add_nc_u32_e32 v18, 24, v9
	s_delay_alu instid0(VALU_DEP_1) | instskip(NEXT) | instid1(VALU_DEP_1)
	v_cmp_le_i32_e64 s7, s13, v18
	s_and_saveexec_b32 s13, s7
	s_delay_alu instid0(SALU_CYCLE_1)
	s_xor_b32 s7, exec_lo, s13
	s_cbranch_execz .LBB126_57
; %bb.56:
	v_mov_b32_e32 v18, 0
	s_delay_alu instid0(VALU_DEP_1)
	v_mov_b32_e32 v19, v18
	v_mov_b32_e32 v20, v18
	;; [unrolled: 1-line block ×3, first 2 shown]
	ds_store_b128 v17, v[18:21] offset:12672
                                        ; implicit-def: $vgpr17
.LBB126_57:
	s_and_not1_saveexec_b32 s7, s7
	s_cbranch_execz .LBB126_59
; %bb.58:
	v_mad_u64_u32 v[18:19], null, 0x180, s24, v[7:8]
	v_add_nc_u32_e32 v17, 0x3180, v17
	s_delay_alu instid0(VALU_DEP_2) | instskip(NEXT) | instid1(VALU_DEP_1)
	v_mad_u64_u32 v[20:21], null, 0x180, s25, v[19:20]
	v_mov_b32_e32 v19, v20
	global_load_b128 v[18:21], v[18:19], off
	s_waitcnt vmcnt(0)
	ds_store_2addr_b64 v17, v[18:19], v[20:21] offset1:1
.LBB126_59:
	s_or_b32 exec_lo, exec_lo, s7
	v_add_co_u32 v7, s7, v7, v16
	s_delay_alu instid0(VALU_DEP_1) | instskip(NEXT) | instid1(VALU_DEP_2)
	v_add_co_ci_u32_e64 v8, s7, 0, v8, s7
	v_sub_co_u32 v7, s7, v7, s18
	s_delay_alu instid0(VALU_DEP_1) | instskip(NEXT) | instid1(VALU_DEP_2)
	v_subrev_co_ci_u32_e64 v8, s7, s19, v8, s7
	v_add_co_u32 v7, s7, 0x210, v7
	s_delay_alu instid0(VALU_DEP_1) | instskip(NEXT) | instid1(VALU_DEP_1)
	v_add_co_ci_u32_e64 v8, s7, 0, v8, s7
	v_dual_cndmask_b32 v5, v7, v5 :: v_dual_cndmask_b32 v6, v8, v6
.LBB126_60:
	v_add_nc_u32_e32 v13, 0x4700, v13
	v_add_nc_u32_e32 v7, 0x210, v11
	s_lshl_b64 s[18:19], s[24:25], 5
	s_waitcnt lgkmcnt(0)
	s_barrier
	buffer_gl0_inv
	s_and_saveexec_b32 s7, s3
	s_cbranch_execnz .LBB126_69
; %bb.61:
	s_or_b32 exec_lo, exec_lo, s7
	s_and_saveexec_b32 s3, s4
	s_cbranch_execnz .LBB126_70
.LBB126_62:
	s_or_b32 exec_lo, exec_lo, s3
	s_and_saveexec_b32 s3, s5
	s_cbranch_execnz .LBB126_71
.LBB126_63:
	s_or_b32 exec_lo, exec_lo, s3
	s_and_saveexec_b32 s3, s6
	s_cbranch_execz .LBB126_65
.LBB126_64:
	ds_load_b128 v[16:19], v10
	s_waitcnt lgkmcnt(0)
	ds_store_b128 v12, v[16:19] offset:48
.LBB126_65:
	s_or_b32 exec_lo, exec_lo, s3
	s_waitcnt lgkmcnt(0)
	s_barrier
	buffer_gl0_inv
	ds_load_b128 v[16:19], v13 offset:512
	ds_load_b128 v[20:23], v14
	v_cmp_eq_u32_e64 s3, 1, v9
	s_waitcnt lgkmcnt(0)
	v_mul_f64 v[7:8], v[18:19], v[22:23]
	v_mul_f64 v[34:35], v[16:17], v[22:23]
	ds_load_b128 v[22:25], v11
	ds_load_b128 v[26:29], v13 offset:528
	ds_load_b128 v[30:33], v13 offset:544
	s_waitcnt lgkmcnt(1)
	v_mul_f64 v[40:41], v[28:29], v[24:25]
	v_mul_f64 v[24:25], v[26:27], v[24:25]
	v_fma_f64 v[7:8], v[16:17], v[20:21], -v[7:8]
	v_fma_f64 v[20:21], v[18:19], v[20:21], v[34:35]
	ds_load_b128 v[16:19], v11 offset:528
	ds_load_b128 v[46:49], v10
	s_waitcnt lgkmcnt(1)
	v_mul_f64 v[10:11], v[32:33], v[18:19]
	v_mul_f64 v[34:35], v[30:31], v[18:19]
	v_fma_f64 v[26:27], v[26:27], v[22:23], -v[40:41]
	v_fma_f64 v[22:23], v[28:29], v[22:23], v[24:25]
	v_add_f64 v[7:8], v[7:8], 0
	v_add_f64 v[24:25], v[20:21], 0
	ds_load_b128 v[18:21], v13 offset:560
	s_waitcnt lgkmcnt(0)
	s_barrier
	buffer_gl0_inv
	v_fma_f64 v[10:11], v[30:31], v[16:17], -v[10:11]
	v_mul_f64 v[28:29], v[20:21], v[48:49]
	v_mul_f64 v[40:41], v[18:19], v[48:49]
	v_fma_f64 v[16:17], v[32:33], v[16:17], v[34:35]
	v_add_f64 v[7:8], v[7:8], v[26:27]
	v_add_f64 v[22:23], v[24:25], v[22:23]
	v_fma_f64 v[18:19], v[18:19], v[46:47], -v[28:29]
	v_fma_f64 v[20:21], v[20:21], v[46:47], v[40:41]
	s_delay_alu instid0(VALU_DEP_4) | instskip(NEXT) | instid1(VALU_DEP_4)
	v_add_f64 v[7:8], v[7:8], v[10:11]
	v_add_f64 v[10:11], v[22:23], v[16:17]
	s_delay_alu instid0(VALU_DEP_2) | instskip(NEXT) | instid1(VALU_DEP_2)
	v_add_f64 v[16:17], v[7:8], v[18:19]
	v_add_f64 v[18:19], v[10:11], v[20:21]
	ds_store_b128 v45, v[16:19]
	s_waitcnt lgkmcnt(0)
	s_barrier
	buffer_gl0_inv
	s_and_saveexec_b32 s4, s3
	s_cbranch_execz .LBB126_67
; %bb.66:
	v_lshlrev_b32_e32 v14, 4, v44
	ds_load_b128 v[0:3], v14
	ds_load_b128 v[16:19], v14 offset:16
	s_waitcnt lgkmcnt(0)
	v_add_f64 v[7:8], v[16:17], v[0:1]
	v_add_f64 v[10:11], v[18:19], v[2:3]
	ds_load_b128 v[0:3], v14 offset:32
	ds_load_b128 v[16:19], v14 offset:48
	s_waitcnt lgkmcnt(1)
	v_add_f64 v[0:1], v[7:8], v[0:1]
	v_add_f64 v[2:3], v[10:11], v[2:3]
	s_waitcnt lgkmcnt(0)
	s_delay_alu instid0(VALU_DEP_2) | instskip(NEXT) | instid1(VALU_DEP_2)
	v_add_f64 v[7:8], v[0:1], v[16:17]
	v_add_f64 v[10:11], v[2:3], v[18:19]
	ds_load_b128 v[0:3], v14 offset:64
	ds_load_b128 v[16:19], v14 offset:80
	s_waitcnt lgkmcnt(1)
	v_add_f64 v[0:1], v[7:8], v[0:1]
	v_add_f64 v[2:3], v[10:11], v[2:3]
	s_waitcnt lgkmcnt(0)
	s_delay_alu instid0(VALU_DEP_2) | instskip(NEXT) | instid1(VALU_DEP_2)
	;; [unrolled: 9-line block ×3, first 2 shown]
	v_add_f64 v[0:1], v[0:1], v[16:17]
	v_add_f64 v[2:3], v[2:3], v[18:19]
.LBB126_67:
	s_or_b32 exec_lo, exec_lo, s4
	s_lshl_b64 s[4:5], s[18:19], 4
	v_cmp_ne_u32_e32 vcc_lo, 1, v15
	v_sub_co_u32 v40, s4, v5, s4
	s_delay_alu instid0(VALU_DEP_1)
	v_subrev_co_ci_u32_e64 v41, s4, s5, v6, s4
	s_barrier
	buffer_gl0_inv
	s_cbranch_vccnz .LBB126_72
; %bb.68:
	v_mad_u64_u32 v[5:6], null, 0x180, s24, v[40:41]
	s_lshl_b64 s[4:5], s[24:25], 7
	s_delay_alu instid0(SALU_CYCLE_1) | instskip(SKIP_1) | instid1(VALU_DEP_3)
	v_add_co_u32 v10, vcc_lo, v40, s4
	v_add_co_ci_u32_e32 v11, vcc_lo, s5, v41, vcc_lo
	v_mad_u64_u32 v[7:8], null, 0x180, s25, v[6:7]
	s_delay_alu instid0(VALU_DEP_3) | instskip(NEXT) | instid1(VALU_DEP_3)
	v_add_co_u32 v23, vcc_lo, v10, s4
	v_add_co_ci_u32_e32 v24, vcc_lo, s5, v11, vcc_lo
	v_add_nc_u32_e32 v8, 16, v9
	s_delay_alu instid0(VALU_DEP_4)
	v_dual_mov_b32 v6, v7 :: v_dual_add_nc_u32 v7, 8, v9
	s_clause 0x3
	global_load_b128 v[15:18], v[40:41], off
	global_load_b128 v[19:22], v[10:11], off
	;; [unrolled: 1-line block ×4, first 2 shown]
	v_mad_u32_u24 v11, v9, 33, v4
	v_add_nc_u32_e32 v10, 24, v9
	s_delay_alu instid0(VALU_DEP_2) | instskip(SKIP_3) | instid1(VALU_DEP_4)
	v_lshlrev_b32_e32 v31, 4, v11
	v_add_nc_u32_e32 v6, 0x108, v11
	v_add_nc_u32_e32 v5, 0x210, v11
	v_add_nc_u32_e32 v14, 0x318, v11
	v_add_nc_u32_e32 v33, 0x2100, v31
	v_add_nc_u32_e32 v32, 0x1080, v31
	v_add_nc_u32_e32 v34, 0x3180, v31
	s_waitcnt vmcnt(3)
	ds_store_2addr_b64 v31, v[15:16], v[17:18] offset1:1
	s_waitcnt vmcnt(2)
	ds_store_2addr_b64 v32, v[19:20], v[21:22] offset1:1
	;; [unrolled: 2-line block ×4, first 2 shown]
	s_cbranch_execz .LBB126_73
	s_branch .LBB126_90
.LBB126_69:
	ds_load_b128 v[16:19], v14
	s_waitcnt lgkmcnt(0)
	ds_store_b128 v12, v[16:19]
	s_or_b32 exec_lo, exec_lo, s7
	s_and_saveexec_b32 s3, s4
	s_cbranch_execz .LBB126_62
.LBB126_70:
	ds_load_b128 v[16:19], v11
	s_waitcnt lgkmcnt(0)
	ds_store_b128 v12, v[16:19] offset:16
	s_or_b32 exec_lo, exec_lo, s3
	s_and_saveexec_b32 s3, s5
	s_cbranch_execz .LBB126_63
.LBB126_71:
	ds_load_b128 v[16:19], v7
	s_waitcnt lgkmcnt(0)
	ds_store_b128 v12, v[16:19] offset:32
	s_or_b32 exec_lo, exec_lo, s3
	s_and_saveexec_b32 s3, s6
	s_cbranch_execnz .LBB126_64
	s_branch .LBB126_65
.LBB126_72:
                                        ; implicit-def: $vgpr11
                                        ; implicit-def: $vgpr7
                                        ; implicit-def: $vgpr6
                                        ; implicit-def: $vgpr8
                                        ; implicit-def: $vgpr5
                                        ; implicit-def: $vgpr10
                                        ; implicit-def: $vgpr14
.LBB126_73:
	v_lshlrev_b32_e32 v15, 4, v4
	s_ashr_i32 s13, s12, 31
	v_or_b32_e32 v7, 32, v4
	s_lshl_b64 s[6:7], s[12:13], 4
	v_mad_u32_u24 v11, v9, 33, v4
	v_sub_co_u32 v5, vcc_lo, v40, v15
	v_subrev_co_ci_u32_e32 v6, vcc_lo, 0, v41, vcc_lo
	v_cmp_le_i32_e64 s4, s12, v9
	s_delay_alu instid0(VALU_DEP_3) | instskip(NEXT) | instid1(VALU_DEP_3)
	v_add_co_u32 v5, vcc_lo, v5, s6
	v_add_co_ci_u32_e32 v6, vcc_lo, s7, v6, vcc_lo
	v_lshlrev_b32_e32 v16, 4, v11
	s_delay_alu instid0(VALU_DEP_3) | instskip(NEXT) | instid1(VALU_DEP_3)
	v_add_co_u32 v5, vcc_lo, 0xfffffdf0, v5
	v_add_co_ci_u32_e32 v6, vcc_lo, -1, v6, vcc_lo
	v_cmp_gt_i32_e32 vcc_lo, s12, v7
	s_delay_alu instid0(VALU_DEP_2) | instskip(SKIP_1) | instid1(SALU_CYCLE_1)
	v_dual_cndmask_b32 v6, v6, v41 :: v_dual_cndmask_b32 v5, v5, v40
	s_and_saveexec_b32 s5, s4
	s_xor_b32 s4, exec_lo, s5
	s_cbranch_execz .LBB126_75
; %bb.74:
	v_mov_b32_e32 v17, 0
	s_delay_alu instid0(VALU_DEP_1)
	v_mov_b32_e32 v18, v17
	v_mov_b32_e32 v19, v17
	;; [unrolled: 1-line block ×3, first 2 shown]
	ds_store_b128 v16, v[17:20]
.LBB126_75:
	s_and_not1_saveexec_b32 s4, s4
	s_cbranch_execz .LBB126_77
; %bb.76:
	global_load_b128 v[17:20], v[5:6], off
	s_waitcnt vmcnt(0)
	ds_store_2addr_b64 v16, v[17:18], v[19:20] offset1:1
.LBB126_77:
	s_or_b32 exec_lo, exec_lo, s4
	v_add_nc_u32_e32 v7, 8, v9
	s_delay_alu instid0(VALU_DEP_1) | instskip(NEXT) | instid1(VALU_DEP_1)
	v_cmp_le_i32_e64 s4, s12, v7
	s_and_saveexec_b32 s5, s4
	s_delay_alu instid0(SALU_CYCLE_1)
	s_xor_b32 s4, exec_lo, s5
	s_cbranch_execz .LBB126_79
; %bb.78:
	v_mul_u32_u24_e32 v8, 33, v7
	v_mov_b32_e32 v17, 0
	s_delay_alu instid0(VALU_DEP_2) | instskip(NEXT) | instid1(VALU_DEP_2)
	v_add_lshl_u32 v8, v8, v4, 4
	v_mov_b32_e32 v18, v17
	v_mov_b32_e32 v19, v17
	;; [unrolled: 1-line block ×3, first 2 shown]
	ds_store_b128 v8, v[17:20]
.LBB126_79:
	s_and_not1_saveexec_b32 s5, s4
	s_cbranch_execz .LBB126_81
; %bb.80:
	s_lshl_b64 s[18:19], s[24:25], 7
	v_add_nc_u32_e32 v8, 0x1080, v16
	v_add_co_u32 v17, s4, v5, s18
	s_delay_alu instid0(VALU_DEP_1)
	v_add_co_ci_u32_e64 v18, s4, s19, v6, s4
	global_load_b128 v[17:20], v[17:18], off
	s_waitcnt vmcnt(0)
	ds_store_2addr_b64 v8, v[17:18], v[19:20] offset1:1
.LBB126_81:
	s_or_b32 exec_lo, exec_lo, s5
	v_add_nc_u32_e32 v8, 16, v9
	s_delay_alu instid0(VALU_DEP_1) | instskip(NEXT) | instid1(VALU_DEP_1)
	v_cmp_le_i32_e64 s4, s12, v8
	s_and_saveexec_b32 s5, s4
	s_delay_alu instid0(SALU_CYCLE_1)
	s_xor_b32 s4, exec_lo, s5
	s_cbranch_execz .LBB126_83
; %bb.82:
	v_mul_u32_u24_e32 v10, 33, v8
	v_mov_b32_e32 v17, 0
	s_delay_alu instid0(VALU_DEP_2) | instskip(NEXT) | instid1(VALU_DEP_2)
	v_add_lshl_u32 v4, v10, v4, 4
	v_mov_b32_e32 v18, v17
	v_mov_b32_e32 v19, v17
	v_mov_b32_e32 v20, v17
	ds_store_b128 v4, v[17:20]
.LBB126_83:
	s_and_not1_saveexec_b32 s5, s4
	s_cbranch_execz .LBB126_85
; %bb.84:
	s_lshl_b64 s[18:19], s[24:25], 8
	v_add_nc_u32_e32 v4, 0x2100, v16
	v_add_co_u32 v17, s4, v5, s18
	s_delay_alu instid0(VALU_DEP_1)
	v_add_co_ci_u32_e64 v18, s4, s19, v6, s4
	global_load_b128 v[17:20], v[17:18], off
	s_waitcnt vmcnt(0)
	ds_store_2addr_b64 v4, v[17:18], v[19:20] offset1:1
.LBB126_85:
	s_or_b32 exec_lo, exec_lo, s5
	v_add_nc_u32_e32 v10, 24, v9
                                        ; implicit-def: $vgpr14
	s_delay_alu instid0(VALU_DEP_1) | instskip(NEXT) | instid1(VALU_DEP_1)
	v_cmp_le_i32_e64 s4, s12, v10
	s_and_saveexec_b32 s5, s4
	s_delay_alu instid0(SALU_CYCLE_1)
	s_xor_b32 s4, exec_lo, s5
	s_cbranch_execz .LBB126_87
; %bb.86:
	v_dual_mov_b32 v17, 0 :: v_dual_add_nc_u32 v14, 0x318, v11
	s_delay_alu instid0(VALU_DEP_1)
	v_mov_b32_e32 v18, v17
	v_mov_b32_e32 v19, v17
	;; [unrolled: 1-line block ×3, first 2 shown]
	ds_store_b128 v16, v[17:20] offset:12672
                                        ; implicit-def: $vgpr16
.LBB126_87:
	s_and_not1_saveexec_b32 s4, s4
	s_cbranch_execz .LBB126_89
; %bb.88:
	v_mad_u64_u32 v[17:18], null, 0x180, s24, v[5:6]
	v_add_nc_u32_e32 v14, 0x318, v11
	s_delay_alu instid0(VALU_DEP_2) | instskip(NEXT) | instid1(VALU_DEP_1)
	v_mov_b32_e32 v4, v18
	v_mad_u64_u32 v[18:19], null, 0x180, s25, v[4:5]
	v_add_nc_u32_e32 v4, 0x3180, v16
	global_load_b128 v[17:20], v[17:18], off
	s_waitcnt vmcnt(0)
	ds_store_2addr_b64 v4, v[17:18], v[19:20] offset1:1
.LBB126_89:
	s_or_b32 exec_lo, exec_lo, s4
	v_add_co_u32 v4, s4, v5, v15
	s_delay_alu instid0(VALU_DEP_1) | instskip(NEXT) | instid1(VALU_DEP_2)
	v_add_co_ci_u32_e64 v5, s4, 0, v6, s4
	v_sub_co_u32 v4, s4, v4, s6
	s_delay_alu instid0(VALU_DEP_1) | instskip(NEXT) | instid1(VALU_DEP_2)
	v_subrev_co_ci_u32_e64 v5, s4, s7, v5, s4
	v_add_co_u32 v4, s4, 0x210, v4
	s_delay_alu instid0(VALU_DEP_1) | instskip(SKIP_1) | instid1(VALU_DEP_2)
	v_add_co_ci_u32_e64 v5, s4, 0, v5, s4
	v_add_nc_u32_e32 v6, 0x108, v11
	v_dual_cndmask_b32 v40, v4, v40 :: v_dual_cndmask_b32 v41, v5, v41
	v_add_nc_u32_e32 v5, 0x210, v11
.LBB126_90:
	v_lshlrev_b32_e32 v4, 4, v9
	v_lshlrev_b32_e32 v9, 4, v11
	s_waitcnt lgkmcnt(0)
	s_barrier
	buffer_gl0_inv
	ds_load_b128 v[15:18], v4 offset:18176
	ds_load_b128 v[19:22], v9
	v_lshlrev_b32_e32 v4, 4, v7
	v_lshlrev_b32_e32 v6, 4, v6
	;; [unrolled: 1-line block ×3, first 2 shown]
	s_waitcnt lgkmcnt(0)
	v_mul_f64 v[29:30], v[17:18], v[21:22]
	v_mul_f64 v[31:32], v[15:16], v[21:22]
	ds_load_b128 v[21:24], v4 offset:18176
	ds_load_b128 v[25:28], v6
	v_lshlrev_b32_e32 v4, 4, v8
	v_lshlrev_b32_e32 v8, 4, v5
	s_waitcnt lgkmcnt(0)
	v_mul_f64 v[33:34], v[23:24], v[27:28]
	v_mul_f64 v[27:28], v[21:22], v[27:28]
	v_fma_f64 v[29:30], v[15:16], v[19:20], -v[29:30]
	v_fma_f64 v[19:20], v[17:18], v[19:20], v[31:32]
	ds_load_b128 v[4:7], v4 offset:18176
	ds_load_b128 v[15:18], v8
	v_lshlrev_b32_e32 v8, 4, v10
	s_waitcnt lgkmcnt(0)
	v_mul_f64 v[31:32], v[6:7], v[17:18]
	v_mul_f64 v[46:47], v[4:5], v[17:18]
	v_fma_f64 v[21:22], v[21:22], v[25:26], -v[33:34]
	v_fma_f64 v[23:24], v[23:24], v[25:26], v[27:28]
	v_add_f64 v[25:26], v[29:30], 0
	v_add_f64 v[27:28], v[19:20], 0
	ds_load_b128 v[8:11], v8 offset:18176
	ds_load_b128 v[17:20], v14
	s_waitcnt lgkmcnt(0)
	v_mul_f64 v[29:30], v[10:11], v[19:20]
	v_mul_f64 v[19:20], v[8:9], v[19:20]
	v_fma_f64 v[4:5], v[4:5], v[15:16], -v[31:32]
	v_fma_f64 v[6:7], v[6:7], v[15:16], v[46:47]
	v_add_f64 v[14:15], v[25:26], v[21:22]
	v_add_f64 v[21:22], v[27:28], v[23:24]
	v_fma_f64 v[8:9], v[8:9], v[17:18], -v[29:30]
	v_fma_f64 v[10:11], v[10:11], v[17:18], v[19:20]
	s_delay_alu instid0(VALU_DEP_4) | instskip(NEXT) | instid1(VALU_DEP_4)
	v_add_f64 v[4:5], v[14:15], v[4:5]
	v_add_f64 v[6:7], v[21:22], v[6:7]
	s_delay_alu instid0(VALU_DEP_2) | instskip(NEXT) | instid1(VALU_DEP_2)
	v_add_f64 v[46:47], v[4:5], v[8:9]
	v_add_f64 v[48:49], v[6:7], v[10:11]
	ds_load_b128 v[28:31], v12
	ds_load_b128 v[20:23], v12 offset:16
	ds_load_b128 v[8:11], v12 offset:32
	;; [unrolled: 1-line block ×7, first 2 shown]
	s_waitcnt lgkmcnt(0)
	s_barrier
	buffer_gl0_inv
	ds_store_b128 v45, v[46:49]
	s_waitcnt lgkmcnt(0)
	s_barrier
	buffer_gl0_inv
	s_and_saveexec_b32 s4, s3
	s_cbranch_execz .LBB126_92
; %bb.91:
	v_lshlrev_b32_e32 v54, 4, v44
	ds_load_b128 v[46:49], v54
	ds_load_b128 v[50:53], v54 offset:16
	s_waitcnt lgkmcnt(1)
	v_add_f64 v[0:1], v[0:1], v[46:47]
	v_add_f64 v[2:3], v[2:3], v[48:49]
	s_waitcnt lgkmcnt(0)
	s_delay_alu instid0(VALU_DEP_2) | instskip(NEXT) | instid1(VALU_DEP_2)
	v_add_f64 v[50:51], v[0:1], v[50:51]
	v_add_f64 v[52:53], v[2:3], v[52:53]
	ds_load_b128 v[0:3], v54 offset:32
	ds_load_b128 v[46:49], v54 offset:48
	s_waitcnt lgkmcnt(1)
	v_add_f64 v[0:1], v[50:51], v[0:1]
	v_add_f64 v[2:3], v[52:53], v[2:3]
	s_waitcnt lgkmcnt(0)
	s_delay_alu instid0(VALU_DEP_2) | instskip(NEXT) | instid1(VALU_DEP_2)
	v_add_f64 v[50:51], v[0:1], v[46:47]
	v_add_f64 v[52:53], v[2:3], v[48:49]
	ds_load_b128 v[0:3], v54 offset:64
	;; [unrolled: 9-line block ×3, first 2 shown]
	ds_load_b128 v[46:49], v54 offset:112
	s_waitcnt lgkmcnt(1)
	v_add_f64 v[0:1], v[50:51], v[0:1]
	v_add_f64 v[2:3], v[52:53], v[2:3]
	s_waitcnt lgkmcnt(0)
	s_delay_alu instid0(VALU_DEP_2) | instskip(NEXT) | instid1(VALU_DEP_2)
	v_add_f64 v[0:1], v[0:1], v[46:47]
	v_add_f64 v[2:3], v[2:3], v[48:49]
.LBB126_92:
	s_or_b32 exec_lo, exec_lo, s4
	v_mul_f64 v[46:47], v[30:31], v[34:35]
	v_mul_f64 v[34:35], v[28:29], v[34:35]
	;; [unrolled: 1-line block ×4, first 2 shown]
	s_barrier
	buffer_gl0_inv
	v_fma_f64 v[28:29], v[28:29], v[32:33], -v[46:47]
	v_fma_f64 v[30:31], v[30:31], v[32:33], v[34:35]
	v_mul_f64 v[32:33], v[10:11], v[18:19]
	v_mul_f64 v[18:19], v[8:9], v[18:19]
	v_fma_f64 v[20:21], v[20:21], v[24:25], -v[48:49]
	v_fma_f64 v[22:23], v[22:23], v[24:25], v[26:27]
	v_add_f64 v[24:25], v[28:29], 0
	v_add_f64 v[26:27], v[30:31], 0
	v_mul_f64 v[28:29], v[6:7], v[14:15]
	v_mul_f64 v[14:15], v[4:5], v[14:15]
	v_fma_f64 v[8:9], v[8:9], v[16:17], -v[32:33]
	v_fma_f64 v[10:11], v[10:11], v[16:17], v[18:19]
	v_add_f64 v[16:17], v[24:25], v[20:21]
	v_add_f64 v[18:19], v[26:27], v[22:23]
	v_fma_f64 v[4:5], v[4:5], v[12:13], -v[28:29]
	v_fma_f64 v[6:7], v[6:7], v[12:13], v[14:15]
	s_delay_alu instid0(VALU_DEP_4) | instskip(NEXT) | instid1(VALU_DEP_4)
	v_add_f64 v[8:9], v[16:17], v[8:9]
	v_add_f64 v[10:11], v[18:19], v[10:11]
	s_delay_alu instid0(VALU_DEP_2) | instskip(NEXT) | instid1(VALU_DEP_2)
	v_add_f64 v[4:5], v[8:9], v[4:5]
	v_add_f64 v[6:7], v[10:11], v[6:7]
	ds_store_b128 v45, v[4:7]
	s_waitcnt lgkmcnt(0)
	s_barrier
	buffer_gl0_inv
	s_and_saveexec_b32 s3, s2
	s_cbranch_execz .LBB126_94
; %bb.93:
	v_lshlrev_b32_e32 v12, 4, v44
	ds_load_b128 v[4:7], v12
	ds_load_b128 v[8:11], v12 offset:16
	s_waitcnt lgkmcnt(1)
	v_add_f64 v[0:1], v[0:1], v[4:5]
	v_add_f64 v[2:3], v[2:3], v[6:7]
	s_waitcnt lgkmcnt(0)
	s_delay_alu instid0(VALU_DEP_2) | instskip(NEXT) | instid1(VALU_DEP_2)
	v_add_f64 v[8:9], v[0:1], v[8:9]
	v_add_f64 v[10:11], v[2:3], v[10:11]
	ds_load_b128 v[0:3], v12 offset:32
	ds_load_b128 v[4:7], v12 offset:48
	s_waitcnt lgkmcnt(1)
	v_add_f64 v[0:1], v[8:9], v[0:1]
	v_add_f64 v[2:3], v[10:11], v[2:3]
	s_waitcnt lgkmcnt(0)
	s_delay_alu instid0(VALU_DEP_2) | instskip(NEXT) | instid1(VALU_DEP_2)
	v_add_f64 v[8:9], v[0:1], v[4:5]
	v_add_f64 v[10:11], v[2:3], v[6:7]
	ds_load_b128 v[0:3], v12 offset:64
	;; [unrolled: 9-line block ×3, first 2 shown]
	ds_load_b128 v[4:7], v12 offset:112
	s_waitcnt lgkmcnt(1)
	v_add_f64 v[0:1], v[8:9], v[0:1]
	v_add_f64 v[2:3], v[10:11], v[2:3]
	s_waitcnt lgkmcnt(0)
	s_delay_alu instid0(VALU_DEP_2) | instskip(NEXT) | instid1(VALU_DEP_2)
	v_add_f64 v[0:1], v[0:1], v[4:5]
	v_add_f64 v[2:3], v[2:3], v[6:7]
.LBB126_94:
	s_or_b32 exec_lo, exec_lo, s3
	s_mul_hi_u32 s2, s33, s15
	s_mul_i32 s29, s29, s15
	s_mul_i32 s3, s33, s15
	s_add_i32 s2, s2, s29
	s_mul_hi_u32 s5, s3, s28
	s_mul_i32 s4, s2, s28
	s_mul_i32 s2, s3, s28
	s_add_i32 s3, s5, s4
	s_mul_i32 s4, s14, s33
	s_lshl_b64 s[2:3], s[2:3], 4
	v_cmp_le_i32_e32 vcc_lo, s12, v42
	s_add_u32 s6, s8, s2
	s_addc_u32 s7, s9, s3
	s_ashr_i32 s5, s4, 31
	v_lshlrev_b32_e32 v139, 4, v42
	s_lshl_b64 s[2:3], s[4:5], 4
	s_delay_alu instid0(SALU_CYCLE_1)
	s_add_u32 s6, s6, s2
	s_addc_u32 s7, s7, s3
	s_and_b32 vcc_lo, s20, vcc_lo
	s_cmp_lt_i32 s14, 1
	s_barrier
	buffer_gl0_inv
	s_cbranch_scc1 .LBB126_101
; %bb.95:
	v_lshlrev_b32_e32 v8, 2, v138
	s_ashr_i32 s13, s12, 31
	v_mov_b32_e32 v135, 0
	s_lshl_b64 s[8:9], s[12:13], 4
	s_mul_i32 s3, s10, s37
	v_mad_u64_u32 v[4:5], null, v8, s24, 0
	s_mul_hi_u32 s5, s10, s36
	s_mul_i32 s11, s11, s36
	s_add_i32 s3, s5, s3
	s_mul_i32 s4, s10, s36
	s_add_i32 s5, s3, s11
	v_or_b32_e32 v10, 0xf0, v139
	s_delay_alu instid0(VALU_DEP_2) | instskip(SKIP_1) | instid1(VALU_DEP_1)
	v_mad_u64_u32 v[6:7], null, v8, s25, v[5:6]
	v_sub_co_u32 v8, s2, v40, s16
	v_subrev_co_ci_u32_e64 v9, s2, s17, v41, s2
	s_lshl_b64 s[4:5], s[4:5], 4
	s_delay_alu instid0(VALU_DEP_2) | instskip(NEXT) | instid1(VALU_DEP_4)
	v_sub_co_u32 v8, s2, v8, v38
	v_dual_mov_b32 v5, v6 :: v_dual_and_b32 v6, 48, v42
	s_delay_alu instid0(VALU_DEP_3) | instskip(SKIP_1) | instid1(VALU_DEP_3)
	v_sub_co_ci_u32_e64 v9, s2, v9, v39, s2
	v_add_nc_u32_e32 v142, 0x4300, v139
	v_lshlrev_b64 v[4:5], 4, v[4:5]
	v_add_nc_u32_e32 v143, 0x4700, v139
	v_lshl_add_u32 v147, v138, 6, 0x4300
	v_mad_u32_u24 v148, 0x10c0, v138, v139
	s_mul_i32 s3, s25, 0xd0
	s_mov_b32 s10, 0
	v_add_co_u32 v4, s2, v8, v4
	s_delay_alu instid0(VALU_DEP_1) | instskip(NEXT) | instid1(VALU_DEP_2)
	v_add_co_ci_u32_e64 v5, s2, v9, v5, s2
	v_add_co_u32 v8, s2, v4, s8
	s_delay_alu instid0(VALU_DEP_1) | instskip(SKIP_1) | instid1(VALU_DEP_1)
	v_add_co_ci_u32_e64 v9, s2, s9, v5, s2
	v_add_co_u32 v4, s2, v4, v139
	v_add_co_ci_u32_e64 v5, s2, 0, v5, s2
	s_delay_alu instid0(VALU_DEP_4) | instskip(NEXT) | instid1(VALU_DEP_1)
	v_add_co_u32 v8, s2, 0xfffffdf0, v8
	v_add_co_ci_u32_e64 v9, s2, -1, v9, s2
	s_delay_alu instid0(VALU_DEP_4) | instskip(NEXT) | instid1(VALU_DEP_1)
	v_add_co_u32 v4, s2, 0xfffffe00, v4
	v_add_co_ci_u32_e64 v5, s2, -1, v5, s2
	s_delay_alu instid0(VALU_DEP_2) | instskip(NEXT) | instid1(VALU_DEP_2)
	v_dual_cndmask_b32 v4, v4, v8 :: v_dual_and_b32 v7, 15, v42
	v_dual_cndmask_b32 v5, v5, v9 :: v_dual_lshlrev_b32 v8, 2, v43
	v_lshlrev_b32_e32 v9, 4, v6
	v_sub_co_u32 v140, s2, v36, s4
	s_delay_alu instid0(VALU_DEP_3) | instskip(SKIP_1) | instid1(VALU_DEP_4)
	v_and_b32_e32 v8, 0x7ffc0, v8
	v_subrev_co_ci_u32_e64 v141, s2, s5, v37, s2
	v_mad_u32_u24 v144, 0x430, v7, v9
	v_and_b32_e32 v9, 0x1fff0, v43
	v_cmp_gt_u32_e64 s2, 64, v43
	v_mad_u32_u24 v145, 0x430, v7, v10
	v_mad_u32_u24 v146, 0x430, v7, v8
	v_or_b32_e32 v150, v6, v7
	v_mad_u32_u24 v149, 0x430, v7, v9
	s_mul_hi_u32 s8, s24, 0xd0
	s_lshl_b64 s[4:5], s[24:25], 4
	s_add_i32 s8, s8, s3
	s_mul_i32 s9, s24, 0xd0
	s_branch .LBB126_97
.LBB126_96:                             ;   in Loop: Header=BB126_97 Depth=1
	s_or_b32 exec_lo, exec_lo, s11
	v_mul_f64 v[151:152], v[10:11], v[38:39]
	v_mul_f64 v[38:39], v[8:9], v[38:39]
	;; [unrolled: 1-line block ×4, first 2 shown]
	s_add_i32 s14, s14, -1
	s_add_i32 s10, s10, 64
	s_cmp_eq_u32 s14, 0
	s_waitcnt_vscnt null, 0x0
	s_barrier
	buffer_gl0_inv
	v_fma_f64 v[8:9], v[8:9], v[36:37], -v[151:152]
	v_fma_f64 v[10:11], v[10:11], v[36:37], v[38:39]
	v_mul_f64 v[36:37], v[14:15], v[46:47]
	v_mul_f64 v[38:39], v[12:13], v[46:47]
	v_fma_f64 v[16:17], v[16:17], v[48:49], -v[153:154]
	v_fma_f64 v[18:19], v[18:19], v[48:49], v[50:51]
	v_add_f64 v[0:1], v[0:1], v[8:9]
	v_add_f64 v[2:3], v[2:3], v[10:11]
	v_mul_f64 v[8:9], v[6:7], v[42:43]
	v_mul_f64 v[10:11], v[4:5], v[42:43]
	v_fma_f64 v[12:13], v[12:13], v[44:45], -v[36:37]
	v_fma_f64 v[14:15], v[14:15], v[44:45], v[38:39]
	v_add_f64 v[0:1], v[0:1], v[16:17]
	v_add_f64 v[2:3], v[2:3], v[18:19]
	v_mul_f64 v[16:17], v[34:35], v[74:75]
	v_mul_f64 v[18:19], v[32:33], v[74:75]
	v_fma_f64 v[4:5], v[4:5], v[40:41], -v[8:9]
	v_fma_f64 v[6:7], v[6:7], v[40:41], v[10:11]
	v_mul_f64 v[8:9], v[30:31], v[82:83]
	v_mul_f64 v[10:11], v[28:29], v[82:83]
	v_add_f64 v[0:1], v[0:1], v[12:13]
	v_add_f64 v[2:3], v[2:3], v[14:15]
	v_fma_f64 v[12:13], v[32:33], v[72:73], -v[16:17]
	v_fma_f64 v[14:15], v[34:35], v[72:73], v[18:19]
	v_fma_f64 v[8:9], v[28:29], v[80:81], -v[8:9]
	v_fma_f64 v[10:11], v[30:31], v[80:81], v[10:11]
	v_add_f64 v[0:1], v[0:1], v[4:5]
	v_add_f64 v[2:3], v[2:3], v[6:7]
	v_mul_f64 v[4:5], v[26:27], v[78:79]
	v_mul_f64 v[6:7], v[24:25], v[78:79]
	s_delay_alu instid0(VALU_DEP_4) | instskip(NEXT) | instid1(VALU_DEP_4)
	v_add_f64 v[0:1], v[0:1], v[12:13]
	v_add_f64 v[2:3], v[2:3], v[14:15]
	v_mul_f64 v[12:13], v[22:23], v[70:71]
	v_mul_f64 v[14:15], v[20:21], v[70:71]
	v_fma_f64 v[4:5], v[24:25], v[76:77], -v[4:5]
	v_fma_f64 v[6:7], v[26:27], v[76:77], v[6:7]
	v_add_f64 v[0:1], v[0:1], v[8:9]
	v_add_f64 v[2:3], v[2:3], v[10:11]
	v_mul_f64 v[8:9], v[66:67], v[102:103]
	v_mul_f64 v[10:11], v[64:65], v[102:103]
	v_fma_f64 v[12:13], v[20:21], v[68:69], -v[12:13]
	v_fma_f64 v[14:15], v[22:23], v[68:69], v[14:15]
	;; [unrolled: 6-line block ×9, first 2 shown]
	v_add_f64 v[0:1], v[0:1], v[12:13]
	v_add_f64 v[2:3], v[2:3], v[14:15]
	v_fma_f64 v[4:5], v[104:105], v[120:121], -v[4:5]
	v_fma_f64 v[6:7], v[106:107], v[120:121], v[6:7]
	s_delay_alu instid0(VALU_DEP_4) | instskip(NEXT) | instid1(VALU_DEP_4)
	v_add_f64 v[0:1], v[0:1], v[8:9]
	v_add_f64 v[2:3], v[2:3], v[10:11]
	s_delay_alu instid0(VALU_DEP_2) | instskip(NEXT) | instid1(VALU_DEP_2)
	v_add_f64 v[0:1], v[0:1], v[4:5]
	v_add_f64 v[2:3], v[2:3], v[6:7]
	v_add_co_u32 v4, s3, v136, s9
	s_delay_alu instid0(VALU_DEP_1)
	v_add_co_ci_u32_e64 v5, s3, s8, v137, s3
	s_cbranch_scc1 .LBB126_101
.LBB126_97:                             ; =>This Inner Loop Header: Depth=1
	s_and_saveexec_b32 s11, s1
	s_cbranch_execz .LBB126_99
; %bb.98:                               ;   in Loop: Header=BB126_97 Depth=1
	s_mul_i32 s3, s10, s37
	s_mul_hi_u32 s13, s10, s36
	s_mul_i32 s12, s10, s36
	s_add_i32 s13, s13, s3
	s_delay_alu instid0(SALU_CYCLE_1) | instskip(NEXT) | instid1(SALU_CYCLE_1)
	s_lshl_b64 s[12:13], s[12:13], 4
	v_add_co_u32 v6, s3, v140, s12
	s_delay_alu instid0(VALU_DEP_1)
	v_add_co_ci_u32_e64 v7, s3, s13, v141, s3
	global_load_b128 v[6:9], v[6:7], off
	s_waitcnt vmcnt(0)
	ds_store_2addr_b64 v142, v[6:7], v[8:9] offset1:1
.LBB126_99:                             ;   in Loop: Header=BB126_97 Depth=1
	s_or_b32 exec_lo, exec_lo, s11
	v_add_co_u32 v6, s3, v4, s4
	s_delay_alu instid0(VALU_DEP_1) | instskip(SKIP_1) | instid1(VALU_DEP_2)
	v_add_co_ci_u32_e64 v7, s3, s5, v5, s3
	s_waitcnt lgkmcnt(0)
	v_add_co_u32 v12, s3, v6, s4
	s_delay_alu instid0(VALU_DEP_1) | instskip(SKIP_1) | instid1(VALU_DEP_2)
	v_add_co_ci_u32_e64 v13, s3, s5, v7, s3
	s_barrier
	v_add_co_u32 v34, s3, v12, s4
	buffer_gl0_inv
	global_load_b128 v[8:11], v[4:5], off
	v_add_co_ci_u32_e64 v35, s3, s5, v13, s3
	s_clause 0x2
	global_load_b128 v[16:19], v[6:7], off
	global_load_b128 v[12:15], v[12:13], off
	;; [unrolled: 1-line block ×3, first 2 shown]
	ds_load_b128 v[20:23], v143
	s_waitcnt vmcnt(3) lgkmcnt(0)
	v_mul_f64 v[24:25], v[10:11], v[22:23]
	v_mul_f64 v[26:27], v[8:9], v[22:23]
	s_waitcnt vmcnt(2)
	v_mul_f64 v[28:29], v[18:19], v[22:23]
	v_mul_f64 v[30:31], v[16:17], v[22:23]
	s_waitcnt vmcnt(1)
	;; [unrolled: 3-line block ×3, first 2 shown]
	v_mul_f64 v[38:39], v[6:7], v[22:23]
	v_mul_f64 v[40:41], v[4:5], v[22:23]
	v_fma_f64 v[22:23], v[8:9], v[20:21], -v[24:25]
	v_fma_f64 v[24:25], v[10:11], v[20:21], v[26:27]
	v_fma_f64 v[26:27], v[16:17], v[20:21], -v[28:29]
	v_fma_f64 v[28:29], v[18:19], v[20:21], v[30:31]
	;; [unrolled: 2-line block ×4, first 2 shown]
	v_add_co_u32 v20, s3, v34, s9
	s_delay_alu instid0(VALU_DEP_1) | instskip(SKIP_2) | instid1(VALU_DEP_1)
	v_add_co_ci_u32_e64 v21, s3, s8, v35, s3
	ds_load_b128 v[36:39], v147
	v_add_co_u32 v56, s3, v20, s4
	v_add_co_ci_u32_e64 v57, s3, s5, v21, s3
	s_delay_alu instid0(VALU_DEP_2) | instskip(NEXT) | instid1(VALU_DEP_1)
	v_add_co_u32 v58, s3, v56, s4
	v_add_co_ci_u32_e64 v59, s3, s5, v57, s3
	s_delay_alu instid0(VALU_DEP_2) | instskip(NEXT) | instid1(VALU_DEP_1)
	v_add_co_u32 v66, s3, v58, s4
	v_add_co_ci_u32_e64 v67, s3, s5, v59, s3
	ds_store_b128 v148, v[22:25]
	ds_load_b128 v[48:51], v147 offset:16
	ds_store_b128 v148, v[26:29] offset:1072
	ds_load_b128 v[44:47], v147 offset:32
	ds_store_b128 v148, v[30:33] offset:2144
	;; [unrolled: 2-line block ×3, first 2 shown]
	s_waitcnt lgkmcnt(0)
	s_barrier
	buffer_gl0_inv
	ds_load_b128 v[84:87], v146
	ds_load_b128 v[88:91], v146 offset:16
	ds_load_b128 v[116:119], v146 offset:32
	;; [unrolled: 1-line block ×3, first 2 shown]
	s_waitcnt lgkmcnt(0)
	s_barrier
	buffer_gl0_inv
	s_clause 0x2
	global_load_b128 v[32:35], v[20:21], off
	global_load_b128 v[28:31], v[56:57], off
	;; [unrolled: 1-line block ×4, first 2 shown]
	ds_load_b128 v[52:55], v143
	v_add_f64 v[159:160], v[84:85], 0
	v_add_f64 v[161:162], v[86:87], 0
	s_delay_alu instid0(VALU_DEP_2) | instskip(NEXT) | instid1(VALU_DEP_2)
	v_add_f64 v[169:170], v[159:160], v[88:89]
	v_add_f64 v[171:172], v[161:162], v[90:91]
	s_waitcnt vmcnt(2) lgkmcnt(0)
	v_mul_f64 v[60:61], v[30:31], v[54:55]
	v_mul_f64 v[56:57], v[34:35], v[54:55]
	;; [unrolled: 1-line block ×4, first 2 shown]
	s_waitcnt vmcnt(1)
	v_mul_f64 v[64:65], v[26:27], v[54:55]
	v_mul_f64 v[68:69], v[24:25], v[54:55]
	s_waitcnt vmcnt(0)
	v_mul_f64 v[70:71], v[22:23], v[54:55]
	v_mul_f64 v[72:73], v[20:21], v[54:55]
	v_fma_f64 v[54:55], v[32:33], v[52:53], -v[56:57]
	v_fma_f64 v[56:57], v[34:35], v[52:53], v[58:59]
	v_fma_f64 v[58:59], v[28:29], v[52:53], -v[60:61]
	v_fma_f64 v[60:61], v[30:31], v[52:53], v[62:63]
	;; [unrolled: 2-line block ×4, first 2 shown]
	v_add_co_u32 v52, s3, v66, s9
	s_delay_alu instid0(VALU_DEP_1) | instskip(SKIP_2) | instid1(VALU_DEP_1)
	v_add_co_ci_u32_e64 v53, s3, s8, v67, s3
	ds_load_b128 v[72:75], v147 offset:256
	v_add_co_u32 v96, s3, v52, s4
	v_add_co_ci_u32_e64 v97, s3, s5, v53, s3
	s_delay_alu instid0(VALU_DEP_2) | instskip(NEXT) | instid1(VALU_DEP_1)
	v_add_co_u32 v98, s3, v96, s4
	v_add_co_ci_u32_e64 v99, s3, s5, v97, s3
	s_delay_alu instid0(VALU_DEP_2) | instskip(NEXT) | instid1(VALU_DEP_1)
	v_add_co_u32 v100, s3, v98, s4
	v_add_co_ci_u32_e64 v101, s3, s5, v99, s3
	ds_store_b128 v148, v[54:57]
	ds_load_b128 v[80:83], v147 offset:272
	ds_store_b128 v148, v[58:61] offset:1072
	ds_load_b128 v[76:79], v147 offset:288
	ds_store_b128 v148, v[62:65] offset:2144
	;; [unrolled: 2-line block ×3, first 2 shown]
	s_waitcnt lgkmcnt(0)
	s_barrier
	buffer_gl0_inv
	ds_load_b128 v[92:95], v146
	ds_load_b128 v[120:123], v146 offset:16
	ds_load_b128 v[124:127], v146 offset:32
	;; [unrolled: 1-line block ×3, first 2 shown]
	s_waitcnt lgkmcnt(0)
	s_barrier
	buffer_gl0_inv
	global_load_b128 v[64:67], v[52:53], off
	global_load_b128 v[60:63], v[96:97], off
	;; [unrolled: 1-line block ×4, first 2 shown]
	ds_load_b128 v[96:99], v143
	v_add_f64 v[92:93], v[92:93], 0
	v_add_f64 v[94:95], v[94:95], 0
	s_delay_alu instid0(VALU_DEP_2) | instskip(NEXT) | instid1(VALU_DEP_2)
	v_add_f64 v[120:121], v[92:93], v[120:121]
	v_add_f64 v[122:123], v[94:95], v[122:123]
	s_delay_alu instid0(VALU_DEP_2) | instskip(NEXT) | instid1(VALU_DEP_2)
	v_add_f64 v[120:121], v[120:121], v[124:125]
	v_add_f64 v[122:123], v[122:123], v[126:127]
	s_delay_alu instid0(VALU_DEP_1)
	v_add_f64 v[173:174], v[122:123], v[130:131]
	s_waitcnt vmcnt(2) lgkmcnt(0)
	v_mul_f64 v[110:111], v[62:63], v[98:99]
	v_mul_f64 v[102:103], v[66:67], v[98:99]
	v_mul_f64 v[108:109], v[64:65], v[98:99]
	v_mul_f64 v[112:113], v[60:61], v[98:99]
	s_waitcnt vmcnt(1)
	v_mul_f64 v[114:115], v[58:59], v[98:99]
	v_mul_f64 v[136:137], v[56:57], v[98:99]
	s_waitcnt vmcnt(0)
	v_mul_f64 v[155:156], v[54:55], v[98:99]
	v_mul_f64 v[98:99], v[52:53], v[98:99]
	v_fma_f64 v[84:85], v[64:65], v[96:97], -v[102:103]
	v_fma_f64 v[86:87], v[66:67], v[96:97], v[108:109]
	v_fma_f64 v[108:109], v[60:61], v[96:97], -v[110:111]
	v_fma_f64 v[110:111], v[62:63], v[96:97], v[112:113]
	;; [unrolled: 2-line block ×4, first 2 shown]
	v_add_co_u32 v136, s3, v100, s9
	s_delay_alu instid0(VALU_DEP_1) | instskip(SKIP_2) | instid1(VALU_DEP_1)
	v_add_co_ci_u32_e64 v137, s3, s8, v101, s3
	ds_load_b128 v[100:103], v147 offset:512
	v_add_co_u32 v167, s3, v136, s4
	v_add_co_ci_u32_e64 v168, s3, s5, v137, s3
	s_delay_alu instid0(VALU_DEP_2) | instskip(NEXT) | instid1(VALU_DEP_1)
	v_add_co_u32 v175, s3, v167, s4
	v_add_co_ci_u32_e64 v176, s3, s5, v168, s3
	ds_store_b128 v148, v[84:87]
	ds_load_b128 v[112:115], v147 offset:528
	ds_store_b128 v148, v[108:111] offset:1072
	ds_load_b128 v[108:111], v147 offset:544
	ds_store_b128 v148, v[151:154] offset:2144
	;; [unrolled: 2-line block ×3, first 2 shown]
	s_waitcnt lgkmcnt(0)
	s_barrier
	buffer_gl0_inv
	ds_load_b128 v[151:154], v146
	ds_load_b128 v[155:158], v146 offset:16
	ds_load_b128 v[159:162], v146 offset:32
	;; [unrolled: 1-line block ×3, first 2 shown]
	s_waitcnt lgkmcnt(0)
	s_barrier
	buffer_gl0_inv
	global_load_b128 v[88:91], v[136:137], off
	v_add_f64 v[136:137], v[169:170], v[116:117]
	v_add_f64 v[169:170], v[171:172], v[118:119]
	ds_load_b128 v[116:119], v143
	global_load_b128 v[84:87], v[167:168], off
	global_load_b128 v[92:95], v[175:176], off
	v_add_f64 v[171:172], v[120:121], v[128:129]
	v_add_f64 v[167:168], v[136:137], v[104:105]
	;; [unrolled: 1-line block ×3, first 2 shown]
	v_add_co_u32 v136, s3, v175, s4
	s_delay_alu instid0(VALU_DEP_1)
	v_add_co_ci_u32_e64 v137, s3, s5, v176, s3
	s_waitcnt vmcnt(2) lgkmcnt(0)
	v_mul_f64 v[104:105], v[90:91], v[118:119]
	v_mul_f64 v[106:107], v[88:89], v[118:119]
	s_waitcnt vmcnt(1)
	v_mul_f64 v[124:125], v[86:87], v[118:119]
	s_waitcnt vmcnt(0)
	v_mul_f64 v[128:129], v[94:95], v[118:119]
	v_mul_f64 v[126:127], v[84:85], v[118:119]
	;; [unrolled: 1-line block ×3, first 2 shown]
	v_fma_f64 v[120:121], v[88:89], v[116:117], -v[104:105]
	v_fma_f64 v[122:123], v[90:91], v[116:117], v[106:107]
	global_load_b128 v[104:107], v[136:137], off
	v_fma_f64 v[124:125], v[84:85], v[116:117], -v[124:125]
	v_fma_f64 v[175:176], v[92:93], v[116:117], -v[128:129]
	v_fma_f64 v[126:127], v[86:87], v[116:117], v[126:127]
	v_fma_f64 v[177:178], v[94:95], v[116:117], v[130:131]
	s_waitcnt vmcnt(0)
	v_mul_f64 v[128:129], v[106:107], v[118:119]
	v_mul_f64 v[118:119], v[104:105], v[118:119]
	s_delay_alu instid0(VALU_DEP_2) | instskip(NEXT) | instid1(VALU_DEP_2)
	v_fma_f64 v[179:180], v[104:105], v[116:117], -v[128:129]
	v_fma_f64 v[181:182], v[106:107], v[116:117], v[118:119]
	v_add_f64 v[116:117], v[151:152], 0
	v_add_f64 v[118:119], v[153:154], 0
	s_delay_alu instid0(VALU_DEP_2) | instskip(NEXT) | instid1(VALU_DEP_2)
	v_add_f64 v[155:156], v[116:117], v[155:156]
	v_add_f64 v[157:158], v[118:119], v[157:158]
	ds_load_b128 v[116:119], v147 offset:768
	ds_store_b128 v148, v[120:123]
	ds_load_b128 v[128:131], v147 offset:784
	ds_store_b128 v148, v[124:127] offset:1072
	ds_load_b128 v[124:127], v147 offset:800
	ds_store_b128 v148, v[175:178] offset:2144
	;; [unrolled: 2-line block ×3, first 2 shown]
	s_waitcnt lgkmcnt(0)
	s_barrier
	buffer_gl0_inv
	ds_load_b128 v[151:154], v146
	s_waitcnt lgkmcnt(0)
	v_add_f64 v[175:176], v[151:152], 0
	v_add_f64 v[177:178], v[153:154], 0
	ds_load_b128 v[151:154], v146 offset:16
	v_add_f64 v[155:156], v[155:156], v[159:160]
	v_add_f64 v[157:158], v[157:158], v[161:162]
	s_waitcnt lgkmcnt(0)
	v_add_f64 v[175:176], v[175:176], v[151:152]
	v_add_f64 v[177:178], v[177:178], v[153:154]
	ds_load_b128 v[151:154], v146 offset:32
	s_waitcnt lgkmcnt(0)
	v_add_f64 v[159:160], v[175:176], v[151:152]
	v_add_f64 v[161:162], v[177:178], v[153:154]
	;; [unrolled: 1-line block ×4, first 2 shown]
	ds_load_b128 v[155:158], v146 offset:48
	s_waitcnt lgkmcnt(0)
	s_barrier
	buffer_gl0_inv
	v_add_f64 v[155:156], v[159:160], v[155:156]
	v_add_f64 v[157:158], v[161:162], v[157:158]
	ds_store_b128 v149, v[167:170]
	ds_store_b128 v149, v[171:174] offset:256
	ds_store_b128 v149, v[151:154] offset:512
	;; [unrolled: 1-line block ×3, first 2 shown]
	s_waitcnt lgkmcnt(0)
	s_barrier
	buffer_gl0_inv
	s_and_saveexec_b32 s11, s2
	s_cbranch_execz .LBB126_96
; %bb.100:                              ;   in Loop: Header=BB126_97 Depth=1
	ds_load_b128 v[151:154], v144
	ds_load_b128 v[155:158], v144 offset:16
	v_add_nc_u32_e32 v134, s10, v150
	s_waitcnt lgkmcnt(0)
	v_add_f64 v[159:160], v[155:156], v[151:152]
	v_add_f64 v[161:162], v[157:158], v[153:154]
	ds_load_b128 v[151:154], v144 offset:32
	ds_load_b128 v[155:158], v144 offset:48
	s_waitcnt lgkmcnt(1)
	v_add_f64 v[151:152], v[159:160], v[151:152]
	v_add_f64 v[153:154], v[161:162], v[153:154]
	s_waitcnt lgkmcnt(0)
	s_delay_alu instid0(VALU_DEP_2) | instskip(NEXT) | instid1(VALU_DEP_2)
	v_add_f64 v[159:160], v[151:152], v[155:156]
	v_add_f64 v[161:162], v[153:154], v[157:158]
	ds_load_b128 v[151:154], v144 offset:64
	ds_load_b128 v[155:158], v144 offset:80
	s_waitcnt lgkmcnt(1)
	v_add_f64 v[151:152], v[159:160], v[151:152]
	v_add_f64 v[153:154], v[161:162], v[153:154]
	s_waitcnt lgkmcnt(0)
	s_delay_alu instid0(VALU_DEP_2) | instskip(NEXT) | instid1(VALU_DEP_2)
	;; [unrolled: 9-line block ×6, first 2 shown]
	v_add_f64 v[159:160], v[151:152], v[155:156]
	v_add_f64 v[161:162], v[153:154], v[157:158]
	ds_load_b128 v[151:154], v144 offset:224
	ds_load_b128 v[155:158], v145
	s_waitcnt lgkmcnt(1)
	v_add_f64 v[151:152], v[159:160], v[151:152]
	v_add_f64 v[153:154], v[161:162], v[153:154]
	s_waitcnt lgkmcnt(0)
	s_delay_alu instid0(VALU_DEP_2) | instskip(NEXT) | instid1(VALU_DEP_2)
	v_add_f64 v[151:152], v[151:152], v[155:156]
	v_add_f64 v[153:154], v[153:154], v[157:158]
	v_lshlrev_b64 v[155:156], 4, v[134:135]
	s_delay_alu instid0(VALU_DEP_1) | instskip(NEXT) | instid1(VALU_DEP_1)
	v_add_co_u32 v155, s3, s6, v155
	v_add_co_ci_u32_e64 v156, s3, s7, v156, s3
	global_store_b128 v[155:156], v[151:154], off
	s_branch .LBB126_96
.LBB126_101:
	v_mad_u32_u24 v4, 0x430, v138, v139
	s_or_b32 s0, s0, vcc_lo
	s_delay_alu instid0(SALU_CYCLE_1)
	s_xor_b32 s0, s0, -1
	ds_store_b128 v4, v[0:3]
	s_waitcnt lgkmcnt(0)
	s_barrier
	buffer_gl0_inv
	s_and_saveexec_b32 s1, s0
	s_cbranch_execz .LBB126_103
; %bb.102:
	ds_load_b128 v[0:3], v139 offset:1072
	ds_load_b128 v[4:7], v139
	s_waitcnt lgkmcnt(0)
	v_add_f64 v[8:9], v[0:1], v[4:5]
	v_add_f64 v[10:11], v[2:3], v[6:7]
	ds_load_b128 v[0:3], v139 offset:2144
	ds_load_b128 v[4:7], v139 offset:3216
	s_waitcnt lgkmcnt(1)
	v_add_f64 v[0:1], v[8:9], v[0:1]
	v_add_f64 v[2:3], v[10:11], v[2:3]
	s_waitcnt lgkmcnt(0)
	s_delay_alu instid0(VALU_DEP_2) | instskip(NEXT) | instid1(VALU_DEP_2)
	v_add_f64 v[0:1], v[0:1], v[4:5]
	v_add_f64 v[2:3], v[2:3], v[6:7]
	v_lshlrev_b64 v[4:5], 4, v[132:133]
	s_delay_alu instid0(VALU_DEP_1) | instskip(NEXT) | instid1(VALU_DEP_2)
	v_add_co_u32 v4, vcc_lo, s6, v4
	v_add_co_ci_u32_e32 v5, vcc_lo, s7, v5, vcc_lo
	global_store_b128 v[4:5], v[0:3], off
.LBB126_103:
	s_nop 0
	s_sendmsg sendmsg(MSG_DEALLOC_VGPRS)
	s_endpgm
	.section	.rodata,"a",@progbits
	.p2align	6, 0x0
	.amdhsa_kernel _ZL26rocblas_hemvn_kernel_lowerILb0ELi64ELi4ELi33ELi32ELi16ElPK19rocblas_complex_numIdES3_PS1_EviT6_lT7_lT5_lS6_lS7_lS5_lT8_i
		.amdhsa_group_segment_fixed_size 19200
		.amdhsa_private_segment_fixed_size 0
		.amdhsa_kernarg_size 376
		.amdhsa_user_sgpr_count 14
		.amdhsa_user_sgpr_dispatch_ptr 0
		.amdhsa_user_sgpr_queue_ptr 0
		.amdhsa_user_sgpr_kernarg_segment_ptr 1
		.amdhsa_user_sgpr_dispatch_id 0
		.amdhsa_user_sgpr_private_segment_size 0
		.amdhsa_wavefront_size32 1
		.amdhsa_uses_dynamic_stack 0
		.amdhsa_enable_private_segment 0
		.amdhsa_system_sgpr_workgroup_id_x 1
		.amdhsa_system_sgpr_workgroup_id_y 0
		.amdhsa_system_sgpr_workgroup_id_z 1
		.amdhsa_system_sgpr_workgroup_info 0
		.amdhsa_system_vgpr_workitem_id 1
		.amdhsa_next_free_vgpr 183
		.amdhsa_next_free_sgpr 44
		.amdhsa_reserve_vcc 1
		.amdhsa_float_round_mode_32 0
		.amdhsa_float_round_mode_16_64 0
		.amdhsa_float_denorm_mode_32 3
		.amdhsa_float_denorm_mode_16_64 3
		.amdhsa_dx10_clamp 1
		.amdhsa_ieee_mode 1
		.amdhsa_fp16_overflow 0
		.amdhsa_workgroup_processor_mode 1
		.amdhsa_memory_ordered 1
		.amdhsa_forward_progress 0
		.amdhsa_shared_vgpr_count 0
		.amdhsa_exception_fp_ieee_invalid_op 0
		.amdhsa_exception_fp_denorm_src 0
		.amdhsa_exception_fp_ieee_div_zero 0
		.amdhsa_exception_fp_ieee_overflow 0
		.amdhsa_exception_fp_ieee_underflow 0
		.amdhsa_exception_fp_ieee_inexact 0
		.amdhsa_exception_int_div_zero 0
	.end_amdhsa_kernel
	.section	.text._ZL26rocblas_hemvn_kernel_lowerILb0ELi64ELi4ELi33ELi32ELi16ElPK19rocblas_complex_numIdES3_PS1_EviT6_lT7_lT5_lS6_lS7_lS5_lT8_i,"axG",@progbits,_ZL26rocblas_hemvn_kernel_lowerILb0ELi64ELi4ELi33ELi32ELi16ElPK19rocblas_complex_numIdES3_PS1_EviT6_lT7_lT5_lS6_lS7_lS5_lT8_i,comdat
.Lfunc_end126:
	.size	_ZL26rocblas_hemvn_kernel_lowerILb0ELi64ELi4ELi33ELi32ELi16ElPK19rocblas_complex_numIdES3_PS1_EviT6_lT7_lT5_lS6_lS7_lS5_lT8_i, .Lfunc_end126-_ZL26rocblas_hemvn_kernel_lowerILb0ELi64ELi4ELi33ELi32ELi16ElPK19rocblas_complex_numIdES3_PS1_EviT6_lT7_lT5_lS6_lS7_lS5_lT8_i
                                        ; -- End function
	.section	.AMDGPU.csdata,"",@progbits
; Kernel info:
; codeLenInByte = 10384
; NumSgprs: 46
; NumVgprs: 183
; ScratchSize: 0
; MemoryBound: 0
; FloatMode: 240
; IeeeMode: 1
; LDSByteSize: 19200 bytes/workgroup (compile time only)
; SGPRBlocks: 5
; VGPRBlocks: 22
; NumSGPRsForWavesPerEU: 46
; NumVGPRsForWavesPerEU: 183
; Occupancy: 8
; WaveLimiterHint : 0
; COMPUTE_PGM_RSRC2:SCRATCH_EN: 0
; COMPUTE_PGM_RSRC2:USER_SGPR: 14
; COMPUTE_PGM_RSRC2:TRAP_HANDLER: 0
; COMPUTE_PGM_RSRC2:TGID_X_EN: 1
; COMPUTE_PGM_RSRC2:TGID_Y_EN: 0
; COMPUTE_PGM_RSRC2:TGID_Z_EN: 1
; COMPUTE_PGM_RSRC2:TIDIG_COMP_CNT: 1
	.section	.text._ZL26rocblas_hemvn_kernel_lowerILb0ELi64ELi4ELi33ELi32ELi16EiPK19rocblas_complex_numIdES3_PS1_EviT6_lT7_lT5_lS6_lS7_lS5_lT8_i,"axG",@progbits,_ZL26rocblas_hemvn_kernel_lowerILb0ELi64ELi4ELi33ELi32ELi16EiPK19rocblas_complex_numIdES3_PS1_EviT6_lT7_lT5_lS6_lS7_lS5_lT8_i,comdat
	.globl	_ZL26rocblas_hemvn_kernel_lowerILb0ELi64ELi4ELi33ELi32ELi16EiPK19rocblas_complex_numIdES3_PS1_EviT6_lT7_lT5_lS6_lS7_lS5_lT8_i ; -- Begin function _ZL26rocblas_hemvn_kernel_lowerILb0ELi64ELi4ELi33ELi32ELi16EiPK19rocblas_complex_numIdES3_PS1_EviT6_lT7_lT5_lS6_lS7_lS5_lT8_i
	.p2align	8
	.type	_ZL26rocblas_hemvn_kernel_lowerILb0ELi64ELi4ELi33ELi32ELi16EiPK19rocblas_complex_numIdES3_PS1_EviT6_lT7_lT5_lS6_lS7_lS5_lT8_i,@function
_ZL26rocblas_hemvn_kernel_lowerILb0ELi64ELi4ELi33ELi32ELi16EiPK19rocblas_complex_numIdES3_PS1_EviT6_lT7_lT5_lS6_lS7_lS5_lT8_i: ; @_ZL26rocblas_hemvn_kernel_lowerILb0ELi64ELi4ELi33ELi32ELi16EiPK19rocblas_complex_numIdES3_PS1_EviT6_lT7_lT5_lS6_lS7_lS5_lT8_i
; %bb.0:
	s_load_b64 s[4:5], s[0:1], 0x84
	s_add_u32 s2, s0, 0x78
	s_addc_u32 s3, s1, 0
	s_waitcnt lgkmcnt(0)
	s_lshr_b32 s6, s4, 16
	s_and_b32 s4, s4, 0xffff
	s_and_b32 s5, s5, 0xffff
	s_mul_i32 s4, s6, s4
	s_delay_alu instid0(SALU_CYCLE_1) | instskip(NEXT) | instid1(SALU_CYCLE_1)
	s_mul_i32 s4, s4, s5
	s_cmpk_lg_i32 s4, 0x100
	s_cbranch_scc1 .LBB127_103
; %bb.1:
	s_load_b256 s[16:23], s[0:1], 0x8
	s_waitcnt lgkmcnt(0)
	s_mul_i32 s5, s15, s19
	s_mul_hi_u32 s6, s15, s18
	s_mul_i32 s4, s15, s18
	s_add_i32 s5, s6, s5
	s_delay_alu instid0(SALU_CYCLE_1) | instskip(NEXT) | instid1(SALU_CYCLE_1)
	s_lshl_b64 s[4:5], s[4:5], 4
	s_add_u32 s4, s16, s4
	s_addc_u32 s5, s17, s5
	s_load_b128 s[4:7], s[4:5], 0x0
	s_waitcnt lgkmcnt(0)
	v_cmp_neq_f64_e64 s12, s[4:5], 0
	v_cmp_neq_f64_e64 s13, s[6:7], 0
	s_load_b256 s[4:11], s[0:1], 0x50
	s_delay_alu instid0(VALU_DEP_1)
	s_or_b32 s12, s12, s13
	s_mov_b32 s13, -1
	s_and_b32 vcc_lo, exec_lo, s12
	s_cbranch_vccnz .LBB127_3
; %bb.2:
	s_waitcnt lgkmcnt(0)
	s_mul_i32 s9, s15, s9
	s_mul_hi_u32 s13, s15, s8
	s_mul_i32 s8, s15, s8
	s_add_i32 s9, s13, s9
	s_delay_alu instid0(SALU_CYCLE_1) | instskip(NEXT) | instid1(SALU_CYCLE_1)
	s_lshl_b64 s[8:9], s[8:9], 4
	s_add_u32 s6, s6, s8
	s_addc_u32 s7, s7, s9
	s_load_b128 s[16:19], s[6:7], 0x0
	s_waitcnt lgkmcnt(0)
	v_cmp_neq_f64_e64 s6, s[16:17], 1.0
	v_cmp_neq_f64_e64 s7, s[18:19], 0
	s_delay_alu instid0(VALU_DEP_1)
	s_or_b32 s13, s6, s7
.LBB127_3:
	s_delay_alu instid0(SALU_CYCLE_1)
	s_and_not1_b32 vcc_lo, exec_lo, s13
	s_cbranch_vccnz .LBB127_103
; %bb.4:
	s_and_not1_b32 vcc_lo, exec_lo, s12
	s_cbranch_vccnz .LBB127_103
; %bb.5:
	s_load_b128 s[16:19], s[0:1], 0x30
	s_waitcnt lgkmcnt(0)
	s_clause 0x1
	s_load_b64 s[6:7], s[0:1], 0x40
	s_load_b32 s24, s[0:1], 0x48
	s_mul_i32 s5, s15, s5
	s_mul_hi_u32 s8, s15, s4
	s_mul_i32 s4, s15, s4
	s_add_i32 s5, s8, s5
	v_and_b32_e32 v42, 0x3ff, v0
	s_lshl_b64 s[4:5], s[4:5], 4
	s_load_b32 s25, s[0:1], 0x0
	s_load_b32 s26, s[2:3], 0x0
	v_bfe_u32 v149, v0, 10, 10
	s_add_u32 s8, s18, s4
	s_addc_u32 s9, s19, s5
	s_waitcnt lgkmcnt(0)
	s_lshl_b64 s[4:5], s[6:7], 4
	s_delay_alu instid0(SALU_CYCLE_1) | instskip(SKIP_2) | instid1(SALU_CYCLE_1)
	s_add_u32 s4, s8, s4
	s_addc_u32 s5, s9, s5
	s_lshl_b32 s12, s14, 6
	v_add_nc_u32_e32 v144, s12, v42
	s_ashr_i32 s27, s25, 31
	s_add_i32 s6, s26, -1
	s_lshr_b32 s2, s27, 26
	s_delay_alu instid0(VALU_DEP_1) | instskip(SKIP_3) | instid1(SALU_CYCLE_1)
	v_mul_lo_u32 v1, v144, s24
	s_add_i32 s3, s25, s2
	v_cmp_ne_u32_e64 s2, 0, v149
	s_and_not1_b32 s3, s3, 63
	s_sub_i32 s7, s25, s3
	v_cmp_eq_u32_e64 s3, 0, v149
	s_cmp_eq_u32 s14, s6
	s_delay_alu instid0(VALU_DEP_3) | instskip(SKIP_1) | instid1(VALU_DEP_1)
	v_ashrrev_i32_e32 v2, 31, v1
	s_cselect_b32 s8, s7, 0
	v_lshlrev_b64 v[0:1], 4, v[1:2]
	s_delay_alu instid0(VALU_DEP_1) | instskip(NEXT) | instid1(VALU_DEP_2)
	v_add_co_u32 v36, vcc_lo, s4, v0
	v_add_co_ci_u32_e32 v37, vcc_lo, s5, v1, vcc_lo
	s_mov_b32 s4, -1
	s_and_saveexec_b32 s5, s3
	s_cbranch_execz .LBB127_10
; %bb.6:
	v_cmp_le_i32_e32 vcc_lo, s8, v42
	s_cmp_lg_u32 s8, 0
	v_lshl_add_u32 v0, v42, 4, 0x4700
	s_cselect_b32 s6, -1, 0
	s_delay_alu instid0(SALU_CYCLE_1) | instskip(NEXT) | instid1(SALU_CYCLE_1)
	s_and_b32 s6, s6, vcc_lo
	s_and_saveexec_b32 s7, s6
	s_delay_alu instid0(SALU_CYCLE_1)
	s_xor_b32 s6, exec_lo, s7
	s_cbranch_execz .LBB127_8
; %bb.7:
	v_mov_b32_e32 v1, 0
	s_delay_alu instid0(VALU_DEP_1)
	v_mov_b32_e32 v2, v1
	v_mov_b32_e32 v3, v1
	;; [unrolled: 1-line block ×3, first 2 shown]
	ds_store_b128 v0, v[1:4]
                                        ; implicit-def: $vgpr0
.LBB127_8:
	s_and_not1_saveexec_b32 s6, s6
	s_cbranch_execz .LBB127_10
; %bb.9:
	global_load_b128 v[1:4], v[36:37], off
	s_waitcnt vmcnt(0)
	ds_store_2addr_b64 v0, v[1:2], v[3:4] offset1:1
.LBB127_10:
	s_or_b32 exec_lo, exec_lo, s5
	s_load_b32 s18, s[0:1], 0x28
	v_lshl_add_u32 v43, v149, 6, v42
	v_and_b32_e32 v4, 31, v42
	s_mul_i32 s1, s15, s17
	s_mul_hi_u32 s5, s15, s16
	s_mul_i32 s0, s15, s16
	v_lshrrev_b32_e32 v9, 5, v43
	s_add_i32 s1, s5, s1
	s_delay_alu instid0(SALU_CYCLE_1) | instskip(NEXT) | instid1(SALU_CYCLE_1)
	s_lshl_b64 s[0:1], s[0:1], 4
	s_add_u32 s5, s20, s0
	s_addc_u32 s6, s21, s1
	s_lshl_b64 s[0:1], s[22:23], 4
	s_delay_alu instid0(SALU_CYCLE_1) | instskip(SKIP_2) | instid1(SALU_CYCLE_1)
	s_add_u32 s5, s5, s0
	s_addc_u32 s6, s6, s1
	s_ashr_i32 s13, s12, 31
	s_lshl_b64 s[0:1], s[12:13], 4
	s_waitcnt lgkmcnt(0)
	v_mad_u64_u32 v[0:1], null, v9, s18, v[4:5]
	s_add_u32 s5, s5, s0
	s_mul_i32 s0, s12, s18
	s_addc_u32 s6, s6, s1
	s_ashr_i32 s1, s0, 31
	s_delay_alu instid0(SALU_CYCLE_1) | instskip(NEXT) | instid1(VALU_DEP_1)
	s_lshl_b64 s[16:17], s[0:1], 4
	v_ashrrev_i32_e32 v1, 31, v0
	s_add_u32 s0, s16, s5
	s_addc_u32 s1, s17, s6
	s_cmp_lg_u32 s8, 0
	s_cselect_b32 s13, -1, 0
	v_lshlrev_b64 v[38:39], 4, v[0:1]
	s_cmp_eq_u32 s8, 0
	s_cselect_b32 s7, -1, 0
	s_delay_alu instid0(VALU_DEP_1) | instskip(NEXT) | instid1(VALU_DEP_2)
	v_add_co_u32 v5, vcc_lo, s0, v38
	v_add_co_ci_u32_e32 v6, vcc_lo, s1, v39, vcc_lo
	s_and_b32 vcc_lo, exec_lo, s13
	s_cbranch_vccnz .LBB127_12
; %bb.11:
	s_lshl_b32 s0, s18, 3
	s_ashr_i32 s19, s18, 31
	s_ashr_i32 s1, s0, 31
	s_mov_b32 s4, 0
	s_lshl_b64 s[0:1], s[0:1], 4
	s_delay_alu instid0(SALU_CYCLE_1)
	v_add_co_u32 v7, vcc_lo, v5, s0
	v_add_co_ci_u32_e32 v8, vcc_lo, s1, v6, vcc_lo
	s_lshl_b64 s[0:1], s[18:19], 7
	s_delay_alu instid0(VALU_DEP_2) | instid1(SALU_CYCLE_1)
	v_add_co_u32 v14, vcc_lo, v7, s0
	s_delay_alu instid0(VALU_DEP_2) | instskip(NEXT) | instid1(VALU_DEP_2)
	v_add_co_ci_u32_e32 v15, vcc_lo, s1, v8, vcc_lo
	v_add_co_u32 v18, vcc_lo, v14, s0
	s_delay_alu instid0(VALU_DEP_2)
	v_add_co_ci_u32_e32 v19, vcc_lo, s1, v15, vcc_lo
	s_clause 0x1
	global_load_b128 v[0:3], v[5:6], off
	global_load_b128 v[10:13], v[7:8], off
	;; [unrolled: 1-line block ×4, first 2 shown]
	v_mul_u32_u24_e32 v7, 33, v9
	s_delay_alu instid0(VALU_DEP_1) | instskip(NEXT) | instid1(VALU_DEP_1)
	v_add_lshl_u32 v7, v7, v4, 4
	v_add_nc_u32_e32 v22, 0x2100, v7
	v_add_nc_u32_e32 v8, 0x1080, v7
	;; [unrolled: 1-line block ×3, first 2 shown]
	s_waitcnt vmcnt(3)
	ds_store_2addr_b64 v7, v[0:1], v[2:3] offset1:1
	s_waitcnt vmcnt(2)
	ds_store_2addr_b64 v8, v[10:11], v[12:13] offset1:1
	s_waitcnt vmcnt(1)
	ds_store_2addr_b64 v22, v[14:15], v[16:17] offset1:1
	s_waitcnt vmcnt(0)
	ds_store_2addr_b64 v23, v[18:19], v[20:21] offset1:1
.LBB127_12:
	s_and_not1_b32 vcc_lo, exec_lo, s4
	s_cbranch_vccnz .LBB127_30
; %bb.13:
	v_lshlrev_b32_e32 v2, 4, v4
	s_ashr_i32 s9, s8, 31
	v_mul_u32_u24_e32 v3, 33, v9
	s_lshl_b64 s[4:5], s[8:9], 4
	v_cmp_le_i32_e64 s0, s8, v9
	v_sub_co_u32 v0, vcc_lo, v5, v2
	v_subrev_co_ci_u32_e32 v1, vcc_lo, 0, v6, vcc_lo
	v_add_lshl_u32 v3, v3, v4, 4
	s_delay_alu instid0(VALU_DEP_3) | instskip(NEXT) | instid1(VALU_DEP_3)
	v_add_co_u32 v0, vcc_lo, v0, s4
	v_add_co_ci_u32_e32 v1, vcc_lo, s5, v1, vcc_lo
	s_delay_alu instid0(VALU_DEP_2) | instskip(NEXT) | instid1(VALU_DEP_2)
	v_add_co_u32 v0, vcc_lo, v0, -16
	v_add_co_ci_u32_e32 v1, vcc_lo, -1, v1, vcc_lo
	v_cmp_gt_i32_e32 vcc_lo, s8, v4
	s_delay_alu instid0(VALU_DEP_2) | instskip(SKIP_1) | instid1(SALU_CYCLE_1)
	v_dual_cndmask_b32 v1, v1, v6 :: v_dual_cndmask_b32 v0, v0, v5
	s_and_saveexec_b32 s1, s0
	s_xor_b32 s0, exec_lo, s1
	s_cbranch_execz .LBB127_15
; %bb.14:
	v_mov_b32_e32 v10, 0
	s_delay_alu instid0(VALU_DEP_1)
	v_mov_b32_e32 v11, v10
	v_mov_b32_e32 v12, v10
	;; [unrolled: 1-line block ×3, first 2 shown]
	ds_store_b128 v3, v[10:13]
.LBB127_15:
	s_and_not1_saveexec_b32 s0, s0
	s_cbranch_execz .LBB127_17
; %bb.16:
	global_load_b128 v[10:13], v[0:1], off
	s_waitcnt vmcnt(0)
	ds_store_2addr_b64 v3, v[10:11], v[12:13] offset1:1
.LBB127_17:
	s_or_b32 exec_lo, exec_lo, s0
	v_add_nc_u32_e32 v7, 8, v9
	s_delay_alu instid0(VALU_DEP_1) | instskip(NEXT) | instid1(VALU_DEP_1)
	v_cmp_le_i32_e64 s0, s8, v7
	s_and_saveexec_b32 s1, s0
	s_delay_alu instid0(SALU_CYCLE_1)
	s_xor_b32 s0, exec_lo, s1
	s_cbranch_execz .LBB127_19
; %bb.18:
	v_mul_u32_u24_e32 v7, 33, v7
	v_mov_b32_e32 v10, 0
	s_delay_alu instid0(VALU_DEP_2) | instskip(NEXT) | instid1(VALU_DEP_2)
	v_add_lshl_u32 v7, v7, v4, 4
	v_mov_b32_e32 v11, v10
	v_mov_b32_e32 v12, v10
	;; [unrolled: 1-line block ×3, first 2 shown]
	ds_store_b128 v7, v[10:13]
.LBB127_19:
	s_and_not1_saveexec_b32 s1, s0
	s_cbranch_execz .LBB127_21
; %bb.20:
	s_lshl_b32 s20, s18, 3
	s_delay_alu instid0(SALU_CYCLE_1) | instskip(NEXT) | instid1(SALU_CYCLE_1)
	s_ashr_i32 s21, s20, 31
	s_lshl_b64 s[20:21], s[20:21], 4
	s_delay_alu instid0(SALU_CYCLE_1) | instskip(NEXT) | instid1(VALU_DEP_1)
	v_add_co_u32 v7, s0, v0, s20
	v_add_co_ci_u32_e64 v8, s0, s21, v1, s0
	global_load_b128 v[10:13], v[7:8], off
	v_add_nc_u32_e32 v7, 0x1080, v3
	s_waitcnt vmcnt(0)
	ds_store_2addr_b64 v7, v[10:11], v[12:13] offset1:1
.LBB127_21:
	s_or_b32 exec_lo, exec_lo, s1
	v_add_nc_u32_e32 v7, 16, v9
	s_delay_alu instid0(VALU_DEP_1) | instskip(NEXT) | instid1(VALU_DEP_1)
	v_cmp_le_i32_e64 s0, s8, v7
	s_and_saveexec_b32 s1, s0
	s_delay_alu instid0(SALU_CYCLE_1)
	s_xor_b32 s0, exec_lo, s1
	s_cbranch_execz .LBB127_23
; %bb.22:
	v_mul_u32_u24_e32 v7, 33, v7
	v_mov_b32_e32 v10, 0
	s_delay_alu instid0(VALU_DEP_2) | instskip(NEXT) | instid1(VALU_DEP_2)
	v_add_lshl_u32 v7, v7, v4, 4
	v_mov_b32_e32 v11, v10
	v_mov_b32_e32 v12, v10
	;; [unrolled: 1-line block ×3, first 2 shown]
	ds_store_b128 v7, v[10:13]
.LBB127_23:
	s_and_not1_saveexec_b32 s1, s0
	s_cbranch_execz .LBB127_25
; %bb.24:
	s_lshl_b32 s20, s18, 4
	s_delay_alu instid0(SALU_CYCLE_1) | instskip(NEXT) | instid1(SALU_CYCLE_1)
	s_ashr_i32 s21, s20, 31
	s_lshl_b64 s[20:21], s[20:21], 4
	s_delay_alu instid0(SALU_CYCLE_1) | instskip(NEXT) | instid1(VALU_DEP_1)
	v_add_co_u32 v7, s0, v0, s20
	v_add_co_ci_u32_e64 v8, s0, s21, v1, s0
	global_load_b128 v[10:13], v[7:8], off
	v_add_nc_u32_e32 v7, 0x2100, v3
	s_waitcnt vmcnt(0)
	ds_store_2addr_b64 v7, v[10:11], v[12:13] offset1:1
.LBB127_25:
	s_or_b32 exec_lo, exec_lo, s1
	v_add_nc_u32_e32 v7, 24, v9
	s_delay_alu instid0(VALU_DEP_1) | instskip(NEXT) | instid1(VALU_DEP_1)
	v_cmp_le_i32_e64 s0, s8, v7
	s_and_saveexec_b32 s1, s0
	s_delay_alu instid0(SALU_CYCLE_1)
	s_xor_b32 s0, exec_lo, s1
	s_cbranch_execz .LBB127_27
; %bb.26:
	v_mov_b32_e32 v10, 0
	s_delay_alu instid0(VALU_DEP_1)
	v_mov_b32_e32 v11, v10
	v_mov_b32_e32 v12, v10
	;; [unrolled: 1-line block ×3, first 2 shown]
	ds_store_b128 v3, v[10:13] offset:12672
                                        ; implicit-def: $vgpr3
.LBB127_27:
	s_and_not1_saveexec_b32 s1, s0
	s_cbranch_execz .LBB127_29
; %bb.28:
	s_mul_i32 s20, s18, 24
	v_add_nc_u32_e32 v3, 0x3180, v3
	s_ashr_i32 s21, s20, 31
	s_delay_alu instid0(SALU_CYCLE_1) | instskip(NEXT) | instid1(SALU_CYCLE_1)
	s_lshl_b64 s[20:21], s[20:21], 4
	v_add_co_u32 v7, s0, v0, s20
	s_delay_alu instid0(VALU_DEP_1)
	v_add_co_ci_u32_e64 v8, s0, s21, v1, s0
	global_load_b128 v[10:13], v[7:8], off
	s_waitcnt vmcnt(0)
	ds_store_2addr_b64 v3, v[10:11], v[12:13] offset1:1
.LBB127_29:
	s_or_b32 exec_lo, exec_lo, s1
	v_add_co_u32 v0, s0, v0, v2
	s_delay_alu instid0(VALU_DEP_1) | instskip(NEXT) | instid1(VALU_DEP_2)
	v_add_co_ci_u32_e64 v1, s0, 0, v1, s0
	v_sub_co_u32 v0, s0, v0, s4
	s_delay_alu instid0(VALU_DEP_1) | instskip(NEXT) | instid1(VALU_DEP_2)
	v_subrev_co_ci_u32_e64 v1, s0, s5, v1, s0
	v_add_co_u32 v0, s0, v0, 16
	s_delay_alu instid0(VALU_DEP_1) | instskip(NEXT) | instid1(VALU_DEP_1)
	v_add_co_ci_u32_e64 v1, s0, 0, v1, s0
	v_dual_cndmask_b32 v5, v0, v5 :: v_dual_cndmask_b32 v6, v1, v6
.LBB127_30:
	v_lshlrev_b32_e32 v0, 2, v9
	v_mul_u32_u24_e32 v44, 33, v4
	v_mul_u32_u24_e32 v1, 0x84, v9
	s_waitcnt lgkmcnt(0)
	s_barrier
	v_cmp_lt_u32_e64 s1, v0, v4
	v_add_lshl_u32 v12, v0, v44, 4
	buffer_gl0_inv
	s_and_saveexec_b32 s0, s1
	s_cbranch_execz .LBB127_32
; %bb.31:
	v_add_lshl_u32 v2, v1, v4, 4
	ds_load_b128 v[13:16], v2
	s_waitcnt lgkmcnt(0)
	ds_store_b128 v12, v[13:16]
.LBB127_32:
	s_or_b32 exec_lo, exec_lo, s0
	v_or_b32_e32 v2, 1, v0
	s_delay_alu instid0(VALU_DEP_1) | instskip(NEXT) | instid1(VALU_DEP_1)
	v_cmp_lt_u32_e64 s4, v2, v4
	s_and_saveexec_b32 s0, s4
	s_cbranch_execz .LBB127_34
; %bb.33:
	v_mul_u32_u24_e32 v2, 33, v2
	s_delay_alu instid0(VALU_DEP_1)
	v_add_lshl_u32 v2, v2, v4, 4
	ds_load_b128 v[13:16], v2
	s_waitcnt lgkmcnt(0)
	ds_store_b128 v12, v[13:16] offset:16
.LBB127_34:
	s_or_b32 exec_lo, exec_lo, s0
	v_or_b32_e32 v2, 2, v0
	s_delay_alu instid0(VALU_DEP_1) | instskip(NEXT) | instid1(VALU_DEP_1)
	v_cmp_lt_u32_e64 s5, v2, v4
	s_and_saveexec_b32 s0, s5
	s_cbranch_execz .LBB127_36
; %bb.35:
	v_mul_u32_u24_e32 v2, 33, v2
	s_delay_alu instid0(VALU_DEP_1)
	v_add_lshl_u32 v2, v2, v4, 4
	ds_load_b128 v[13:16], v2
	s_waitcnt lgkmcnt(0)
	ds_store_b128 v12, v[13:16] offset:32
.LBB127_36:
	s_or_b32 exec_lo, exec_lo, s0
	v_or_b32_e32 v2, 3, v0
	s_delay_alu instid0(VALU_DEP_1) | instskip(SKIP_1) | instid1(VALU_DEP_2)
	v_mad_u32_u24 v3, v2, 33, v4
	v_cmp_lt_u32_e64 s6, v2, v4
	v_lshlrev_b32_e32 v10, 4, v3
	s_delay_alu instid0(VALU_DEP_2)
	s_and_saveexec_b32 s0, s6
	s_cbranch_execz .LBB127_38
; %bb.37:
	ds_load_b128 v[13:16], v10
	s_waitcnt lgkmcnt(0)
	ds_store_b128 v12, v[13:16] offset:48
.LBB127_38:
	s_or_b32 exec_lo, exec_lo, s0
	v_lshlrev_b32_e32 v13, 4, v0
	v_add_lshl_u32 v14, v1, v4, 4
	s_waitcnt lgkmcnt(0)
	s_barrier
	buffer_gl0_inv
	ds_load_b128 v[0:3], v13 offset:18176
	ds_load_b128 v[15:18], v14
	v_add_nc_u32_e32 v11, 0xfffffbe0, v10
	ds_load_b128 v[19:22], v11
	ds_load_b128 v[23:26], v11 offset:528
	ds_load_b128 v[27:30], v13 offset:18192
	;; [unrolled: 1-line block ×3, first 2 shown]
	v_add_lshl_u32 v45, v9, v44, 4
	v_cmp_gt_u32_e64 s0, 32, v43
	s_waitcnt lgkmcnt(4)
	v_mul_f64 v[7:8], v[2:3], v[17:18]
	v_mul_f64 v[17:18], v[0:1], v[17:18]
	s_waitcnt lgkmcnt(1)
	v_mul_f64 v[40:41], v[29:30], v[21:22]
	v_mul_f64 v[21:22], v[27:28], v[21:22]
	s_delay_alu instid0(VALU_DEP_4) | instskip(NEXT) | instid1(VALU_DEP_4)
	v_fma_f64 v[0:1], v[0:1], v[15:16], -v[7:8]
	v_fma_f64 v[2:3], v[2:3], v[15:16], v[17:18]
	s_waitcnt lgkmcnt(0)
	v_mul_f64 v[7:8], v[33:34], v[25:26]
	v_mul_f64 v[25:26], v[31:32], v[25:26]
	v_fma_f64 v[27:28], v[27:28], v[19:20], -v[40:41]
	v_fma_f64 v[19:20], v[29:30], v[19:20], v[21:22]
	v_add_f64 v[21:22], v[0:1], 0
	v_add_f64 v[29:30], v[2:3], 0
	ds_load_b128 v[0:3], v13 offset:18224
	ds_load_b128 v[15:18], v10
	v_fma_f64 v[7:8], v[31:32], v[23:24], -v[7:8]
	v_fma_f64 v[23:24], v[33:34], v[23:24], v[25:26]
	s_waitcnt lgkmcnt(0)
	s_barrier
	buffer_gl0_inv
	v_mul_f64 v[40:41], v[2:3], v[17:18]
	v_mul_f64 v[17:18], v[0:1], v[17:18]
	v_add_f64 v[21:22], v[21:22], v[27:28]
	v_add_f64 v[19:20], v[29:30], v[19:20]
	s_delay_alu instid0(VALU_DEP_4) | instskip(NEXT) | instid1(VALU_DEP_4)
	v_fma_f64 v[0:1], v[0:1], v[15:16], -v[40:41]
	v_fma_f64 v[2:3], v[2:3], v[15:16], v[17:18]
	s_delay_alu instid0(VALU_DEP_4) | instskip(NEXT) | instid1(VALU_DEP_4)
	v_add_f64 v[7:8], v[21:22], v[7:8]
	v_add_f64 v[17:18], v[19:20], v[23:24]
	s_delay_alu instid0(VALU_DEP_2) | instskip(NEXT) | instid1(VALU_DEP_2)
	v_add_f64 v[15:16], v[7:8], v[0:1]
	v_add_f64 v[17:18], v[17:18], v[2:3]
	v_mov_b32_e32 v0, 0
	v_mov_b32_e32 v1, 0
	s_delay_alu instid0(VALU_DEP_1)
	v_dual_mov_b32 v3, v1 :: v_dual_mov_b32 v2, v0
	ds_store_b128 v45, v[15:18]
	s_waitcnt lgkmcnt(0)
	s_barrier
	buffer_gl0_inv
	s_and_saveexec_b32 s9, s0
	s_cbranch_execz .LBB127_40
; %bb.39:
	v_lshlrev_b32_e32 v21, 4, v44
	ds_load_b128 v[0:3], v21
	ds_load_b128 v[15:18], v21 offset:16
	s_waitcnt lgkmcnt(0)
	v_add_f64 v[7:8], v[15:16], v[0:1]
	v_add_f64 v[19:20], v[17:18], v[2:3]
	ds_load_b128 v[0:3], v21 offset:32
	ds_load_b128 v[15:18], v21 offset:48
	s_waitcnt lgkmcnt(1)
	v_add_f64 v[0:1], v[7:8], v[0:1]
	v_add_f64 v[2:3], v[19:20], v[2:3]
	s_waitcnt lgkmcnt(0)
	s_delay_alu instid0(VALU_DEP_2) | instskip(NEXT) | instid1(VALU_DEP_2)
	v_add_f64 v[7:8], v[0:1], v[15:16]
	v_add_f64 v[19:20], v[2:3], v[17:18]
	ds_load_b128 v[0:3], v21 offset:64
	ds_load_b128 v[15:18], v21 offset:80
	s_waitcnt lgkmcnt(1)
	v_add_f64 v[0:1], v[7:8], v[0:1]
	v_add_f64 v[2:3], v[19:20], v[2:3]
	s_waitcnt lgkmcnt(0)
	s_delay_alu instid0(VALU_DEP_2) | instskip(NEXT) | instid1(VALU_DEP_2)
	;; [unrolled: 9-line block ×3, first 2 shown]
	v_add_f64 v[0:1], v[0:1], v[15:16]
	v_add_f64 v[2:3], v[2:3], v[17:18]
.LBB127_40:
	s_or_b32 exec_lo, exec_lo, s9
	s_lshl_b32 s20, s18, 5
	v_cndmask_b32_e64 v15, 0, 1, s7
	s_ashr_i32 s21, s20, 31
	s_delay_alu instid0(SALU_CYCLE_1)
	s_lshl_b64 s[20:21], s[20:21], 4
	s_barrier
	v_add_co_u32 v7, vcc_lo, v5, s20
	v_add_co_ci_u32_e32 v8, vcc_lo, s21, v6, vcc_lo
	buffer_gl0_inv
	v_add_co_u32 v5, vcc_lo, 0x200, v7
	v_add_co_ci_u32_e32 v6, vcc_lo, 0, v8, vcc_lo
	s_and_not1_b32 vcc_lo, exec_lo, s7
	s_cbranch_vccnz .LBB127_42
; %bb.41:
	s_lshl_b32 s22, s18, 3
	s_ashr_i32 s19, s18, 31
	s_ashr_i32 s23, s22, 31
	s_delay_alu instid0(SALU_CYCLE_1) | instskip(NEXT) | instid1(SALU_CYCLE_1)
	s_lshl_b64 s[22:23], s[22:23], 4
	v_add_co_u32 v7, vcc_lo, v7, s22
	v_add_co_ci_u32_e32 v8, vcc_lo, s23, v8, vcc_lo
	s_lshl_b64 s[22:23], s[18:19], 7
	s_delay_alu instid0(VALU_DEP_2) | instid1(SALU_CYCLE_1)
	v_add_co_u32 v24, vcc_lo, v7, s22
	s_delay_alu instid0(VALU_DEP_2) | instskip(NEXT) | instid1(VALU_DEP_2)
	v_add_co_ci_u32_e32 v25, vcc_lo, s23, v8, vcc_lo
	v_add_co_u32 v28, vcc_lo, v24, s22
	s_delay_alu instid0(VALU_DEP_2)
	v_add_co_ci_u32_e32 v29, vcc_lo, s23, v25, vcc_lo
	s_clause 0x3
	global_load_b128 v[16:19], v[5:6], off
	global_load_b128 v[20:23], v[7:8], off offset:512
	global_load_b128 v[24:27], v[24:25], off offset:512
	;; [unrolled: 1-line block ×3, first 2 shown]
	v_mul_u32_u24_e32 v7, 33, v9
	s_delay_alu instid0(VALU_DEP_1) | instskip(NEXT) | instid1(VALU_DEP_1)
	v_add_lshl_u32 v7, v7, v4, 4
	v_add_nc_u32_e32 v32, 0x2100, v7
	v_add_nc_u32_e32 v8, 0x1080, v7
	;; [unrolled: 1-line block ×3, first 2 shown]
	s_waitcnt vmcnt(3)
	ds_store_2addr_b64 v7, v[16:17], v[18:19] offset1:1
	s_waitcnt vmcnt(2)
	ds_store_2addr_b64 v8, v[20:21], v[22:23] offset1:1
	;; [unrolled: 2-line block ×4, first 2 shown]
	s_cbranch_execz .LBB127_43
	s_branch .LBB127_60
.LBB127_42:
.LBB127_43:
	v_lshlrev_b32_e32 v16, 4, v4
	s_ashr_i32 s9, s8, 31
	v_or_b32_e32 v17, 32, v4
	s_lshl_b64 s[22:23], s[8:9], 4
	s_sub_i32 s9, s8, 32
	v_sub_co_u32 v7, vcc_lo, v5, v16
	v_subrev_co_ci_u32_e32 v8, vcc_lo, 0, v6, vcc_lo
	v_cmp_le_i32_e64 s7, s9, v9
	s_delay_alu instid0(VALU_DEP_3) | instskip(NEXT) | instid1(VALU_DEP_3)
	v_add_co_u32 v7, vcc_lo, v7, s22
	v_add_co_ci_u32_e32 v8, vcc_lo, s23, v8, vcc_lo
	s_delay_alu instid0(VALU_DEP_2) | instskip(NEXT) | instid1(VALU_DEP_2)
	v_add_co_u32 v7, vcc_lo, 0xfffffdf0, v7
	v_add_co_ci_u32_e32 v8, vcc_lo, -1, v8, vcc_lo
	v_cmp_gt_i32_e32 vcc_lo, s8, v17
	v_mul_u32_u24_e32 v17, 33, v9
	s_delay_alu instid0(VALU_DEP_3) | instskip(NEXT) | instid1(VALU_DEP_2)
	v_dual_cndmask_b32 v7, v7, v5 :: v_dual_cndmask_b32 v8, v8, v6
	v_add_lshl_u32 v17, v17, v4, 4
	s_and_saveexec_b32 s19, s7
	s_delay_alu instid0(SALU_CYCLE_1)
	s_xor_b32 s7, exec_lo, s19
	s_cbranch_execz .LBB127_45
; %bb.44:
	v_mov_b32_e32 v18, 0
	s_delay_alu instid0(VALU_DEP_1)
	v_mov_b32_e32 v19, v18
	v_mov_b32_e32 v20, v18
	v_mov_b32_e32 v21, v18
	ds_store_b128 v17, v[18:21]
.LBB127_45:
	s_and_not1_saveexec_b32 s7, s7
	s_cbranch_execz .LBB127_47
; %bb.46:
	global_load_b128 v[18:21], v[7:8], off
	s_waitcnt vmcnt(0)
	ds_store_2addr_b64 v17, v[18:19], v[20:21] offset1:1
.LBB127_47:
	s_or_b32 exec_lo, exec_lo, s7
	v_add_nc_u32_e32 v18, 8, v9
	s_delay_alu instid0(VALU_DEP_1) | instskip(NEXT) | instid1(VALU_DEP_1)
	v_cmp_le_i32_e64 s7, s9, v18
	s_and_saveexec_b32 s19, s7
	s_delay_alu instid0(SALU_CYCLE_1)
	s_xor_b32 s7, exec_lo, s19
	s_cbranch_execz .LBB127_49
; %bb.48:
	v_mul_u32_u24_e32 v19, 33, v18
	v_mov_b32_e32 v18, 0
	s_delay_alu instid0(VALU_DEP_2) | instskip(NEXT) | instid1(VALU_DEP_2)
	v_add_lshl_u32 v22, v19, v4, 4
	v_mov_b32_e32 v19, v18
	v_mov_b32_e32 v20, v18
	;; [unrolled: 1-line block ×3, first 2 shown]
	ds_store_b128 v22, v[18:21]
.LBB127_49:
	s_and_not1_saveexec_b32 s19, s7
	s_cbranch_execz .LBB127_51
; %bb.50:
	s_lshl_b32 s28, s18, 3
	v_add_nc_u32_e32 v22, 0x1080, v17
	s_ashr_i32 s29, s28, 31
	s_delay_alu instid0(SALU_CYCLE_1) | instskip(NEXT) | instid1(SALU_CYCLE_1)
	s_lshl_b64 s[28:29], s[28:29], 4
	v_add_co_u32 v18, s7, v7, s28
	s_delay_alu instid0(VALU_DEP_1)
	v_add_co_ci_u32_e64 v19, s7, s29, v8, s7
	global_load_b128 v[18:21], v[18:19], off
	s_waitcnt vmcnt(0)
	ds_store_2addr_b64 v22, v[18:19], v[20:21] offset1:1
.LBB127_51:
	s_or_b32 exec_lo, exec_lo, s19
	v_add_nc_u32_e32 v18, 16, v9
	s_delay_alu instid0(VALU_DEP_1) | instskip(NEXT) | instid1(VALU_DEP_1)
	v_cmp_le_i32_e64 s7, s9, v18
	s_and_saveexec_b32 s19, s7
	s_delay_alu instid0(SALU_CYCLE_1)
	s_xor_b32 s7, exec_lo, s19
	s_cbranch_execz .LBB127_53
; %bb.52:
	v_mul_u32_u24_e32 v19, 33, v18
	v_mov_b32_e32 v18, 0
	s_delay_alu instid0(VALU_DEP_2) | instskip(NEXT) | instid1(VALU_DEP_2)
	v_add_lshl_u32 v22, v19, v4, 4
	v_mov_b32_e32 v19, v18
	v_mov_b32_e32 v20, v18
	;; [unrolled: 1-line block ×3, first 2 shown]
	ds_store_b128 v22, v[18:21]
.LBB127_53:
	s_and_not1_saveexec_b32 s19, s7
	s_cbranch_execz .LBB127_55
; %bb.54:
	s_lshl_b32 s28, s18, 4
	v_add_nc_u32_e32 v22, 0x2100, v17
	s_ashr_i32 s29, s28, 31
	s_delay_alu instid0(SALU_CYCLE_1) | instskip(NEXT) | instid1(SALU_CYCLE_1)
	s_lshl_b64 s[28:29], s[28:29], 4
	v_add_co_u32 v18, s7, v7, s28
	s_delay_alu instid0(VALU_DEP_1)
	v_add_co_ci_u32_e64 v19, s7, s29, v8, s7
	global_load_b128 v[18:21], v[18:19], off
	s_waitcnt vmcnt(0)
	ds_store_2addr_b64 v22, v[18:19], v[20:21] offset1:1
.LBB127_55:
	s_or_b32 exec_lo, exec_lo, s19
	v_add_nc_u32_e32 v18, 24, v9
	s_delay_alu instid0(VALU_DEP_1) | instskip(NEXT) | instid1(VALU_DEP_1)
	v_cmp_le_i32_e64 s7, s9, v18
	s_and_saveexec_b32 s9, s7
	s_delay_alu instid0(SALU_CYCLE_1)
	s_xor_b32 s7, exec_lo, s9
	s_cbranch_execz .LBB127_57
; %bb.56:
	v_mov_b32_e32 v18, 0
	s_delay_alu instid0(VALU_DEP_1)
	v_mov_b32_e32 v19, v18
	v_mov_b32_e32 v20, v18
	;; [unrolled: 1-line block ×3, first 2 shown]
	ds_store_b128 v17, v[18:21] offset:12672
                                        ; implicit-def: $vgpr17
.LBB127_57:
	s_and_not1_saveexec_b32 s9, s7
	s_cbranch_execz .LBB127_59
; %bb.58:
	s_mul_i32 s28, s18, 24
	v_add_nc_u32_e32 v17, 0x3180, v17
	s_ashr_i32 s29, s28, 31
	s_delay_alu instid0(SALU_CYCLE_1) | instskip(NEXT) | instid1(SALU_CYCLE_1)
	s_lshl_b64 s[28:29], s[28:29], 4
	v_add_co_u32 v18, s7, v7, s28
	s_delay_alu instid0(VALU_DEP_1)
	v_add_co_ci_u32_e64 v19, s7, s29, v8, s7
	global_load_b128 v[18:21], v[18:19], off
	s_waitcnt vmcnt(0)
	ds_store_2addr_b64 v17, v[18:19], v[20:21] offset1:1
.LBB127_59:
	s_or_b32 exec_lo, exec_lo, s9
	v_add_co_u32 v7, s7, v7, v16
	s_delay_alu instid0(VALU_DEP_1) | instskip(NEXT) | instid1(VALU_DEP_2)
	v_add_co_ci_u32_e64 v8, s7, 0, v8, s7
	v_sub_co_u32 v7, s7, v7, s22
	s_delay_alu instid0(VALU_DEP_1) | instskip(NEXT) | instid1(VALU_DEP_2)
	v_subrev_co_ci_u32_e64 v8, s7, s23, v8, s7
	v_add_co_u32 v7, s7, 0x210, v7
	s_delay_alu instid0(VALU_DEP_1) | instskip(NEXT) | instid1(VALU_DEP_1)
	v_add_co_ci_u32_e64 v8, s7, 0, v8, s7
	v_dual_cndmask_b32 v5, v7, v5 :: v_dual_cndmask_b32 v6, v8, v6
.LBB127_60:
	v_add_nc_u32_e32 v13, 0x4700, v13
	v_add_nc_u32_e32 v7, 0x210, v11
	s_waitcnt lgkmcnt(0)
	s_barrier
	buffer_gl0_inv
	s_and_saveexec_b32 s7, s1
	s_cbranch_execnz .LBB127_69
; %bb.61:
	s_or_b32 exec_lo, exec_lo, s7
	s_and_saveexec_b32 s1, s4
	s_cbranch_execnz .LBB127_70
.LBB127_62:
	s_or_b32 exec_lo, exec_lo, s1
	s_and_saveexec_b32 s1, s5
	s_cbranch_execnz .LBB127_71
.LBB127_63:
	s_or_b32 exec_lo, exec_lo, s1
	s_and_saveexec_b32 s1, s6
	s_cbranch_execz .LBB127_65
.LBB127_64:
	ds_load_b128 v[16:19], v10
	s_waitcnt lgkmcnt(0)
	ds_store_b128 v12, v[16:19] offset:48
.LBB127_65:
	s_or_b32 exec_lo, exec_lo, s1
	s_waitcnt lgkmcnt(0)
	s_barrier
	buffer_gl0_inv
	ds_load_b128 v[16:19], v13 offset:512
	ds_load_b128 v[20:23], v14
	v_cmp_eq_u32_e64 s1, 1, v9
	s_waitcnt lgkmcnt(0)
	v_mul_f64 v[7:8], v[18:19], v[22:23]
	v_mul_f64 v[34:35], v[16:17], v[22:23]
	ds_load_b128 v[22:25], v11
	ds_load_b128 v[26:29], v13 offset:528
	ds_load_b128 v[30:33], v13 offset:544
	s_waitcnt lgkmcnt(1)
	v_mul_f64 v[40:41], v[28:29], v[24:25]
	v_mul_f64 v[24:25], v[26:27], v[24:25]
	v_fma_f64 v[7:8], v[16:17], v[20:21], -v[7:8]
	v_fma_f64 v[20:21], v[18:19], v[20:21], v[34:35]
	ds_load_b128 v[16:19], v11 offset:528
	ds_load_b128 v[46:49], v10
	s_waitcnt lgkmcnt(1)
	v_mul_f64 v[10:11], v[32:33], v[18:19]
	v_mul_f64 v[34:35], v[30:31], v[18:19]
	v_fma_f64 v[26:27], v[26:27], v[22:23], -v[40:41]
	v_fma_f64 v[22:23], v[28:29], v[22:23], v[24:25]
	v_add_f64 v[7:8], v[7:8], 0
	v_add_f64 v[24:25], v[20:21], 0
	ds_load_b128 v[18:21], v13 offset:560
	s_waitcnt lgkmcnt(0)
	s_barrier
	buffer_gl0_inv
	v_fma_f64 v[10:11], v[30:31], v[16:17], -v[10:11]
	v_mul_f64 v[28:29], v[20:21], v[48:49]
	v_mul_f64 v[40:41], v[18:19], v[48:49]
	v_fma_f64 v[16:17], v[32:33], v[16:17], v[34:35]
	v_add_f64 v[7:8], v[7:8], v[26:27]
	v_add_f64 v[22:23], v[24:25], v[22:23]
	v_fma_f64 v[18:19], v[18:19], v[46:47], -v[28:29]
	v_fma_f64 v[20:21], v[20:21], v[46:47], v[40:41]
	s_delay_alu instid0(VALU_DEP_4) | instskip(NEXT) | instid1(VALU_DEP_4)
	v_add_f64 v[7:8], v[7:8], v[10:11]
	v_add_f64 v[10:11], v[22:23], v[16:17]
	s_delay_alu instid0(VALU_DEP_2) | instskip(NEXT) | instid1(VALU_DEP_2)
	v_add_f64 v[16:17], v[7:8], v[18:19]
	v_add_f64 v[18:19], v[10:11], v[20:21]
	ds_store_b128 v45, v[16:19]
	s_waitcnt lgkmcnt(0)
	s_barrier
	buffer_gl0_inv
	s_and_saveexec_b32 s4, s1
	s_cbranch_execz .LBB127_67
; %bb.66:
	v_lshlrev_b32_e32 v14, 4, v44
	ds_load_b128 v[0:3], v14
	ds_load_b128 v[16:19], v14 offset:16
	s_waitcnt lgkmcnt(0)
	v_add_f64 v[7:8], v[16:17], v[0:1]
	v_add_f64 v[10:11], v[18:19], v[2:3]
	ds_load_b128 v[0:3], v14 offset:32
	ds_load_b128 v[16:19], v14 offset:48
	s_waitcnt lgkmcnt(1)
	v_add_f64 v[0:1], v[7:8], v[0:1]
	v_add_f64 v[2:3], v[10:11], v[2:3]
	s_waitcnt lgkmcnt(0)
	s_delay_alu instid0(VALU_DEP_2) | instskip(NEXT) | instid1(VALU_DEP_2)
	v_add_f64 v[7:8], v[0:1], v[16:17]
	v_add_f64 v[10:11], v[2:3], v[18:19]
	ds_load_b128 v[0:3], v14 offset:64
	ds_load_b128 v[16:19], v14 offset:80
	s_waitcnt lgkmcnt(1)
	v_add_f64 v[0:1], v[7:8], v[0:1]
	v_add_f64 v[2:3], v[10:11], v[2:3]
	s_waitcnt lgkmcnt(0)
	s_delay_alu instid0(VALU_DEP_2) | instskip(NEXT) | instid1(VALU_DEP_2)
	;; [unrolled: 9-line block ×3, first 2 shown]
	v_add_f64 v[0:1], v[0:1], v[16:17]
	v_add_f64 v[2:3], v[2:3], v[18:19]
.LBB127_67:
	s_or_b32 exec_lo, exec_lo, s4
	v_cmp_ne_u32_e32 vcc_lo, 1, v15
	v_sub_co_u32 v40, s4, v5, s20
	s_delay_alu instid0(VALU_DEP_1)
	v_subrev_co_ci_u32_e64 v41, s4, s21, v6, s4
	s_barrier
	buffer_gl0_inv
	s_cbranch_vccnz .LBB127_72
; %bb.68:
	s_lshl_b32 s4, s18, 3
	s_ashr_i32 s19, s18, 31
	s_ashr_i32 s5, s4, 31
	s_delay_alu instid0(SALU_CYCLE_1) | instskip(NEXT) | instid1(SALU_CYCLE_1)
	s_lshl_b64 s[4:5], s[4:5], 4
	v_add_co_u32 v5, vcc_lo, v40, s4
	v_add_co_ci_u32_e32 v6, vcc_lo, s5, v41, vcc_lo
	s_lshl_b64 s[4:5], s[18:19], 7
	s_delay_alu instid0(VALU_DEP_2) | instid1(SALU_CYCLE_1)
	v_add_co_u32 v7, vcc_lo, v5, s4
	s_delay_alu instid0(VALU_DEP_2) | instskip(NEXT) | instid1(VALU_DEP_2)
	v_add_co_ci_u32_e32 v8, vcc_lo, s5, v6, vcc_lo
	v_add_co_u32 v10, vcc_lo, v7, s4
	s_delay_alu instid0(VALU_DEP_2)
	v_add_co_ci_u32_e32 v11, vcc_lo, s5, v8, vcc_lo
	s_clause 0x3
	global_load_b128 v[15:18], v[40:41], off
	global_load_b128 v[19:22], v[5:6], off
	;; [unrolled: 1-line block ×4, first 2 shown]
	v_mad_u32_u24 v11, v9, 33, v4
	v_add_nc_u32_e32 v7, 8, v9
	v_add_nc_u32_e32 v8, 16, v9
	;; [unrolled: 1-line block ×3, first 2 shown]
	s_delay_alu instid0(VALU_DEP_4) | instskip(SKIP_3) | instid1(VALU_DEP_4)
	v_lshlrev_b32_e32 v31, 4, v11
	v_add_nc_u32_e32 v6, 0x108, v11
	v_add_nc_u32_e32 v5, 0x210, v11
	v_add_nc_u32_e32 v14, 0x318, v11
	v_add_nc_u32_e32 v33, 0x2100, v31
	v_add_nc_u32_e32 v32, 0x1080, v31
	v_add_nc_u32_e32 v34, 0x3180, v31
	s_waitcnt vmcnt(3)
	ds_store_2addr_b64 v31, v[15:16], v[17:18] offset1:1
	s_waitcnt vmcnt(2)
	ds_store_2addr_b64 v32, v[19:20], v[21:22] offset1:1
	;; [unrolled: 2-line block ×4, first 2 shown]
	s_cbranch_execz .LBB127_73
	s_branch .LBB127_90
.LBB127_69:
	ds_load_b128 v[16:19], v14
	s_waitcnt lgkmcnt(0)
	ds_store_b128 v12, v[16:19]
	s_or_b32 exec_lo, exec_lo, s7
	s_and_saveexec_b32 s1, s4
	s_cbranch_execz .LBB127_62
.LBB127_70:
	ds_load_b128 v[16:19], v11
	s_waitcnt lgkmcnt(0)
	ds_store_b128 v12, v[16:19] offset:16
	s_or_b32 exec_lo, exec_lo, s1
	s_and_saveexec_b32 s1, s5
	s_cbranch_execz .LBB127_63
.LBB127_71:
	ds_load_b128 v[16:19], v7
	s_waitcnt lgkmcnt(0)
	ds_store_b128 v12, v[16:19] offset:32
	s_or_b32 exec_lo, exec_lo, s1
	s_and_saveexec_b32 s1, s6
	s_cbranch_execnz .LBB127_64
	s_branch .LBB127_65
.LBB127_72:
                                        ; implicit-def: $vgpr11
                                        ; implicit-def: $vgpr7
                                        ; implicit-def: $vgpr6
                                        ; implicit-def: $vgpr8
                                        ; implicit-def: $vgpr5
                                        ; implicit-def: $vgpr10
                                        ; implicit-def: $vgpr14
.LBB127_73:
	v_lshlrev_b32_e32 v15, 4, v4
	s_ashr_i32 s9, s8, 31
	v_or_b32_e32 v7, 32, v4
	s_lshl_b64 s[6:7], s[8:9], 4
	v_mad_u32_u24 v11, v9, 33, v4
	v_sub_co_u32 v5, vcc_lo, v40, v15
	v_subrev_co_ci_u32_e32 v6, vcc_lo, 0, v41, vcc_lo
	v_cmp_le_i32_e64 s4, s8, v9
	s_delay_alu instid0(VALU_DEP_3) | instskip(NEXT) | instid1(VALU_DEP_3)
	v_add_co_u32 v5, vcc_lo, v5, s6
	v_add_co_ci_u32_e32 v6, vcc_lo, s7, v6, vcc_lo
	v_lshlrev_b32_e32 v16, 4, v11
	s_delay_alu instid0(VALU_DEP_3) | instskip(NEXT) | instid1(VALU_DEP_3)
	v_add_co_u32 v5, vcc_lo, 0xfffffdf0, v5
	v_add_co_ci_u32_e32 v6, vcc_lo, -1, v6, vcc_lo
	v_cmp_gt_i32_e32 vcc_lo, s8, v7
	s_delay_alu instid0(VALU_DEP_2) | instskip(SKIP_1) | instid1(SALU_CYCLE_1)
	v_dual_cndmask_b32 v6, v6, v41 :: v_dual_cndmask_b32 v5, v5, v40
	s_and_saveexec_b32 s5, s4
	s_xor_b32 s4, exec_lo, s5
	s_cbranch_execz .LBB127_75
; %bb.74:
	v_mov_b32_e32 v17, 0
	s_delay_alu instid0(VALU_DEP_1)
	v_mov_b32_e32 v18, v17
	v_mov_b32_e32 v19, v17
	;; [unrolled: 1-line block ×3, first 2 shown]
	ds_store_b128 v16, v[17:20]
.LBB127_75:
	s_and_not1_saveexec_b32 s4, s4
	s_cbranch_execz .LBB127_77
; %bb.76:
	global_load_b128 v[17:20], v[5:6], off
	s_waitcnt vmcnt(0)
	ds_store_2addr_b64 v16, v[17:18], v[19:20] offset1:1
.LBB127_77:
	s_or_b32 exec_lo, exec_lo, s4
	v_add_nc_u32_e32 v7, 8, v9
	s_delay_alu instid0(VALU_DEP_1) | instskip(NEXT) | instid1(VALU_DEP_1)
	v_cmp_le_i32_e64 s4, s8, v7
	s_and_saveexec_b32 s5, s4
	s_delay_alu instid0(SALU_CYCLE_1)
	s_xor_b32 s4, exec_lo, s5
	s_cbranch_execz .LBB127_79
; %bb.78:
	v_mul_u32_u24_e32 v8, 33, v7
	v_mov_b32_e32 v17, 0
	s_delay_alu instid0(VALU_DEP_2) | instskip(NEXT) | instid1(VALU_DEP_2)
	v_add_lshl_u32 v8, v8, v4, 4
	v_mov_b32_e32 v18, v17
	v_mov_b32_e32 v19, v17
	;; [unrolled: 1-line block ×3, first 2 shown]
	ds_store_b128 v8, v[17:20]
.LBB127_79:
	s_and_not1_saveexec_b32 s5, s4
	s_cbranch_execz .LBB127_81
; %bb.80:
	s_lshl_b32 s20, s18, 3
	v_add_nc_u32_e32 v8, 0x1080, v16
	s_ashr_i32 s21, s20, 31
	s_delay_alu instid0(SALU_CYCLE_1) | instskip(NEXT) | instid1(SALU_CYCLE_1)
	s_lshl_b64 s[20:21], s[20:21], 4
	v_add_co_u32 v17, s4, v5, s20
	s_delay_alu instid0(VALU_DEP_1)
	v_add_co_ci_u32_e64 v18, s4, s21, v6, s4
	global_load_b128 v[17:20], v[17:18], off
	s_waitcnt vmcnt(0)
	ds_store_2addr_b64 v8, v[17:18], v[19:20] offset1:1
.LBB127_81:
	s_or_b32 exec_lo, exec_lo, s5
	v_add_nc_u32_e32 v8, 16, v9
	s_delay_alu instid0(VALU_DEP_1) | instskip(NEXT) | instid1(VALU_DEP_1)
	v_cmp_le_i32_e64 s4, s8, v8
	s_and_saveexec_b32 s5, s4
	s_delay_alu instid0(SALU_CYCLE_1)
	s_xor_b32 s4, exec_lo, s5
	s_cbranch_execz .LBB127_83
; %bb.82:
	v_mul_u32_u24_e32 v10, 33, v8
	v_mov_b32_e32 v17, 0
	s_delay_alu instid0(VALU_DEP_2) | instskip(NEXT) | instid1(VALU_DEP_2)
	v_add_lshl_u32 v10, v10, v4, 4
	v_mov_b32_e32 v18, v17
	v_mov_b32_e32 v19, v17
	v_mov_b32_e32 v20, v17
	ds_store_b128 v10, v[17:20]
.LBB127_83:
	s_and_not1_saveexec_b32 s5, s4
	s_cbranch_execz .LBB127_85
; %bb.84:
	s_lshl_b32 s20, s18, 4
	v_add_nc_u32_e32 v10, 0x2100, v16
	s_ashr_i32 s21, s20, 31
	s_delay_alu instid0(SALU_CYCLE_1) | instskip(NEXT) | instid1(SALU_CYCLE_1)
	s_lshl_b64 s[20:21], s[20:21], 4
	v_add_co_u32 v17, s4, v5, s20
	s_delay_alu instid0(VALU_DEP_1)
	v_add_co_ci_u32_e64 v18, s4, s21, v6, s4
	global_load_b128 v[17:20], v[17:18], off
	s_waitcnt vmcnt(0)
	ds_store_2addr_b64 v10, v[17:18], v[19:20] offset1:1
.LBB127_85:
	s_or_b32 exec_lo, exec_lo, s5
	v_add_nc_u32_e32 v10, 24, v9
                                        ; implicit-def: $vgpr14
	s_delay_alu instid0(VALU_DEP_1) | instskip(NEXT) | instid1(VALU_DEP_1)
	v_cmp_le_i32_e64 s4, s8, v10
	s_and_saveexec_b32 s5, s4
	s_delay_alu instid0(SALU_CYCLE_1)
	s_xor_b32 s4, exec_lo, s5
	s_cbranch_execz .LBB127_87
; %bb.86:
	v_mad_u32_u24 v14, v10, 33, v4
	v_mov_b32_e32 v16, 0
	s_delay_alu instid0(VALU_DEP_1)
	v_dual_mov_b32 v17, v16 :: v_dual_lshlrev_b32 v4, 4, v14
	v_mov_b32_e32 v18, v16
	v_mov_b32_e32 v19, v16
	ds_store_b128 v4, v[16:19]
                                        ; implicit-def: $vgpr16
.LBB127_87:
	s_and_not1_saveexec_b32 s5, s4
	s_cbranch_execz .LBB127_89
; %bb.88:
	s_mul_i32 s20, s18, 24
	v_add_nc_u32_e32 v4, 0x3180, v16
	s_ashr_i32 s21, s20, 31
	v_add_nc_u32_e32 v14, 0x318, v11
	s_lshl_b64 s[20:21], s[20:21], 4
	s_delay_alu instid0(SALU_CYCLE_1) | instskip(NEXT) | instid1(VALU_DEP_1)
	v_add_co_u32 v17, s4, v5, s20
	v_add_co_ci_u32_e64 v18, s4, s21, v6, s4
	global_load_b128 v[17:20], v[17:18], off
	s_waitcnt vmcnt(0)
	ds_store_2addr_b64 v4, v[17:18], v[19:20] offset1:1
.LBB127_89:
	s_or_b32 exec_lo, exec_lo, s5
	v_add_co_u32 v4, s4, v5, v15
	s_delay_alu instid0(VALU_DEP_1) | instskip(NEXT) | instid1(VALU_DEP_2)
	v_add_co_ci_u32_e64 v5, s4, 0, v6, s4
	v_sub_co_u32 v4, s4, v4, s6
	s_delay_alu instid0(VALU_DEP_1) | instskip(NEXT) | instid1(VALU_DEP_2)
	v_subrev_co_ci_u32_e64 v5, s4, s7, v5, s4
	v_add_co_u32 v4, s4, 0x210, v4
	s_delay_alu instid0(VALU_DEP_1) | instskip(SKIP_1) | instid1(VALU_DEP_2)
	v_add_co_ci_u32_e64 v5, s4, 0, v5, s4
	v_add_nc_u32_e32 v6, 0x108, v11
	v_dual_cndmask_b32 v40, v4, v40 :: v_dual_cndmask_b32 v41, v5, v41
	v_add_nc_u32_e32 v5, 0x210, v11
.LBB127_90:
	v_lshlrev_b32_e32 v4, 4, v9
	v_lshlrev_b32_e32 v9, 4, v11
	s_waitcnt lgkmcnt(0)
	s_barrier
	buffer_gl0_inv
	ds_load_b128 v[15:18], v4 offset:18176
	ds_load_b128 v[19:22], v9
	v_lshlrev_b32_e32 v4, 4, v7
	v_lshlrev_b32_e32 v6, 4, v6
	;; [unrolled: 1-line block ×3, first 2 shown]
	s_waitcnt lgkmcnt(0)
	v_mul_f64 v[29:30], v[17:18], v[21:22]
	v_mul_f64 v[31:32], v[15:16], v[21:22]
	ds_load_b128 v[21:24], v4 offset:18176
	ds_load_b128 v[25:28], v6
	v_lshlrev_b32_e32 v4, 4, v8
	v_lshlrev_b32_e32 v8, 4, v5
	s_waitcnt lgkmcnt(0)
	v_mul_f64 v[33:34], v[23:24], v[27:28]
	v_mul_f64 v[27:28], v[21:22], v[27:28]
	v_fma_f64 v[29:30], v[15:16], v[19:20], -v[29:30]
	v_fma_f64 v[19:20], v[17:18], v[19:20], v[31:32]
	ds_load_b128 v[4:7], v4 offset:18176
	ds_load_b128 v[15:18], v8
	v_lshlrev_b32_e32 v8, 4, v10
	s_waitcnt lgkmcnt(0)
	v_mul_f64 v[31:32], v[6:7], v[17:18]
	v_mul_f64 v[46:47], v[4:5], v[17:18]
	v_fma_f64 v[21:22], v[21:22], v[25:26], -v[33:34]
	v_fma_f64 v[23:24], v[23:24], v[25:26], v[27:28]
	v_add_f64 v[25:26], v[29:30], 0
	v_add_f64 v[27:28], v[19:20], 0
	ds_load_b128 v[8:11], v8 offset:18176
	ds_load_b128 v[17:20], v14
	s_waitcnt lgkmcnt(0)
	v_mul_f64 v[29:30], v[10:11], v[19:20]
	v_mul_f64 v[19:20], v[8:9], v[19:20]
	v_fma_f64 v[4:5], v[4:5], v[15:16], -v[31:32]
	v_fma_f64 v[6:7], v[6:7], v[15:16], v[46:47]
	v_add_f64 v[14:15], v[25:26], v[21:22]
	v_add_f64 v[21:22], v[27:28], v[23:24]
	v_fma_f64 v[8:9], v[8:9], v[17:18], -v[29:30]
	v_fma_f64 v[10:11], v[10:11], v[17:18], v[19:20]
	s_delay_alu instid0(VALU_DEP_4) | instskip(NEXT) | instid1(VALU_DEP_4)
	v_add_f64 v[4:5], v[14:15], v[4:5]
	v_add_f64 v[6:7], v[21:22], v[6:7]
	s_delay_alu instid0(VALU_DEP_2) | instskip(NEXT) | instid1(VALU_DEP_2)
	v_add_f64 v[46:47], v[4:5], v[8:9]
	v_add_f64 v[48:49], v[6:7], v[10:11]
	ds_load_b128 v[28:31], v12
	ds_load_b128 v[20:23], v12 offset:16
	ds_load_b128 v[8:11], v12 offset:32
	;; [unrolled: 1-line block ×7, first 2 shown]
	s_waitcnt lgkmcnt(0)
	s_barrier
	buffer_gl0_inv
	ds_store_b128 v45, v[46:49]
	s_waitcnt lgkmcnt(0)
	s_barrier
	buffer_gl0_inv
	s_and_saveexec_b32 s4, s1
	s_cbranch_execz .LBB127_92
; %bb.91:
	v_lshlrev_b32_e32 v54, 4, v44
	ds_load_b128 v[46:49], v54
	ds_load_b128 v[50:53], v54 offset:16
	s_waitcnt lgkmcnt(1)
	v_add_f64 v[0:1], v[0:1], v[46:47]
	v_add_f64 v[2:3], v[2:3], v[48:49]
	s_waitcnt lgkmcnt(0)
	s_delay_alu instid0(VALU_DEP_2) | instskip(NEXT) | instid1(VALU_DEP_2)
	v_add_f64 v[50:51], v[0:1], v[50:51]
	v_add_f64 v[52:53], v[2:3], v[52:53]
	ds_load_b128 v[0:3], v54 offset:32
	ds_load_b128 v[46:49], v54 offset:48
	s_waitcnt lgkmcnt(1)
	v_add_f64 v[0:1], v[50:51], v[0:1]
	v_add_f64 v[2:3], v[52:53], v[2:3]
	s_waitcnt lgkmcnt(0)
	s_delay_alu instid0(VALU_DEP_2) | instskip(NEXT) | instid1(VALU_DEP_2)
	v_add_f64 v[50:51], v[0:1], v[46:47]
	v_add_f64 v[52:53], v[2:3], v[48:49]
	ds_load_b128 v[0:3], v54 offset:64
	;; [unrolled: 9-line block ×3, first 2 shown]
	ds_load_b128 v[46:49], v54 offset:112
	s_waitcnt lgkmcnt(1)
	v_add_f64 v[0:1], v[50:51], v[0:1]
	v_add_f64 v[2:3], v[52:53], v[2:3]
	s_waitcnt lgkmcnt(0)
	s_delay_alu instid0(VALU_DEP_2) | instskip(NEXT) | instid1(VALU_DEP_2)
	v_add_f64 v[0:1], v[0:1], v[46:47]
	v_add_f64 v[2:3], v[2:3], v[48:49]
.LBB127_92:
	s_or_b32 exec_lo, exec_lo, s4
	v_mul_f64 v[46:47], v[30:31], v[34:35]
	v_mul_f64 v[34:35], v[28:29], v[34:35]
	;; [unrolled: 1-line block ×4, first 2 shown]
	s_barrier
	buffer_gl0_inv
	v_fma_f64 v[28:29], v[28:29], v[32:33], -v[46:47]
	v_fma_f64 v[30:31], v[30:31], v[32:33], v[34:35]
	v_mul_f64 v[32:33], v[10:11], v[18:19]
	v_mul_f64 v[18:19], v[8:9], v[18:19]
	v_fma_f64 v[20:21], v[20:21], v[24:25], -v[48:49]
	v_fma_f64 v[22:23], v[22:23], v[24:25], v[26:27]
	v_add_f64 v[24:25], v[28:29], 0
	v_add_f64 v[26:27], v[30:31], 0
	v_mul_f64 v[28:29], v[6:7], v[14:15]
	v_mul_f64 v[14:15], v[4:5], v[14:15]
	v_fma_f64 v[8:9], v[8:9], v[16:17], -v[32:33]
	v_fma_f64 v[10:11], v[10:11], v[16:17], v[18:19]
	v_add_f64 v[16:17], v[24:25], v[20:21]
	v_add_f64 v[18:19], v[26:27], v[22:23]
	v_fma_f64 v[4:5], v[4:5], v[12:13], -v[28:29]
	v_fma_f64 v[6:7], v[6:7], v[12:13], v[14:15]
	s_delay_alu instid0(VALU_DEP_4) | instskip(NEXT) | instid1(VALU_DEP_4)
	v_add_f64 v[8:9], v[16:17], v[8:9]
	v_add_f64 v[10:11], v[18:19], v[10:11]
	s_delay_alu instid0(VALU_DEP_2) | instskip(NEXT) | instid1(VALU_DEP_2)
	v_add_f64 v[4:5], v[8:9], v[4:5]
	v_add_f64 v[6:7], v[10:11], v[6:7]
	ds_store_b128 v45, v[4:7]
	s_waitcnt lgkmcnt(0)
	s_barrier
	buffer_gl0_inv
	s_and_saveexec_b32 s1, s0
	s_cbranch_execz .LBB127_94
; %bb.93:
	v_lshlrev_b32_e32 v12, 4, v44
	ds_load_b128 v[4:7], v12
	ds_load_b128 v[8:11], v12 offset:16
	s_waitcnt lgkmcnt(1)
	v_add_f64 v[0:1], v[0:1], v[4:5]
	v_add_f64 v[2:3], v[2:3], v[6:7]
	s_waitcnt lgkmcnt(0)
	s_delay_alu instid0(VALU_DEP_2) | instskip(NEXT) | instid1(VALU_DEP_2)
	v_add_f64 v[8:9], v[0:1], v[8:9]
	v_add_f64 v[10:11], v[2:3], v[10:11]
	ds_load_b128 v[0:3], v12 offset:32
	ds_load_b128 v[4:7], v12 offset:48
	s_waitcnt lgkmcnt(1)
	v_add_f64 v[0:1], v[8:9], v[0:1]
	v_add_f64 v[2:3], v[10:11], v[2:3]
	s_waitcnt lgkmcnt(0)
	s_delay_alu instid0(VALU_DEP_2) | instskip(NEXT) | instid1(VALU_DEP_2)
	v_add_f64 v[8:9], v[0:1], v[4:5]
	v_add_f64 v[10:11], v[2:3], v[6:7]
	ds_load_b128 v[0:3], v12 offset:64
	;; [unrolled: 9-line block ×3, first 2 shown]
	ds_load_b128 v[4:7], v12 offset:112
	s_waitcnt lgkmcnt(1)
	v_add_f64 v[0:1], v[8:9], v[0:1]
	v_add_f64 v[2:3], v[10:11], v[2:3]
	s_waitcnt lgkmcnt(0)
	s_delay_alu instid0(VALU_DEP_2) | instskip(NEXT) | instid1(VALU_DEP_2)
	v_add_f64 v[0:1], v[0:1], v[4:5]
	v_add_f64 v[2:3], v[2:3], v[6:7]
.LBB127_94:
	s_or_b32 exec_lo, exec_lo, s1
	s_mul_hi_u32 s0, s25, s15
	s_mul_i32 s27, s27, s15
	s_mul_i32 s1, s25, s15
	s_add_i32 s0, s0, s27
	s_mul_hi_u32 s5, s1, s26
	s_mul_i32 s4, s0, s26
	s_mul_i32 s0, s1, s26
	s_add_i32 s1, s5, s4
	s_mul_i32 s4, s14, s25
	s_lshl_b64 s[0:1], s[0:1], 4
	v_cmp_le_i32_e32 vcc_lo, s8, v42
	s_add_u32 s6, s10, s0
	s_addc_u32 s7, s11, s1
	s_ashr_i32 s5, s4, 31
	v_lshlrev_b32_e32 v150, 4, v42
	s_lshl_b64 s[0:1], s[4:5], 4
	s_delay_alu instid0(SALU_CYCLE_1)
	s_add_u32 s10, s6, s0
	s_addc_u32 s11, s7, s1
	s_and_b32 vcc_lo, s13, vcc_lo
	s_cmp_lt_i32 s14, 1
	s_barrier
	buffer_gl0_inv
	s_cbranch_scc1 .LBB127_101
; %bb.95:
	v_mul_lo_u32 v4, v149, s18
	v_sub_co_u32 v7, s0, v40, s16
	s_delay_alu instid0(VALU_DEP_1) | instskip(SKIP_1) | instid1(VALU_DEP_2)
	v_subrev_co_ci_u32_e64 v8, s0, s17, v41, s0
	s_ashr_i32 s9, s8, 31
	v_sub_co_u32 v7, s0, v7, v38
	s_delay_alu instid0(VALU_DEP_4) | instskip(NEXT) | instid1(VALU_DEP_3)
	v_lshl_add_u32 v4, v4, 2, v42
	v_sub_co_ci_u32_e64 v8, s0, v8, v39, s0
	s_lshl_b64 s[6:7], s[8:9], 4
	v_dual_mov_b32 v146, 0 :: v_dual_and_b32 v9, 48, v42
	s_delay_alu instid0(VALU_DEP_3)
	v_ashrrev_i32_e32 v5, 31, v4
	s_mul_i32 s4, s12, s24
	v_or_b32_e32 v10, 0xf0, v150
	s_ashr_i32 s5, s4, 31
	v_add_nc_u32_e32 v154, 0x4700, v150
	v_lshlrev_b64 v[4:5], 4, v[4:5]
	s_lshl_b64 s[4:5], s[4:5], 4
	v_lshl_add_u32 v158, v149, 6, 0x4300
	v_mad_u32_u24 v159, 0x10c0, v149, v150
	s_ashr_i32 s19, s18, 31
	s_lshl_b32 s8, s24, 6
	v_add_co_u32 v4, s0, v7, v4
	s_delay_alu instid0(VALU_DEP_1) | instskip(SKIP_1) | instid1(VALU_DEP_2)
	v_add_co_ci_u32_e64 v5, s0, v8, v5, s0
	s_mul_hi_i32 s9, s18, 0xd0
	v_sub_co_u32 v7, s0, v4, v150
	s_delay_alu instid0(VALU_DEP_1) | instskip(SKIP_1) | instid1(VALU_DEP_2)
	v_subrev_co_ci_u32_e64 v8, s0, 0, v5, s0
	s_mul_i32 s12, s18, 0xd0
	v_add_co_u32 v7, s0, v7, s6
	s_delay_alu instid0(VALU_DEP_1) | instskip(SKIP_1) | instid1(VALU_DEP_1)
	v_add_co_ci_u32_e64 v8, s0, s7, v8, s0
	v_add_co_u32 v4, s0, 0xfffffe00, v4
	v_add_co_ci_u32_e64 v5, s0, -1, v5, s0
	s_delay_alu instid0(VALU_DEP_4) | instskip(NEXT) | instid1(VALU_DEP_1)
	v_add_co_u32 v7, s0, 0xfffffdf0, v7
	v_add_co_ci_u32_e64 v8, s0, -1, v8, s0
	v_and_b32_e32 v6, 15, v42
	s_delay_alu instid0(VALU_DEP_3) | instskip(NEXT) | instid1(VALU_DEP_3)
	v_dual_cndmask_b32 v4, v4, v7 :: v_dual_add_nc_u32 v153, 0x4300, v150
	v_cndmask_b32_e32 v5, v5, v8, vcc_lo
	v_lshlrev_b32_e32 v7, 2, v43
	v_lshlrev_b32_e32 v8, 4, v9
	v_sub_co_u32 v151, s0, v36, s4
	s_delay_alu instid0(VALU_DEP_1) | instskip(NEXT) | instid1(VALU_DEP_4)
	v_subrev_co_ci_u32_e64 v152, s0, s5, v37, s0
	v_and_b32_e32 v7, 0x7ffc0, v7
	s_delay_alu instid0(VALU_DEP_4)
	v_mad_u32_u24 v155, 0x430, v6, v8
	v_and_b32_e32 v8, 0x1fff0, v43
	v_cmp_gt_u32_e64 s0, 64, v43
	v_mad_u32_u24 v156, 0x430, v6, v10
	v_mad_u32_u24 v157, 0x430, v6, v7
	v_or_b32_e32 v145, v9, v6
	v_mad_u32_u24 v160, 0x430, v6, v8
	s_lshl_b64 s[4:5], s[18:19], 4
	s_mov_b32 s6, 0
	s_branch .LBB127_97
.LBB127_96:                             ;   in Loop: Header=BB127_97 Depth=1
	s_or_b32 exec_lo, exec_lo, s7
	v_mul_f64 v[108:109], v[10:11], v[38:39]
	v_mul_f64 v[38:39], v[8:9], v[38:39]
	;; [unrolled: 1-line block ×4, first 2 shown]
	v_add_nc_u32_e32 v145, 64, v145
	s_add_i32 s14, s14, -1
	s_add_i32 s6, s6, s8
	s_cmp_eq_u32 s14, 0
	s_waitcnt_vscnt null, 0x0
	s_barrier
	buffer_gl0_inv
	v_fma_f64 v[8:9], v[8:9], v[36:37], -v[108:109]
	v_fma_f64 v[10:11], v[10:11], v[36:37], v[38:39]
	v_mul_f64 v[36:37], v[14:15], v[46:47]
	v_mul_f64 v[38:39], v[12:13], v[46:47]
	v_fma_f64 v[16:17], v[16:17], v[48:49], -v[110:111]
	v_fma_f64 v[18:19], v[18:19], v[48:49], v[50:51]
	v_add_f64 v[0:1], v[0:1], v[8:9]
	v_add_f64 v[2:3], v[2:3], v[10:11]
	v_mul_f64 v[8:9], v[6:7], v[42:43]
	v_mul_f64 v[10:11], v[4:5], v[42:43]
	v_fma_f64 v[12:13], v[12:13], v[44:45], -v[36:37]
	v_fma_f64 v[14:15], v[14:15], v[44:45], v[38:39]
	v_add_f64 v[0:1], v[0:1], v[16:17]
	v_add_f64 v[2:3], v[2:3], v[18:19]
	v_mul_f64 v[16:17], v[34:35], v[74:75]
	v_mul_f64 v[18:19], v[32:33], v[74:75]
	v_fma_f64 v[4:5], v[4:5], v[40:41], -v[8:9]
	v_fma_f64 v[6:7], v[6:7], v[40:41], v[10:11]
	v_mul_f64 v[8:9], v[30:31], v[82:83]
	v_mul_f64 v[10:11], v[28:29], v[82:83]
	v_add_f64 v[0:1], v[0:1], v[12:13]
	v_add_f64 v[2:3], v[2:3], v[14:15]
	v_fma_f64 v[12:13], v[32:33], v[72:73], -v[16:17]
	v_fma_f64 v[14:15], v[34:35], v[72:73], v[18:19]
	v_fma_f64 v[8:9], v[28:29], v[80:81], -v[8:9]
	v_fma_f64 v[10:11], v[30:31], v[80:81], v[10:11]
	v_add_f64 v[0:1], v[0:1], v[4:5]
	v_add_f64 v[2:3], v[2:3], v[6:7]
	v_mul_f64 v[4:5], v[26:27], v[78:79]
	v_mul_f64 v[6:7], v[24:25], v[78:79]
	s_delay_alu instid0(VALU_DEP_4) | instskip(NEXT) | instid1(VALU_DEP_4)
	v_add_f64 v[0:1], v[0:1], v[12:13]
	v_add_f64 v[2:3], v[2:3], v[14:15]
	v_mul_f64 v[12:13], v[22:23], v[70:71]
	v_mul_f64 v[14:15], v[20:21], v[70:71]
	v_fma_f64 v[4:5], v[24:25], v[76:77], -v[4:5]
	v_fma_f64 v[6:7], v[26:27], v[76:77], v[6:7]
	v_add_f64 v[0:1], v[0:1], v[8:9]
	v_add_f64 v[2:3], v[2:3], v[10:11]
	v_mul_f64 v[8:9], v[66:67], v[102:103]
	v_mul_f64 v[10:11], v[64:65], v[102:103]
	v_fma_f64 v[12:13], v[20:21], v[68:69], -v[12:13]
	v_fma_f64 v[14:15], v[22:23], v[68:69], v[14:15]
	;; [unrolled: 6-line block ×9, first 2 shown]
	v_add_f64 v[0:1], v[0:1], v[12:13]
	v_add_f64 v[2:3], v[2:3], v[14:15]
	v_fma_f64 v[4:5], v[120:121], v[128:129], -v[4:5]
	v_fma_f64 v[6:7], v[122:123], v[128:129], v[6:7]
	s_delay_alu instid0(VALU_DEP_4) | instskip(NEXT) | instid1(VALU_DEP_4)
	v_add_f64 v[0:1], v[0:1], v[8:9]
	v_add_f64 v[2:3], v[2:3], v[10:11]
	s_delay_alu instid0(VALU_DEP_2) | instskip(NEXT) | instid1(VALU_DEP_2)
	v_add_f64 v[0:1], v[0:1], v[4:5]
	v_add_f64 v[2:3], v[2:3], v[6:7]
	v_add_co_u32 v4, s1, v147, s12
	s_delay_alu instid0(VALU_DEP_1)
	v_add_co_ci_u32_e64 v5, s1, s9, v148, s1
	s_cbranch_scc1 .LBB127_101
.LBB127_97:                             ; =>This Inner Loop Header: Depth=1
	s_and_saveexec_b32 s13, s3
	s_cbranch_execz .LBB127_99
; %bb.98:                               ;   in Loop: Header=BB127_97 Depth=1
	s_ashr_i32 s7, s6, 31
	s_delay_alu instid0(SALU_CYCLE_1) | instskip(NEXT) | instid1(SALU_CYCLE_1)
	s_lshl_b64 s[16:17], s[6:7], 4
	v_add_co_u32 v6, s1, v151, s16
	s_delay_alu instid0(VALU_DEP_1)
	v_add_co_ci_u32_e64 v7, s1, s17, v152, s1
	global_load_b128 v[6:9], v[6:7], off
	s_waitcnt vmcnt(0)
	ds_store_2addr_b64 v153, v[6:7], v[8:9] offset1:1
.LBB127_99:                             ;   in Loop: Header=BB127_97 Depth=1
	s_or_b32 exec_lo, exec_lo, s13
	v_add_co_u32 v6, s1, v4, s4
	s_delay_alu instid0(VALU_DEP_1) | instskip(SKIP_1) | instid1(VALU_DEP_2)
	v_add_co_ci_u32_e64 v7, s1, s5, v5, s1
	s_waitcnt lgkmcnt(0)
	v_add_co_u32 v12, s1, v6, s4
	s_delay_alu instid0(VALU_DEP_1) | instskip(SKIP_1) | instid1(VALU_DEP_2)
	v_add_co_ci_u32_e64 v13, s1, s5, v7, s1
	s_barrier
	v_add_co_u32 v34, s1, v12, s4
	buffer_gl0_inv
	global_load_b128 v[8:11], v[4:5], off
	v_add_co_ci_u32_e64 v35, s1, s5, v13, s1
	s_clause 0x2
	global_load_b128 v[16:19], v[6:7], off
	global_load_b128 v[12:15], v[12:13], off
	;; [unrolled: 1-line block ×3, first 2 shown]
	ds_load_b128 v[20:23], v154
	ds_load_b128 v[36:39], v158
	s_waitcnt vmcnt(3) lgkmcnt(1)
	v_mul_f64 v[24:25], v[10:11], v[22:23]
	v_mul_f64 v[26:27], v[8:9], v[22:23]
	s_waitcnt vmcnt(2)
	v_mul_f64 v[28:29], v[18:19], v[22:23]
	v_mul_f64 v[30:31], v[16:17], v[22:23]
	s_waitcnt vmcnt(1)
	;; [unrolled: 3-line block ×3, first 2 shown]
	v_mul_f64 v[42:43], v[6:7], v[22:23]
	v_mul_f64 v[44:45], v[4:5], v[22:23]
	v_fma_f64 v[22:23], v[8:9], v[20:21], -v[24:25]
	v_fma_f64 v[24:25], v[10:11], v[20:21], v[26:27]
	v_fma_f64 v[26:27], v[16:17], v[20:21], -v[28:29]
	v_fma_f64 v[28:29], v[18:19], v[20:21], v[30:31]
	;; [unrolled: 2-line block ×4, first 2 shown]
	v_add_co_u32 v20, s1, v34, s12
	s_delay_alu instid0(VALU_DEP_1) | instskip(NEXT) | instid1(VALU_DEP_2)
	v_add_co_ci_u32_e64 v21, s1, s9, v35, s1
	v_add_co_u32 v56, s1, v20, s4
	s_delay_alu instid0(VALU_DEP_1) | instskip(NEXT) | instid1(VALU_DEP_2)
	v_add_co_ci_u32_e64 v57, s1, s5, v21, s1
	;; [unrolled: 3-line block ×3, first 2 shown]
	v_add_co_u32 v66, s1, v58, s4
	s_delay_alu instid0(VALU_DEP_1)
	v_add_co_ci_u32_e64 v67, s1, s5, v59, s1
	ds_store_b128 v159, v[22:25]
	ds_load_b128 v[48:51], v158 offset:16
	ds_store_b128 v159, v[26:29] offset:1072
	ds_load_b128 v[44:47], v158 offset:32
	ds_store_b128 v159, v[30:33] offset:2144
	;; [unrolled: 2-line block ×3, first 2 shown]
	s_waitcnt lgkmcnt(0)
	s_barrier
	buffer_gl0_inv
	ds_load_b128 v[128:131], v157
	ds_load_b128 v[140:143], v157 offset:16
	ds_load_b128 v[116:119], v157 offset:32
	;; [unrolled: 1-line block ×3, first 2 shown]
	s_waitcnt lgkmcnt(0)
	s_barrier
	buffer_gl0_inv
	s_clause 0x2
	global_load_b128 v[32:35], v[20:21], off
	global_load_b128 v[28:31], v[56:57], off
	;; [unrolled: 1-line block ×4, first 2 shown]
	ds_load_b128 v[52:55], v154
	ds_load_b128 v[72:75], v158 offset:256
	v_add_f64 v[205:206], v[128:129], 0
	v_add_f64 v[207:208], v[130:131], 0
	s_waitcnt vmcnt(2) lgkmcnt(1)
	v_mul_f64 v[60:61], v[30:31], v[54:55]
	v_mul_f64 v[56:57], v[34:35], v[54:55]
	;; [unrolled: 1-line block ×4, first 2 shown]
	s_waitcnt vmcnt(1)
	v_mul_f64 v[64:65], v[26:27], v[54:55]
	v_mul_f64 v[68:69], v[24:25], v[54:55]
	s_waitcnt vmcnt(0)
	v_mul_f64 v[70:71], v[22:23], v[54:55]
	v_mul_f64 v[76:77], v[20:21], v[54:55]
	v_fma_f64 v[54:55], v[32:33], v[52:53], -v[56:57]
	v_fma_f64 v[56:57], v[34:35], v[52:53], v[58:59]
	v_fma_f64 v[58:59], v[28:29], v[52:53], -v[60:61]
	v_fma_f64 v[60:61], v[30:31], v[52:53], v[62:63]
	;; [unrolled: 2-line block ×4, first 2 shown]
	v_add_co_u32 v52, s1, v66, s12
	s_delay_alu instid0(VALU_DEP_1) | instskip(NEXT) | instid1(VALU_DEP_2)
	v_add_co_ci_u32_e64 v53, s1, s9, v67, s1
	v_add_co_u32 v88, s1, v52, s4
	s_delay_alu instid0(VALU_DEP_1) | instskip(NEXT) | instid1(VALU_DEP_2)
	v_add_co_ci_u32_e64 v89, s1, s5, v53, s1
	;; [unrolled: 3-line block ×3, first 2 shown]
	v_add_co_u32 v98, s1, v90, s4
	s_delay_alu instid0(VALU_DEP_1)
	v_add_co_ci_u32_e64 v99, s1, s5, v91, s1
	ds_store_b128 v159, v[54:57]
	ds_load_b128 v[80:83], v158 offset:272
	ds_store_b128 v159, v[58:61] offset:1072
	ds_load_b128 v[76:79], v158 offset:288
	ds_store_b128 v159, v[62:65] offset:2144
	;; [unrolled: 2-line block ×3, first 2 shown]
	s_waitcnt lgkmcnt(0)
	s_barrier
	buffer_gl0_inv
	ds_load_b128 v[161:164], v157
	ds_load_b128 v[165:168], v157 offset:16
	ds_load_b128 v[169:172], v157 offset:32
	;; [unrolled: 1-line block ×3, first 2 shown]
	s_waitcnt lgkmcnt(0)
	s_barrier
	buffer_gl0_inv
	global_load_b128 v[64:67], v[52:53], off
	global_load_b128 v[60:63], v[88:89], off
	;; [unrolled: 1-line block ×4, first 2 shown]
	ds_load_b128 v[84:87], v154
	ds_load_b128 v[100:103], v158 offset:512
	v_add_f64 v[161:162], v[161:162], 0
	v_add_f64 v[163:164], v[163:164], 0
	s_delay_alu instid0(VALU_DEP_2) | instskip(NEXT) | instid1(VALU_DEP_2)
	v_add_f64 v[161:162], v[161:162], v[165:166]
	v_add_f64 v[163:164], v[163:164], v[167:168]
	s_delay_alu instid0(VALU_DEP_2) | instskip(NEXT) | instid1(VALU_DEP_2)
	v_add_f64 v[161:162], v[161:162], v[169:170]
	v_add_f64 v[163:164], v[163:164], v[171:172]
	s_waitcnt vmcnt(2) lgkmcnt(1)
	v_mul_f64 v[92:93], v[62:63], v[86:87]
	v_mul_f64 v[88:89], v[66:67], v[86:87]
	;; [unrolled: 1-line block ×4, first 2 shown]
	s_waitcnt vmcnt(1)
	v_mul_f64 v[96:97], v[58:59], v[86:87]
	v_mul_f64 v[104:105], v[56:57], v[86:87]
	s_waitcnt vmcnt(0)
	v_mul_f64 v[106:107], v[54:55], v[86:87]
	v_mul_f64 v[112:113], v[52:53], v[86:87]
	v_fma_f64 v[86:87], v[64:65], v[84:85], -v[88:89]
	v_fma_f64 v[88:89], v[66:67], v[84:85], v[90:91]
	v_fma_f64 v[90:91], v[60:61], v[84:85], -v[92:93]
	v_fma_f64 v[92:93], v[62:63], v[84:85], v[94:95]
	v_fma_f64 v[94:95], v[56:57], v[84:85], -v[96:97]
	v_fma_f64 v[96:97], v[58:59], v[84:85], v[104:105]
	v_fma_f64 v[120:121], v[52:53], v[84:85], -v[106:107]
	v_fma_f64 v[122:123], v[54:55], v[84:85], v[112:113]
	v_add_co_u32 v84, s1, v98, s12
	s_delay_alu instid0(VALU_DEP_1) | instskip(NEXT) | instid1(VALU_DEP_2)
	v_add_co_ci_u32_e64 v85, s1, s9, v99, s1
	v_add_co_u32 v124, s1, v84, s4
	s_delay_alu instid0(VALU_DEP_1) | instskip(NEXT) | instid1(VALU_DEP_2)
	v_add_co_ci_u32_e64 v125, s1, s5, v85, s1
	;; [unrolled: 3-line block ×3, first 2 shown]
	v_add_co_u32 v147, s1, v136, s4
	s_delay_alu instid0(VALU_DEP_1)
	v_add_co_ci_u32_e64 v148, s1, s5, v137, s1
	ds_store_b128 v159, v[86:89]
	ds_load_b128 v[112:115], v158 offset:528
	ds_store_b128 v159, v[90:93] offset:1072
	ds_load_b128 v[104:107], v158 offset:544
	ds_store_b128 v159, v[94:97] offset:2144
	;; [unrolled: 2-line block ×3, first 2 shown]
	s_waitcnt lgkmcnt(0)
	s_barrier
	buffer_gl0_inv
	ds_load_b128 v[177:180], v157
	ds_load_b128 v[181:184], v157 offset:16
	ds_load_b128 v[185:188], v157 offset:32
	;; [unrolled: 1-line block ×3, first 2 shown]
	s_waitcnt lgkmcnt(0)
	s_barrier
	buffer_gl0_inv
	global_load_b128 v[88:91], v[84:85], off
	global_load_b128 v[84:87], v[124:125], off
	;; [unrolled: 1-line block ×3, first 2 shown]
	ds_load_b128 v[132:135], v154
	ds_load_b128 v[124:127], v158 offset:768
	v_add_f64 v[177:178], v[177:178], 0
	v_add_f64 v[179:180], v[179:180], 0
	s_delay_alu instid0(VALU_DEP_2) | instskip(NEXT) | instid1(VALU_DEP_2)
	v_add_f64 v[165:166], v[177:178], v[181:182]
	v_add_f64 v[167:168], v[179:180], v[183:184]
	s_delay_alu instid0(VALU_DEP_2) | instskip(NEXT) | instid1(VALU_DEP_2)
	v_add_f64 v[165:166], v[165:166], v[185:186]
	v_add_f64 v[167:168], v[167:168], v[187:188]
	s_waitcnt vmcnt(2) lgkmcnt(1)
	v_mul_f64 v[120:121], v[90:91], v[134:135]
	v_mul_f64 v[122:123], v[88:89], v[134:135]
	s_waitcnt vmcnt(1)
	v_mul_f64 v[193:194], v[86:87], v[134:135]
	v_mul_f64 v[195:196], v[84:85], v[134:135]
	s_waitcnt vmcnt(0)
	v_mul_f64 v[197:198], v[94:95], v[134:135]
	v_mul_f64 v[199:200], v[92:93], v[134:135]
	v_fma_f64 v[136:137], v[88:89], v[132:133], -v[120:121]
	v_fma_f64 v[138:139], v[90:91], v[132:133], v[122:123]
	global_load_b128 v[120:123], v[147:148], off
	v_fma_f64 v[193:194], v[84:85], v[132:133], -v[193:194]
	v_fma_f64 v[195:196], v[86:87], v[132:133], v[195:196]
	v_fma_f64 v[197:198], v[92:93], v[132:133], -v[197:198]
	v_fma_f64 v[199:200], v[94:95], v[132:133], v[199:200]
	ds_store_b128 v159, v[136:139]
	ds_load_b128 v[136:139], v158 offset:784
	ds_store_b128 v159, v[193:196] offset:1072
	s_waitcnt vmcnt(0)
	v_mul_f64 v[201:202], v[122:123], v[134:135]
	v_mul_f64 v[134:135], v[120:121], v[134:135]
	s_delay_alu instid0(VALU_DEP_2) | instskip(NEXT) | instid1(VALU_DEP_2)
	v_fma_f64 v[201:202], v[120:121], v[132:133], -v[201:202]
	v_fma_f64 v[203:204], v[122:123], v[132:133], v[134:135]
	ds_load_b128 v[132:135], v158 offset:800
	ds_store_b128 v159, v[197:200] offset:2144
	ds_load_b128 v[128:131], v158 offset:816
	v_add_f64 v[197:198], v[205:206], v[140:141]
	v_add_f64 v[199:200], v[207:208], v[142:143]
	ds_store_b128 v159, v[201:204] offset:3216
	s_waitcnt lgkmcnt(0)
	s_barrier
	buffer_gl0_inv
	ds_load_b128 v[193:196], v157
	ds_load_b128 v[140:143], v157 offset:16
	v_add_f64 v[181:182], v[197:198], v[116:117]
	v_add_f64 v[183:184], v[199:200], v[118:119]
	ds_load_b128 v[116:119], v157 offset:48
	s_waitcnt lgkmcnt(2)
	v_add_f64 v[193:194], v[193:194], 0
	v_add_f64 v[195:196], v[195:196], 0
	;; [unrolled: 1-line block ×4, first 2 shown]
	s_waitcnt lgkmcnt(1)
	s_delay_alu instid0(VALU_DEP_4) | instskip(NEXT) | instid1(VALU_DEP_4)
	v_add_f64 v[177:178], v[193:194], v[140:141]
	v_add_f64 v[179:180], v[195:196], v[142:143]
	ds_load_b128 v[140:143], v157 offset:32
	s_waitcnt lgkmcnt(0)
	s_barrier
	buffer_gl0_inv
	v_add_f64 v[169:170], v[177:178], v[140:141]
	v_add_f64 v[171:172], v[179:180], v[142:143]
	;; [unrolled: 1-line block ×8, first 2 shown]
	ds_store_b128 v160, v[108:111]
	ds_store_b128 v160, v[140:143] offset:256
	ds_store_b128 v160, v[161:164] offset:512
	;; [unrolled: 1-line block ×3, first 2 shown]
	s_waitcnt lgkmcnt(0)
	s_barrier
	buffer_gl0_inv
	s_and_saveexec_b32 s7, s0
	s_cbranch_execz .LBB127_96
; %bb.100:                              ;   in Loop: Header=BB127_97 Depth=1
	ds_load_b128 v[108:111], v155
	ds_load_b128 v[116:119], v155 offset:16
	s_waitcnt lgkmcnt(0)
	v_add_f64 v[140:141], v[116:117], v[108:109]
	v_add_f64 v[142:143], v[118:119], v[110:111]
	ds_load_b128 v[108:111], v155 offset:32
	ds_load_b128 v[116:119], v155 offset:48
	s_waitcnt lgkmcnt(1)
	v_add_f64 v[108:109], v[140:141], v[108:109]
	v_add_f64 v[110:111], v[142:143], v[110:111]
	s_waitcnt lgkmcnt(0)
	s_delay_alu instid0(VALU_DEP_2) | instskip(NEXT) | instid1(VALU_DEP_2)
	v_add_f64 v[140:141], v[108:109], v[116:117]
	v_add_f64 v[142:143], v[110:111], v[118:119]
	ds_load_b128 v[108:111], v155 offset:64
	ds_load_b128 v[116:119], v155 offset:80
	s_waitcnt lgkmcnt(1)
	v_add_f64 v[108:109], v[140:141], v[108:109]
	v_add_f64 v[110:111], v[142:143], v[110:111]
	s_waitcnt lgkmcnt(0)
	s_delay_alu instid0(VALU_DEP_2) | instskip(NEXT) | instid1(VALU_DEP_2)
	;; [unrolled: 9-line block ×6, first 2 shown]
	v_add_f64 v[140:141], v[108:109], v[116:117]
	v_add_f64 v[142:143], v[110:111], v[118:119]
	ds_load_b128 v[108:111], v155 offset:224
	ds_load_b128 v[116:119], v156
	s_waitcnt lgkmcnt(1)
	v_add_f64 v[108:109], v[140:141], v[108:109]
	v_add_f64 v[110:111], v[142:143], v[110:111]
	s_waitcnt lgkmcnt(0)
	s_delay_alu instid0(VALU_DEP_2) | instskip(NEXT) | instid1(VALU_DEP_2)
	v_add_f64 v[108:109], v[108:109], v[116:117]
	v_add_f64 v[110:111], v[110:111], v[118:119]
	v_lshlrev_b64 v[116:117], 4, v[145:146]
	s_delay_alu instid0(VALU_DEP_1) | instskip(NEXT) | instid1(VALU_DEP_1)
	v_add_co_u32 v116, s1, s10, v116
	v_add_co_ci_u32_e64 v117, s1, s11, v117, s1
	global_store_b128 v[116:117], v[108:111], off
	s_branch .LBB127_96
.LBB127_101:
	v_mad_u32_u24 v4, 0x430, v149, v150
	s_or_b32 s0, s2, vcc_lo
	s_delay_alu instid0(SALU_CYCLE_1)
	s_xor_b32 s0, s0, -1
	ds_store_b128 v4, v[0:3]
	s_waitcnt lgkmcnt(0)
	s_barrier
	buffer_gl0_inv
	s_and_saveexec_b32 s1, s0
	s_cbranch_execz .LBB127_103
; %bb.102:
	ds_load_b128 v[0:3], v150 offset:1072
	ds_load_b128 v[4:7], v150
	v_ashrrev_i32_e32 v145, 31, v144
	s_waitcnt lgkmcnt(0)
	v_add_f64 v[8:9], v[0:1], v[4:5]
	v_add_f64 v[10:11], v[2:3], v[6:7]
	ds_load_b128 v[0:3], v150 offset:2144
	ds_load_b128 v[4:7], v150 offset:3216
	s_waitcnt lgkmcnt(1)
	v_add_f64 v[0:1], v[8:9], v[0:1]
	v_add_f64 v[2:3], v[10:11], v[2:3]
	s_waitcnt lgkmcnt(0)
	s_delay_alu instid0(VALU_DEP_2) | instskip(NEXT) | instid1(VALU_DEP_2)
	v_add_f64 v[0:1], v[0:1], v[4:5]
	v_add_f64 v[2:3], v[2:3], v[6:7]
	v_lshlrev_b64 v[4:5], 4, v[144:145]
	s_delay_alu instid0(VALU_DEP_1) | instskip(NEXT) | instid1(VALU_DEP_2)
	v_add_co_u32 v4, vcc_lo, s10, v4
	v_add_co_ci_u32_e32 v5, vcc_lo, s11, v5, vcc_lo
	global_store_b128 v[4:5], v[0:3], off
.LBB127_103:
	s_nop 0
	s_sendmsg sendmsg(MSG_DEALLOC_VGPRS)
	s_endpgm
	.section	.rodata,"a",@progbits
	.p2align	6, 0x0
	.amdhsa_kernel _ZL26rocblas_hemvn_kernel_lowerILb0ELi64ELi4ELi33ELi32ELi16EiPK19rocblas_complex_numIdES3_PS1_EviT6_lT7_lT5_lS6_lS7_lS5_lT8_i
		.amdhsa_group_segment_fixed_size 19200
		.amdhsa_private_segment_fixed_size 0
		.amdhsa_kernarg_size 376
		.amdhsa_user_sgpr_count 14
		.amdhsa_user_sgpr_dispatch_ptr 0
		.amdhsa_user_sgpr_queue_ptr 0
		.amdhsa_user_sgpr_kernarg_segment_ptr 1
		.amdhsa_user_sgpr_dispatch_id 0
		.amdhsa_user_sgpr_private_segment_size 0
		.amdhsa_wavefront_size32 1
		.amdhsa_uses_dynamic_stack 0
		.amdhsa_enable_private_segment 0
		.amdhsa_system_sgpr_workgroup_id_x 1
		.amdhsa_system_sgpr_workgroup_id_y 0
		.amdhsa_system_sgpr_workgroup_id_z 1
		.amdhsa_system_sgpr_workgroup_info 0
		.amdhsa_system_vgpr_workitem_id 1
		.amdhsa_next_free_vgpr 209
		.amdhsa_next_free_sgpr 30
		.amdhsa_reserve_vcc 1
		.amdhsa_float_round_mode_32 0
		.amdhsa_float_round_mode_16_64 0
		.amdhsa_float_denorm_mode_32 3
		.amdhsa_float_denorm_mode_16_64 3
		.amdhsa_dx10_clamp 1
		.amdhsa_ieee_mode 1
		.amdhsa_fp16_overflow 0
		.amdhsa_workgroup_processor_mode 1
		.amdhsa_memory_ordered 1
		.amdhsa_forward_progress 0
		.amdhsa_shared_vgpr_count 0
		.amdhsa_exception_fp_ieee_invalid_op 0
		.amdhsa_exception_fp_denorm_src 0
		.amdhsa_exception_fp_ieee_div_zero 0
		.amdhsa_exception_fp_ieee_overflow 0
		.amdhsa_exception_fp_ieee_underflow 0
		.amdhsa_exception_fp_ieee_inexact 0
		.amdhsa_exception_int_div_zero 0
	.end_amdhsa_kernel
	.section	.text._ZL26rocblas_hemvn_kernel_lowerILb0ELi64ELi4ELi33ELi32ELi16EiPK19rocblas_complex_numIdES3_PS1_EviT6_lT7_lT5_lS6_lS7_lS5_lT8_i,"axG",@progbits,_ZL26rocblas_hemvn_kernel_lowerILb0ELi64ELi4ELi33ELi32ELi16EiPK19rocblas_complex_numIdES3_PS1_EviT6_lT7_lT5_lS6_lS7_lS5_lT8_i,comdat
.Lfunc_end127:
	.size	_ZL26rocblas_hemvn_kernel_lowerILb0ELi64ELi4ELi33ELi32ELi16EiPK19rocblas_complex_numIdES3_PS1_EviT6_lT7_lT5_lS6_lS7_lS5_lT8_i, .Lfunc_end127-_ZL26rocblas_hemvn_kernel_lowerILb0ELi64ELi4ELi33ELi32ELi16EiPK19rocblas_complex_numIdES3_PS1_EviT6_lT7_lT5_lS6_lS7_lS5_lT8_i
                                        ; -- End function
	.section	.AMDGPU.csdata,"",@progbits
; Kernel info:
; codeLenInByte = 10460
; NumSgprs: 32
; NumVgprs: 209
; ScratchSize: 0
; MemoryBound: 0
; FloatMode: 240
; IeeeMode: 1
; LDSByteSize: 19200 bytes/workgroup (compile time only)
; SGPRBlocks: 3
; VGPRBlocks: 26
; NumSGPRsForWavesPerEU: 32
; NumVGPRsForWavesPerEU: 209
; Occupancy: 7
; WaveLimiterHint : 1
; COMPUTE_PGM_RSRC2:SCRATCH_EN: 0
; COMPUTE_PGM_RSRC2:USER_SGPR: 14
; COMPUTE_PGM_RSRC2:TRAP_HANDLER: 0
; COMPUTE_PGM_RSRC2:TGID_X_EN: 1
; COMPUTE_PGM_RSRC2:TGID_Y_EN: 0
; COMPUTE_PGM_RSRC2:TGID_Z_EN: 1
; COMPUTE_PGM_RSRC2:TIDIG_COMP_CNT: 1
	.section	.text._ZL26rocblas_hemvn_kernel_lowerILb0ELi64ELi4ELi33ELi32ELi16El19rocblas_complex_numIdEPKS1_PS1_EviT6_lT7_lT5_lS6_lS7_lS5_lT8_i,"axG",@progbits,_ZL26rocblas_hemvn_kernel_lowerILb0ELi64ELi4ELi33ELi32ELi16El19rocblas_complex_numIdEPKS1_PS1_EviT6_lT7_lT5_lS6_lS7_lS5_lT8_i,comdat
	.globl	_ZL26rocblas_hemvn_kernel_lowerILb0ELi64ELi4ELi33ELi32ELi16El19rocblas_complex_numIdEPKS1_PS1_EviT6_lT7_lT5_lS6_lS7_lS5_lT8_i ; -- Begin function _ZL26rocblas_hemvn_kernel_lowerILb0ELi64ELi4ELi33ELi32ELi16El19rocblas_complex_numIdEPKS1_PS1_EviT6_lT7_lT5_lS6_lS7_lS5_lT8_i
	.p2align	8
	.type	_ZL26rocblas_hemvn_kernel_lowerILb0ELi64ELi4ELi33ELi32ELi16El19rocblas_complex_numIdEPKS1_PS1_EviT6_lT7_lT5_lS6_lS7_lS5_lT8_i,@function
_ZL26rocblas_hemvn_kernel_lowerILb0ELi64ELi4ELi33ELi32ELi16El19rocblas_complex_numIdEPKS1_PS1_EviT6_lT7_lT5_lS6_lS7_lS5_lT8_i: ; @_ZL26rocblas_hemvn_kernel_lowerILb0ELi64ELi4ELi33ELi32ELi16El19rocblas_complex_numIdEPKS1_PS1_EviT6_lT7_lT5_lS6_lS7_lS5_lT8_i
; %bb.0:
	s_load_b64 s[4:5], s[0:1], 0x94
	s_add_u32 s2, s0, 0x88
	s_addc_u32 s3, s1, 0
	s_waitcnt lgkmcnt(0)
	s_lshr_b32 s6, s4, 16
	s_and_b32 s4, s4, 0xffff
	s_and_b32 s5, s5, 0xffff
	s_mul_i32 s4, s6, s4
	s_delay_alu instid0(SALU_CYCLE_1) | instskip(NEXT) | instid1(SALU_CYCLE_1)
	s_mul_i32 s4, s4, s5
	s_cmpk_lg_i32 s4, 0x100
	s_cbranch_scc1 .LBB128_103
; %bb.1:
	s_load_b128 s[4:7], s[0:1], 0x8
	s_waitcnt lgkmcnt(0)
	v_cmp_neq_f64_e64 s4, s[4:5], 0
	v_cmp_neq_f64_e64 s5, s[6:7], 0
	s_delay_alu instid0(VALU_DEP_1)
	s_or_b32 s4, s4, s5
	s_mov_b32 s5, -1
	s_and_b32 vcc_lo, exec_lo, s4
	s_cbranch_vccnz .LBB128_3
; %bb.2:
	s_load_b128 s[8:11], s[0:1], 0x60
	s_waitcnt lgkmcnt(0)
	v_cmp_neq_f64_e64 s5, s[8:9], 1.0
	v_cmp_neq_f64_e64 s6, s[10:11], 0
	s_delay_alu instid0(VALU_DEP_1)
	s_or_b32 s5, s5, s6
.LBB128_3:
	s_delay_alu instid0(SALU_CYCLE_1)
	s_and_not1_b32 vcc_lo, exec_lo, s5
	s_cbranch_vccnz .LBB128_103
; %bb.4:
	s_and_not1_b32 vcc_lo, exec_lo, s4
	s_cbranch_vccnz .LBB128_103
; %bb.5:
	s_load_b512 s[16:31], s[0:1], 0x20
	v_and_b32_e32 v42, 0x3ff, v0
	v_bfe_u32 v138, v0, 10, 10
	s_waitcnt lgkmcnt(0)
	s_mul_i32 s5, s15, s31
	s_mul_hi_u32 s6, s15, s30
	s_mul_i32 s4, s15, s30
	s_add_i32 s5, s6, s5
	s_load_b32 s30, s[0:1], 0x0
	s_lshl_b64 s[4:5], s[4:5], 4
	s_delay_alu instid0(SALU_CYCLE_1)
	s_add_u32 s6, s24, s4
	s_addc_u32 s7, s25, s5
	s_lshl_b64 s[4:5], s[26:27], 4
	s_load_b32 s24, s[2:3], 0x0
	s_add_u32 s4, s6, s4
	s_addc_u32 s5, s7, s5
	s_lshl_b32 s10, s14, 6
	s_delay_alu instid0(SALU_CYCLE_1) | instskip(NEXT) | instid1(VALU_DEP_1)
	v_add_nc_u32_e32 v132, s10, v42
	v_ashrrev_i32_e32 v133, 31, v132
	v_mul_lo_u32 v3, v132, s29
	v_mad_u64_u32 v[1:2], null, v132, s28, 0
	s_waitcnt lgkmcnt(0)
	s_ashr_i32 s25, s30, 31
	v_mul_lo_u32 v4, v133, s28
	s_lshr_b32 s2, s25, 26
	s_delay_alu instid0(SALU_CYCLE_1) | instskip(SKIP_4) | instid1(VALU_DEP_2)
	s_add_i32 s3, s30, s2
	v_cmp_ne_u32_e64 s2, 0, v138
	s_and_not1_b32 s3, s3, 63
	s_add_i32 s6, s24, -1
	s_sub_i32 s7, s30, s3
	v_add3_u32 v2, v2, v3, v4
	v_cmp_eq_u32_e64 s3, 0, v138
	s_cmp_eq_u32 s14, s6
	s_cselect_b32 s12, s7, 0
	s_delay_alu instid0(VALU_DEP_2) | instskip(NEXT) | instid1(VALU_DEP_1)
	v_lshlrev_b64 v[0:1], 4, v[1:2]
	v_add_co_u32 v36, vcc_lo, s4, v0
	s_delay_alu instid0(VALU_DEP_2)
	v_add_co_ci_u32_e32 v37, vcc_lo, s5, v1, vcc_lo
	s_mov_b32 s4, -1
	s_and_saveexec_b32 s5, s3
	s_cbranch_execz .LBB128_10
; %bb.6:
	v_cmp_le_i32_e32 vcc_lo, s12, v42
	s_cmp_lg_u32 s12, 0
	v_lshl_add_u32 v0, v42, 4, 0x4700
	s_cselect_b32 s6, -1, 0
	s_delay_alu instid0(SALU_CYCLE_1) | instskip(NEXT) | instid1(SALU_CYCLE_1)
	s_and_b32 s6, s6, vcc_lo
	s_and_saveexec_b32 s7, s6
	s_delay_alu instid0(SALU_CYCLE_1)
	s_xor_b32 s6, exec_lo, s7
	s_cbranch_execz .LBB128_8
; %bb.7:
	v_mov_b32_e32 v1, 0
	s_delay_alu instid0(VALU_DEP_1)
	v_mov_b32_e32 v2, v1
	v_mov_b32_e32 v3, v1
	;; [unrolled: 1-line block ×3, first 2 shown]
	ds_store_b128 v0, v[1:4]
                                        ; implicit-def: $vgpr0
.LBB128_8:
	s_and_not1_saveexec_b32 s6, s6
	s_cbranch_execz .LBB128_10
; %bb.9:
	global_load_b128 v[1:4], v[36:37], off
	s_waitcnt vmcnt(0)
	ds_store_2addr_b64 v0, v[1:2], v[3:4] offset1:1
.LBB128_10:
	s_or_b32 exec_lo, exec_lo, s5
	v_lshl_add_u32 v43, v138, 6, v42
	v_dual_mov_b32 v5, 0 :: v_dual_and_b32 v4, 31, v42
	s_mul_i32 s5, s15, s23
	s_mul_hi_u32 s7, s15, s22
	s_delay_alu instid0(VALU_DEP_2)
	v_lshrrev_b32_e32 v9, 5, v43
	s_mul_i32 s6, s15, s22
	s_add_i32 s7, s7, s5
	s_mul_i32 s9, s10, s21
	s_lshl_b64 s[6:7], s[6:7], 4
	v_mad_u64_u32 v[0:1], null, v9, s20, v[4:5]
	s_add_u32 s5, s16, s6
	s_addc_u32 s8, s17, s7
	s_lshl_b64 s[6:7], s[18:19], 4
	s_mul_hi_u32 s13, s10, s20
	s_add_u32 s5, s5, s6
	s_addc_u32 s8, s8, s7
	s_delay_alu instid0(VALU_DEP_1) | instskip(SKIP_1) | instid1(SALU_CYCLE_1)
	v_mad_u64_u32 v[2:3], null, v9, s21, v[1:2]
	s_ashr_i32 s11, s10, 31
	s_lshl_b64 s[6:7], s[10:11], 4
	s_mul_i32 s16, s11, s20
	s_add_u32 s5, s5, s6
	s_addc_u32 s8, s8, s7
	s_delay_alu instid0(VALU_DEP_1) | instskip(SKIP_3) | instid1(SALU_CYCLE_1)
	v_mov_b32_e32 v1, v2
	s_add_i32 s7, s13, s9
	s_mul_i32 s6, s10, s20
	s_add_i32 s7, s7, s16
	s_lshl_b64 s[16:17], s[6:7], 4
	v_lshlrev_b64 v[38:39], 4, v[0:1]
	s_add_u32 s5, s16, s5
	s_addc_u32 s6, s17, s8
	s_cmp_lg_u32 s12, 0
	s_cselect_b32 s22, -1, 0
	s_delay_alu instid0(VALU_DEP_1)
	v_add_co_u32 v5, vcc_lo, s5, v38
	v_add_co_ci_u32_e32 v6, vcc_lo, s6, v39, vcc_lo
	s_cmp_eq_u32 s12, 0
	s_cselect_b32 s9, -1, 0
	s_and_b32 vcc_lo, exec_lo, s22
	s_cbranch_vccnz .LBB128_12
; %bb.11:
	v_mad_u64_u32 v[7:8], null, 0x180, s20, v[5:6]
	s_lshl_b64 s[4:5], s[20:21], 7
	s_delay_alu instid0(SALU_CYCLE_1) | instskip(SKIP_1) | instid1(VALU_DEP_3)
	v_add_co_u32 v10, vcc_lo, v5, s4
	v_add_co_ci_u32_e32 v11, vcc_lo, s5, v6, vcc_lo
	v_mov_b32_e32 v0, v8
	s_delay_alu instid0(VALU_DEP_3) | instskip(NEXT) | instid1(VALU_DEP_3)
	v_add_co_u32 v14, vcc_lo, v10, s4
	v_add_co_ci_u32_e32 v15, vcc_lo, s5, v11, vcc_lo
	s_delay_alu instid0(VALU_DEP_3) | instskip(SKIP_1) | instid1(VALU_DEP_1)
	v_mad_u64_u32 v[1:2], null, 0x180, s21, v[0:1]
	s_mov_b32 s4, 0
	v_mov_b32_e32 v8, v1
	s_clause 0x1
	global_load_b128 v[0:3], v[5:6], off
	global_load_b128 v[10:13], v[10:11], off
	global_load_b128 v[14:17], v[14:15], off
	global_load_b128 v[18:21], v[7:8], off
	v_mul_u32_u24_e32 v7, 33, v9
	s_delay_alu instid0(VALU_DEP_1) | instskip(NEXT) | instid1(VALU_DEP_1)
	v_add_lshl_u32 v7, v7, v4, 4
	v_add_nc_u32_e32 v23, 0x3180, v7
	v_add_nc_u32_e32 v22, 0x2100, v7
	;; [unrolled: 1-line block ×3, first 2 shown]
	s_waitcnt vmcnt(3)
	ds_store_2addr_b64 v7, v[0:1], v[2:3] offset1:1
	s_waitcnt vmcnt(2)
	ds_store_2addr_b64 v8, v[10:11], v[12:13] offset1:1
	;; [unrolled: 2-line block ×4, first 2 shown]
.LBB128_12:
	s_and_not1_b32 vcc_lo, exec_lo, s4
	s_cbranch_vccnz .LBB128_30
; %bb.13:
	v_lshlrev_b32_e32 v2, 4, v4
	s_ashr_i32 s13, s12, 31
	v_mul_u32_u24_e32 v3, 33, v9
	s_lshl_b64 s[6:7], s[12:13], 4
	v_cmp_le_i32_e64 s4, s12, v9
	v_sub_co_u32 v0, vcc_lo, v5, v2
	v_subrev_co_ci_u32_e32 v1, vcc_lo, 0, v6, vcc_lo
	v_add_lshl_u32 v3, v3, v4, 4
	s_delay_alu instid0(VALU_DEP_3) | instskip(NEXT) | instid1(VALU_DEP_3)
	v_add_co_u32 v0, vcc_lo, v0, s6
	v_add_co_ci_u32_e32 v1, vcc_lo, s7, v1, vcc_lo
	s_delay_alu instid0(VALU_DEP_2) | instskip(NEXT) | instid1(VALU_DEP_2)
	v_add_co_u32 v0, vcc_lo, v0, -16
	v_add_co_ci_u32_e32 v1, vcc_lo, -1, v1, vcc_lo
	v_cmp_gt_i32_e32 vcc_lo, s12, v4
	s_delay_alu instid0(VALU_DEP_2) | instskip(SKIP_1) | instid1(SALU_CYCLE_1)
	v_dual_cndmask_b32 v1, v1, v6 :: v_dual_cndmask_b32 v0, v0, v5
	s_and_saveexec_b32 s5, s4
	s_xor_b32 s4, exec_lo, s5
	s_cbranch_execz .LBB128_15
; %bb.14:
	v_mov_b32_e32 v10, 0
	s_delay_alu instid0(VALU_DEP_1)
	v_mov_b32_e32 v11, v10
	v_mov_b32_e32 v12, v10
	v_mov_b32_e32 v13, v10
	ds_store_b128 v3, v[10:13]
.LBB128_15:
	s_and_not1_saveexec_b32 s4, s4
	s_cbranch_execz .LBB128_17
; %bb.16:
	global_load_b128 v[10:13], v[0:1], off
	s_waitcnt vmcnt(0)
	ds_store_2addr_b64 v3, v[10:11], v[12:13] offset1:1
.LBB128_17:
	s_or_b32 exec_lo, exec_lo, s4
	v_add_nc_u32_e32 v7, 8, v9
	s_delay_alu instid0(VALU_DEP_1) | instskip(NEXT) | instid1(VALU_DEP_1)
	v_cmp_le_i32_e64 s4, s12, v7
	s_and_saveexec_b32 s5, s4
	s_delay_alu instid0(SALU_CYCLE_1)
	s_xor_b32 s4, exec_lo, s5
	s_cbranch_execz .LBB128_19
; %bb.18:
	v_mul_u32_u24_e32 v7, 33, v7
	v_mov_b32_e32 v10, 0
	s_delay_alu instid0(VALU_DEP_2) | instskip(NEXT) | instid1(VALU_DEP_2)
	v_add_lshl_u32 v7, v7, v4, 4
	v_mov_b32_e32 v11, v10
	v_mov_b32_e32 v12, v10
	;; [unrolled: 1-line block ×3, first 2 shown]
	ds_store_b128 v7, v[10:13]
.LBB128_19:
	s_and_not1_saveexec_b32 s5, s4
	s_cbranch_execz .LBB128_21
; %bb.20:
	s_lshl_b64 s[18:19], s[20:21], 7
	s_delay_alu instid0(SALU_CYCLE_1) | instskip(NEXT) | instid1(VALU_DEP_1)
	v_add_co_u32 v7, s4, v0, s18
	v_add_co_ci_u32_e64 v8, s4, s19, v1, s4
	global_load_b128 v[10:13], v[7:8], off
	v_add_nc_u32_e32 v7, 0x1080, v3
	s_waitcnt vmcnt(0)
	ds_store_2addr_b64 v7, v[10:11], v[12:13] offset1:1
.LBB128_21:
	s_or_b32 exec_lo, exec_lo, s5
	v_add_nc_u32_e32 v7, 16, v9
	s_delay_alu instid0(VALU_DEP_1) | instskip(NEXT) | instid1(VALU_DEP_1)
	v_cmp_le_i32_e64 s4, s12, v7
	s_and_saveexec_b32 s5, s4
	s_delay_alu instid0(SALU_CYCLE_1)
	s_xor_b32 s4, exec_lo, s5
	s_cbranch_execz .LBB128_23
; %bb.22:
	v_mov_b32_e32 v10, 0
	s_delay_alu instid0(VALU_DEP_1)
	v_mov_b32_e32 v11, v10
	v_mov_b32_e32 v12, v10
	;; [unrolled: 1-line block ×3, first 2 shown]
	ds_store_b128 v3, v[10:13] offset:8448
.LBB128_23:
	s_and_not1_saveexec_b32 s5, s4
	s_cbranch_execz .LBB128_25
; %bb.24:
	s_lshl_b64 s[18:19], s[20:21], 8
	s_delay_alu instid0(SALU_CYCLE_1) | instskip(NEXT) | instid1(VALU_DEP_1)
	v_add_co_u32 v7, s4, v0, s18
	v_add_co_ci_u32_e64 v8, s4, s19, v1, s4
	global_load_b128 v[10:13], v[7:8], off
	v_add_nc_u32_e32 v7, 0x2100, v3
	s_waitcnt vmcnt(0)
	ds_store_2addr_b64 v7, v[10:11], v[12:13] offset1:1
.LBB128_25:
	s_or_b32 exec_lo, exec_lo, s5
	v_add_nc_u32_e32 v7, 24, v9
	s_delay_alu instid0(VALU_DEP_1) | instskip(NEXT) | instid1(VALU_DEP_1)
	v_cmp_le_i32_e64 s4, s12, v7
	s_and_saveexec_b32 s5, s4
	s_delay_alu instid0(SALU_CYCLE_1)
	s_xor_b32 s4, exec_lo, s5
	s_cbranch_execz .LBB128_27
; %bb.26:
	v_mov_b32_e32 v10, 0
	s_delay_alu instid0(VALU_DEP_1)
	v_mov_b32_e32 v11, v10
	v_mov_b32_e32 v12, v10
	;; [unrolled: 1-line block ×3, first 2 shown]
	ds_store_b128 v3, v[10:13] offset:12672
                                        ; implicit-def: $vgpr3
.LBB128_27:
	s_and_not1_saveexec_b32 s4, s4
	s_cbranch_execz .LBB128_29
; %bb.28:
	v_mad_u64_u32 v[7:8], null, 0x180, s20, v[0:1]
	v_add_nc_u32_e32 v3, 0x3180, v3
	s_delay_alu instid0(VALU_DEP_2) | instskip(NEXT) | instid1(VALU_DEP_1)
	v_mad_u64_u32 v[10:11], null, 0x180, s21, v[8:9]
	v_mov_b32_e32 v8, v10
	global_load_b128 v[10:13], v[7:8], off
	s_waitcnt vmcnt(0)
	ds_store_2addr_b64 v3, v[10:11], v[12:13] offset1:1
.LBB128_29:
	s_or_b32 exec_lo, exec_lo, s4
	v_add_co_u32 v0, s4, v0, v2
	s_delay_alu instid0(VALU_DEP_1) | instskip(NEXT) | instid1(VALU_DEP_2)
	v_add_co_ci_u32_e64 v1, s4, 0, v1, s4
	v_sub_co_u32 v0, s4, v0, s6
	s_delay_alu instid0(VALU_DEP_1) | instskip(NEXT) | instid1(VALU_DEP_2)
	v_subrev_co_ci_u32_e64 v1, s4, s7, v1, s4
	v_add_co_u32 v0, s4, v0, 16
	s_delay_alu instid0(VALU_DEP_1) | instskip(NEXT) | instid1(VALU_DEP_1)
	v_add_co_ci_u32_e64 v1, s4, 0, v1, s4
	v_dual_cndmask_b32 v5, v0, v5 :: v_dual_cndmask_b32 v6, v1, v6
.LBB128_30:
	v_lshlrev_b32_e32 v0, 2, v9
	v_mul_u32_u24_e32 v44, 33, v4
	v_mul_u32_u24_e32 v1, 0x84, v9
	s_waitcnt lgkmcnt(0)
	s_barrier
	v_cmp_lt_u32_e64 s5, v0, v4
	v_add_lshl_u32 v12, v0, v44, 4
	buffer_gl0_inv
	s_and_saveexec_b32 s4, s5
	s_cbranch_execz .LBB128_32
; %bb.31:
	v_add_lshl_u32 v2, v1, v4, 4
	ds_load_b128 v[13:16], v2
	s_waitcnt lgkmcnt(0)
	ds_store_b128 v12, v[13:16]
.LBB128_32:
	s_or_b32 exec_lo, exec_lo, s4
	v_or_b32_e32 v2, 1, v0
	s_delay_alu instid0(VALU_DEP_1) | instskip(NEXT) | instid1(VALU_DEP_1)
	v_cmp_lt_u32_e64 s6, v2, v4
	s_and_saveexec_b32 s4, s6
	s_cbranch_execz .LBB128_34
; %bb.33:
	v_mul_u32_u24_e32 v2, 33, v2
	s_delay_alu instid0(VALU_DEP_1)
	v_add_lshl_u32 v2, v2, v4, 4
	ds_load_b128 v[13:16], v2
	s_waitcnt lgkmcnt(0)
	ds_store_b128 v12, v[13:16] offset:16
.LBB128_34:
	s_or_b32 exec_lo, exec_lo, s4
	v_or_b32_e32 v2, 2, v0
	s_delay_alu instid0(VALU_DEP_1) | instskip(NEXT) | instid1(VALU_DEP_1)
	v_cmp_lt_u32_e64 s7, v2, v4
	s_and_saveexec_b32 s4, s7
	s_cbranch_execz .LBB128_36
; %bb.35:
	v_mul_u32_u24_e32 v2, 33, v2
	s_delay_alu instid0(VALU_DEP_1)
	v_add_lshl_u32 v2, v2, v4, 4
	ds_load_b128 v[13:16], v2
	s_waitcnt lgkmcnt(0)
	ds_store_b128 v12, v[13:16] offset:32
.LBB128_36:
	s_or_b32 exec_lo, exec_lo, s4
	v_or_b32_e32 v2, 3, v0
	s_delay_alu instid0(VALU_DEP_1) | instskip(SKIP_1) | instid1(VALU_DEP_2)
	v_mad_u32_u24 v3, v2, 33, v4
	v_cmp_lt_u32_e64 s8, v2, v4
	v_lshlrev_b32_e32 v10, 4, v3
	s_delay_alu instid0(VALU_DEP_2)
	s_and_saveexec_b32 s4, s8
	s_cbranch_execz .LBB128_38
; %bb.37:
	ds_load_b128 v[13:16], v10
	s_waitcnt lgkmcnt(0)
	ds_store_b128 v12, v[13:16] offset:48
.LBB128_38:
	s_or_b32 exec_lo, exec_lo, s4
	v_lshlrev_b32_e32 v13, 4, v0
	v_add_lshl_u32 v14, v1, v4, 4
	s_waitcnt lgkmcnt(0)
	s_barrier
	buffer_gl0_inv
	ds_load_b128 v[0:3], v13 offset:18176
	ds_load_b128 v[15:18], v14
	v_add_nc_u32_e32 v11, 0xfffffbe0, v10
	ds_load_b128 v[19:22], v11
	ds_load_b128 v[23:26], v11 offset:528
	ds_load_b128 v[27:30], v13 offset:18192
	;; [unrolled: 1-line block ×3, first 2 shown]
	v_add_lshl_u32 v45, v9, v44, 4
	v_cmp_gt_u32_e64 s4, 32, v43
	s_waitcnt lgkmcnt(4)
	v_mul_f64 v[7:8], v[2:3], v[17:18]
	v_mul_f64 v[17:18], v[0:1], v[17:18]
	s_waitcnt lgkmcnt(1)
	v_mul_f64 v[40:41], v[29:30], v[21:22]
	v_mul_f64 v[21:22], v[27:28], v[21:22]
	s_delay_alu instid0(VALU_DEP_4) | instskip(NEXT) | instid1(VALU_DEP_4)
	v_fma_f64 v[0:1], v[0:1], v[15:16], -v[7:8]
	v_fma_f64 v[2:3], v[2:3], v[15:16], v[17:18]
	s_waitcnt lgkmcnt(0)
	v_mul_f64 v[7:8], v[33:34], v[25:26]
	v_mul_f64 v[25:26], v[31:32], v[25:26]
	v_fma_f64 v[27:28], v[27:28], v[19:20], -v[40:41]
	v_fma_f64 v[19:20], v[29:30], v[19:20], v[21:22]
	v_add_f64 v[21:22], v[0:1], 0
	v_add_f64 v[29:30], v[2:3], 0
	ds_load_b128 v[0:3], v13 offset:18224
	ds_load_b128 v[15:18], v10
	v_fma_f64 v[7:8], v[31:32], v[23:24], -v[7:8]
	v_fma_f64 v[23:24], v[33:34], v[23:24], v[25:26]
	s_waitcnt lgkmcnt(0)
	s_barrier
	buffer_gl0_inv
	v_mul_f64 v[40:41], v[2:3], v[17:18]
	v_mul_f64 v[17:18], v[0:1], v[17:18]
	v_add_f64 v[21:22], v[21:22], v[27:28]
	v_add_f64 v[19:20], v[29:30], v[19:20]
	s_delay_alu instid0(VALU_DEP_4) | instskip(NEXT) | instid1(VALU_DEP_4)
	v_fma_f64 v[0:1], v[0:1], v[15:16], -v[40:41]
	v_fma_f64 v[2:3], v[2:3], v[15:16], v[17:18]
	s_delay_alu instid0(VALU_DEP_4) | instskip(NEXT) | instid1(VALU_DEP_4)
	v_add_f64 v[7:8], v[21:22], v[7:8]
	v_add_f64 v[17:18], v[19:20], v[23:24]
	s_delay_alu instid0(VALU_DEP_2) | instskip(NEXT) | instid1(VALU_DEP_2)
	v_add_f64 v[15:16], v[7:8], v[0:1]
	v_add_f64 v[17:18], v[17:18], v[2:3]
	v_mov_b32_e32 v0, 0
	v_mov_b32_e32 v1, 0
	s_delay_alu instid0(VALU_DEP_1)
	v_dual_mov_b32 v3, v1 :: v_dual_mov_b32 v2, v0
	ds_store_b128 v45, v[15:18]
	s_waitcnt lgkmcnt(0)
	s_barrier
	buffer_gl0_inv
	s_and_saveexec_b32 s13, s4
	s_cbranch_execz .LBB128_40
; %bb.39:
	v_lshlrev_b32_e32 v21, 4, v44
	ds_load_b128 v[0:3], v21
	ds_load_b128 v[15:18], v21 offset:16
	s_waitcnt lgkmcnt(0)
	v_add_f64 v[7:8], v[15:16], v[0:1]
	v_add_f64 v[19:20], v[17:18], v[2:3]
	ds_load_b128 v[0:3], v21 offset:32
	ds_load_b128 v[15:18], v21 offset:48
	s_waitcnt lgkmcnt(1)
	v_add_f64 v[0:1], v[7:8], v[0:1]
	v_add_f64 v[2:3], v[19:20], v[2:3]
	s_waitcnt lgkmcnt(0)
	s_delay_alu instid0(VALU_DEP_2) | instskip(NEXT) | instid1(VALU_DEP_2)
	v_add_f64 v[7:8], v[0:1], v[15:16]
	v_add_f64 v[19:20], v[2:3], v[17:18]
	ds_load_b128 v[0:3], v21 offset:64
	ds_load_b128 v[15:18], v21 offset:80
	s_waitcnt lgkmcnt(1)
	v_add_f64 v[0:1], v[7:8], v[0:1]
	v_add_f64 v[2:3], v[19:20], v[2:3]
	s_waitcnt lgkmcnt(0)
	s_delay_alu instid0(VALU_DEP_2) | instskip(NEXT) | instid1(VALU_DEP_2)
	v_add_f64 v[7:8], v[0:1], v[15:16]
	v_add_f64 v[19:20], v[2:3], v[17:18]
	ds_load_b128 v[0:3], v21 offset:96
	ds_load_b128 v[15:18], v21 offset:112
	s_waitcnt lgkmcnt(1)
	v_add_f64 v[0:1], v[7:8], v[0:1]
	v_add_f64 v[2:3], v[19:20], v[2:3]
	s_waitcnt lgkmcnt(0)
	s_delay_alu instid0(VALU_DEP_2) | instskip(NEXT) | instid1(VALU_DEP_2)
	v_add_f64 v[0:1], v[0:1], v[15:16]
	v_add_f64 v[2:3], v[2:3], v[17:18]
.LBB128_40:
	s_or_b32 exec_lo, exec_lo, s13
	s_lshl_b64 s[18:19], s[20:21], 9
	v_cndmask_b32_e64 v15, 0, 1, s9
	v_add_co_u32 v7, vcc_lo, v5, s18
	v_add_co_ci_u32_e32 v8, vcc_lo, s19, v6, vcc_lo
	s_delay_alu instid0(VALU_DEP_2) | instskip(NEXT) | instid1(VALU_DEP_2)
	v_add_co_u32 v5, vcc_lo, 0x200, v7
	v_add_co_ci_u32_e32 v6, vcc_lo, 0, v8, vcc_lo
	s_and_not1_b32 vcc_lo, exec_lo, s9
	s_barrier
	buffer_gl0_inv
	s_cbranch_vccnz .LBB128_42
; %bb.41:
	v_mad_u64_u32 v[28:29], null, 0x180, s20, v[7:8]
	s_lshl_b64 s[18:19], s[20:21], 7
	s_delay_alu instid0(SALU_CYCLE_1) | instskip(SKIP_1) | instid1(VALU_DEP_3)
	v_add_co_u32 v7, vcc_lo, v7, s18
	v_add_co_ci_u32_e32 v8, vcc_lo, s19, v8, vcc_lo
	v_mov_b32_e32 v16, v29
	s_delay_alu instid0(VALU_DEP_3) | instskip(NEXT) | instid1(VALU_DEP_3)
	v_add_co_u32 v24, vcc_lo, v7, s18
	v_add_co_ci_u32_e32 v25, vcc_lo, s19, v8, vcc_lo
	s_delay_alu instid0(VALU_DEP_3) | instskip(NEXT) | instid1(VALU_DEP_1)
	v_mad_u64_u32 v[17:18], null, 0x180, s21, v[16:17]
	v_mov_b32_e32 v29, v17
	s_clause 0x3
	global_load_b128 v[16:19], v[5:6], off
	global_load_b128 v[20:23], v[7:8], off offset:512
	global_load_b128 v[24:27], v[24:25], off offset:512
	;; [unrolled: 1-line block ×3, first 2 shown]
	v_mul_u32_u24_e32 v7, 33, v9
	s_delay_alu instid0(VALU_DEP_1) | instskip(NEXT) | instid1(VALU_DEP_1)
	v_add_lshl_u32 v7, v7, v4, 4
	v_add_nc_u32_e32 v8, 0x1080, v7
	v_add_nc_u32_e32 v32, 0x2100, v7
	;; [unrolled: 1-line block ×3, first 2 shown]
	s_waitcnt vmcnt(3)
	ds_store_2addr_b64 v7, v[16:17], v[18:19] offset1:1
	s_waitcnt vmcnt(2)
	ds_store_2addr_b64 v8, v[20:21], v[22:23] offset1:1
	;; [unrolled: 2-line block ×4, first 2 shown]
	s_cbranch_execz .LBB128_43
	s_branch .LBB128_60
.LBB128_42:
.LBB128_43:
	v_lshlrev_b32_e32 v16, 4, v4
	s_ashr_i32 s13, s12, 31
	v_or_b32_e32 v17, 32, v4
	s_lshl_b64 s[18:19], s[12:13], 4
	s_sub_i32 s13, s12, 32
	v_sub_co_u32 v7, vcc_lo, v5, v16
	v_subrev_co_ci_u32_e32 v8, vcc_lo, 0, v6, vcc_lo
	v_cmp_le_i32_e64 s9, s13, v9
	s_delay_alu instid0(VALU_DEP_3) | instskip(NEXT) | instid1(VALU_DEP_3)
	v_add_co_u32 v7, vcc_lo, v7, s18
	v_add_co_ci_u32_e32 v8, vcc_lo, s19, v8, vcc_lo
	s_delay_alu instid0(VALU_DEP_2) | instskip(NEXT) | instid1(VALU_DEP_2)
	v_add_co_u32 v7, vcc_lo, 0xfffffdf0, v7
	v_add_co_ci_u32_e32 v8, vcc_lo, -1, v8, vcc_lo
	v_cmp_gt_i32_e32 vcc_lo, s12, v17
	v_mul_u32_u24_e32 v17, 33, v9
	s_delay_alu instid0(VALU_DEP_3) | instskip(NEXT) | instid1(VALU_DEP_2)
	v_dual_cndmask_b32 v7, v7, v5 :: v_dual_cndmask_b32 v8, v8, v6
	v_add_lshl_u32 v17, v17, v4, 4
	s_and_saveexec_b32 s23, s9
	s_delay_alu instid0(SALU_CYCLE_1)
	s_xor_b32 s9, exec_lo, s23
	s_cbranch_execz .LBB128_45
; %bb.44:
	v_mov_b32_e32 v18, 0
	s_delay_alu instid0(VALU_DEP_1)
	v_mov_b32_e32 v19, v18
	v_mov_b32_e32 v20, v18
	;; [unrolled: 1-line block ×3, first 2 shown]
	ds_store_b128 v17, v[18:21]
.LBB128_45:
	s_and_not1_saveexec_b32 s9, s9
	s_cbranch_execz .LBB128_47
; %bb.46:
	global_load_b128 v[18:21], v[7:8], off
	s_waitcnt vmcnt(0)
	ds_store_2addr_b64 v17, v[18:19], v[20:21] offset1:1
.LBB128_47:
	s_or_b32 exec_lo, exec_lo, s9
	v_add_nc_u32_e32 v18, 8, v9
	s_delay_alu instid0(VALU_DEP_1) | instskip(NEXT) | instid1(VALU_DEP_1)
	v_cmp_le_i32_e64 s9, s13, v18
	s_and_saveexec_b32 s23, s9
	s_delay_alu instid0(SALU_CYCLE_1)
	s_xor_b32 s9, exec_lo, s23
	s_cbranch_execz .LBB128_49
; %bb.48:
	v_mul_u32_u24_e32 v19, 33, v18
	v_mov_b32_e32 v18, 0
	s_delay_alu instid0(VALU_DEP_2) | instskip(NEXT) | instid1(VALU_DEP_2)
	v_add_lshl_u32 v22, v19, v4, 4
	v_mov_b32_e32 v19, v18
	v_mov_b32_e32 v20, v18
	;; [unrolled: 1-line block ×3, first 2 shown]
	ds_store_b128 v22, v[18:21]
.LBB128_49:
	s_and_not1_saveexec_b32 s23, s9
	s_cbranch_execz .LBB128_51
; %bb.50:
	s_lshl_b64 s[26:27], s[20:21], 7
	v_add_nc_u32_e32 v22, 0x1080, v17
	v_add_co_u32 v18, s9, v7, s26
	s_delay_alu instid0(VALU_DEP_1)
	v_add_co_ci_u32_e64 v19, s9, s27, v8, s9
	global_load_b128 v[18:21], v[18:19], off
	s_waitcnt vmcnt(0)
	ds_store_2addr_b64 v22, v[18:19], v[20:21] offset1:1
.LBB128_51:
	s_or_b32 exec_lo, exec_lo, s23
	v_add_nc_u32_e32 v18, 16, v9
	s_delay_alu instid0(VALU_DEP_1) | instskip(NEXT) | instid1(VALU_DEP_1)
	v_cmp_le_i32_e64 s9, s13, v18
	s_and_saveexec_b32 s23, s9
	s_delay_alu instid0(SALU_CYCLE_1)
	s_xor_b32 s9, exec_lo, s23
	s_cbranch_execz .LBB128_53
; %bb.52:
	v_mov_b32_e32 v18, 0
	s_delay_alu instid0(VALU_DEP_1)
	v_mov_b32_e32 v19, v18
	v_mov_b32_e32 v20, v18
	;; [unrolled: 1-line block ×3, first 2 shown]
	ds_store_b128 v17, v[18:21] offset:8448
.LBB128_53:
	s_and_not1_saveexec_b32 s23, s9
	s_cbranch_execz .LBB128_55
; %bb.54:
	s_lshl_b64 s[26:27], s[20:21], 8
	v_add_nc_u32_e32 v22, 0x2100, v17
	v_add_co_u32 v18, s9, v7, s26
	s_delay_alu instid0(VALU_DEP_1)
	v_add_co_ci_u32_e64 v19, s9, s27, v8, s9
	global_load_b128 v[18:21], v[18:19], off
	s_waitcnt vmcnt(0)
	ds_store_2addr_b64 v22, v[18:19], v[20:21] offset1:1
.LBB128_55:
	s_or_b32 exec_lo, exec_lo, s23
	v_add_nc_u32_e32 v18, 24, v9
	s_delay_alu instid0(VALU_DEP_1) | instskip(NEXT) | instid1(VALU_DEP_1)
	v_cmp_le_i32_e64 s9, s13, v18
	s_and_saveexec_b32 s13, s9
	s_delay_alu instid0(SALU_CYCLE_1)
	s_xor_b32 s9, exec_lo, s13
	s_cbranch_execz .LBB128_57
; %bb.56:
	v_mov_b32_e32 v18, 0
	s_delay_alu instid0(VALU_DEP_1)
	v_mov_b32_e32 v19, v18
	v_mov_b32_e32 v20, v18
	;; [unrolled: 1-line block ×3, first 2 shown]
	ds_store_b128 v17, v[18:21] offset:12672
                                        ; implicit-def: $vgpr17
.LBB128_57:
	s_and_not1_saveexec_b32 s9, s9
	s_cbranch_execz .LBB128_59
; %bb.58:
	v_mad_u64_u32 v[18:19], null, 0x180, s20, v[7:8]
	v_add_nc_u32_e32 v17, 0x3180, v17
	s_delay_alu instid0(VALU_DEP_2) | instskip(NEXT) | instid1(VALU_DEP_1)
	v_mad_u64_u32 v[20:21], null, 0x180, s21, v[19:20]
	v_mov_b32_e32 v19, v20
	global_load_b128 v[18:21], v[18:19], off
	s_waitcnt vmcnt(0)
	ds_store_2addr_b64 v17, v[18:19], v[20:21] offset1:1
.LBB128_59:
	s_or_b32 exec_lo, exec_lo, s9
	v_add_co_u32 v7, s9, v7, v16
	s_delay_alu instid0(VALU_DEP_1) | instskip(NEXT) | instid1(VALU_DEP_2)
	v_add_co_ci_u32_e64 v8, s9, 0, v8, s9
	v_sub_co_u32 v7, s9, v7, s18
	s_delay_alu instid0(VALU_DEP_1) | instskip(NEXT) | instid1(VALU_DEP_2)
	v_subrev_co_ci_u32_e64 v8, s9, s19, v8, s9
	v_add_co_u32 v7, s9, 0x210, v7
	s_delay_alu instid0(VALU_DEP_1) | instskip(NEXT) | instid1(VALU_DEP_1)
	v_add_co_ci_u32_e64 v8, s9, 0, v8, s9
	v_dual_cndmask_b32 v5, v7, v5 :: v_dual_cndmask_b32 v6, v8, v6
.LBB128_60:
	v_add_nc_u32_e32 v13, 0x4700, v13
	v_add_nc_u32_e32 v7, 0x210, v11
	s_lshl_b64 s[18:19], s[20:21], 5
	s_waitcnt lgkmcnt(0)
	s_barrier
	buffer_gl0_inv
	s_and_saveexec_b32 s9, s5
	s_cbranch_execnz .LBB128_69
; %bb.61:
	s_or_b32 exec_lo, exec_lo, s9
	s_and_saveexec_b32 s5, s6
	s_cbranch_execnz .LBB128_70
.LBB128_62:
	s_or_b32 exec_lo, exec_lo, s5
	s_and_saveexec_b32 s5, s7
	s_cbranch_execnz .LBB128_71
.LBB128_63:
	s_or_b32 exec_lo, exec_lo, s5
	s_and_saveexec_b32 s5, s8
	s_cbranch_execz .LBB128_65
.LBB128_64:
	ds_load_b128 v[16:19], v10
	s_waitcnt lgkmcnt(0)
	ds_store_b128 v12, v[16:19] offset:48
.LBB128_65:
	s_or_b32 exec_lo, exec_lo, s5
	s_waitcnt lgkmcnt(0)
	s_barrier
	buffer_gl0_inv
	ds_load_b128 v[16:19], v13 offset:512
	ds_load_b128 v[20:23], v14
	v_cmp_eq_u32_e64 s5, 1, v9
	s_waitcnt lgkmcnt(0)
	v_mul_f64 v[7:8], v[18:19], v[22:23]
	v_mul_f64 v[34:35], v[16:17], v[22:23]
	ds_load_b128 v[22:25], v11
	ds_load_b128 v[26:29], v13 offset:528
	ds_load_b128 v[30:33], v13 offset:544
	s_waitcnt lgkmcnt(1)
	v_mul_f64 v[40:41], v[28:29], v[24:25]
	v_mul_f64 v[24:25], v[26:27], v[24:25]
	v_fma_f64 v[7:8], v[16:17], v[20:21], -v[7:8]
	v_fma_f64 v[20:21], v[18:19], v[20:21], v[34:35]
	ds_load_b128 v[16:19], v11 offset:528
	ds_load_b128 v[46:49], v10
	s_waitcnt lgkmcnt(1)
	v_mul_f64 v[10:11], v[32:33], v[18:19]
	v_mul_f64 v[34:35], v[30:31], v[18:19]
	v_fma_f64 v[26:27], v[26:27], v[22:23], -v[40:41]
	v_fma_f64 v[22:23], v[28:29], v[22:23], v[24:25]
	v_add_f64 v[7:8], v[7:8], 0
	v_add_f64 v[24:25], v[20:21], 0
	ds_load_b128 v[18:21], v13 offset:560
	s_waitcnt lgkmcnt(0)
	s_barrier
	buffer_gl0_inv
	v_fma_f64 v[10:11], v[30:31], v[16:17], -v[10:11]
	v_mul_f64 v[28:29], v[20:21], v[48:49]
	v_mul_f64 v[40:41], v[18:19], v[48:49]
	v_fma_f64 v[16:17], v[32:33], v[16:17], v[34:35]
	v_add_f64 v[7:8], v[7:8], v[26:27]
	v_add_f64 v[22:23], v[24:25], v[22:23]
	v_fma_f64 v[18:19], v[18:19], v[46:47], -v[28:29]
	v_fma_f64 v[20:21], v[20:21], v[46:47], v[40:41]
	s_delay_alu instid0(VALU_DEP_4) | instskip(NEXT) | instid1(VALU_DEP_4)
	v_add_f64 v[7:8], v[7:8], v[10:11]
	v_add_f64 v[10:11], v[22:23], v[16:17]
	s_delay_alu instid0(VALU_DEP_2) | instskip(NEXT) | instid1(VALU_DEP_2)
	v_add_f64 v[16:17], v[7:8], v[18:19]
	v_add_f64 v[18:19], v[10:11], v[20:21]
	ds_store_b128 v45, v[16:19]
	s_waitcnt lgkmcnt(0)
	s_barrier
	buffer_gl0_inv
	s_and_saveexec_b32 s6, s5
	s_cbranch_execz .LBB128_67
; %bb.66:
	v_lshlrev_b32_e32 v14, 4, v44
	ds_load_b128 v[0:3], v14
	ds_load_b128 v[16:19], v14 offset:16
	s_waitcnt lgkmcnt(0)
	v_add_f64 v[7:8], v[16:17], v[0:1]
	v_add_f64 v[10:11], v[18:19], v[2:3]
	ds_load_b128 v[0:3], v14 offset:32
	ds_load_b128 v[16:19], v14 offset:48
	s_waitcnt lgkmcnt(1)
	v_add_f64 v[0:1], v[7:8], v[0:1]
	v_add_f64 v[2:3], v[10:11], v[2:3]
	s_waitcnt lgkmcnt(0)
	s_delay_alu instid0(VALU_DEP_2) | instskip(NEXT) | instid1(VALU_DEP_2)
	v_add_f64 v[7:8], v[0:1], v[16:17]
	v_add_f64 v[10:11], v[2:3], v[18:19]
	ds_load_b128 v[0:3], v14 offset:64
	ds_load_b128 v[16:19], v14 offset:80
	s_waitcnt lgkmcnt(1)
	v_add_f64 v[0:1], v[7:8], v[0:1]
	v_add_f64 v[2:3], v[10:11], v[2:3]
	s_waitcnt lgkmcnt(0)
	s_delay_alu instid0(VALU_DEP_2) | instskip(NEXT) | instid1(VALU_DEP_2)
	;; [unrolled: 9-line block ×3, first 2 shown]
	v_add_f64 v[0:1], v[0:1], v[16:17]
	v_add_f64 v[2:3], v[2:3], v[18:19]
.LBB128_67:
	s_or_b32 exec_lo, exec_lo, s6
	s_lshl_b64 s[6:7], s[18:19], 4
	v_cmp_ne_u32_e32 vcc_lo, 1, v15
	v_sub_co_u32 v40, s6, v5, s6
	s_delay_alu instid0(VALU_DEP_1)
	v_subrev_co_ci_u32_e64 v41, s6, s7, v6, s6
	s_barrier
	buffer_gl0_inv
	s_cbranch_vccnz .LBB128_72
; %bb.68:
	v_mad_u64_u32 v[5:6], null, 0x180, s20, v[40:41]
	s_lshl_b64 s[6:7], s[20:21], 7
	s_delay_alu instid0(SALU_CYCLE_1) | instskip(SKIP_1) | instid1(VALU_DEP_3)
	v_add_co_u32 v10, vcc_lo, v40, s6
	v_add_co_ci_u32_e32 v11, vcc_lo, s7, v41, vcc_lo
	v_mad_u64_u32 v[7:8], null, 0x180, s21, v[6:7]
	s_delay_alu instid0(VALU_DEP_3) | instskip(NEXT) | instid1(VALU_DEP_3)
	v_add_co_u32 v23, vcc_lo, v10, s6
	v_add_co_ci_u32_e32 v24, vcc_lo, s7, v11, vcc_lo
	v_add_nc_u32_e32 v8, 16, v9
	s_delay_alu instid0(VALU_DEP_4)
	v_dual_mov_b32 v6, v7 :: v_dual_add_nc_u32 v7, 8, v9
	s_clause 0x3
	global_load_b128 v[15:18], v[40:41], off
	global_load_b128 v[19:22], v[10:11], off
	global_load_b128 v[23:26], v[23:24], off
	global_load_b128 v[27:30], v[5:6], off
	v_mad_u32_u24 v11, v9, 33, v4
	v_add_nc_u32_e32 v10, 24, v9
	s_delay_alu instid0(VALU_DEP_2) | instskip(SKIP_3) | instid1(VALU_DEP_4)
	v_lshlrev_b32_e32 v31, 4, v11
	v_add_nc_u32_e32 v6, 0x108, v11
	v_add_nc_u32_e32 v5, 0x210, v11
	;; [unrolled: 1-line block ×6, first 2 shown]
	s_waitcnt vmcnt(3)
	ds_store_2addr_b64 v31, v[15:16], v[17:18] offset1:1
	s_waitcnt vmcnt(2)
	ds_store_2addr_b64 v32, v[19:20], v[21:22] offset1:1
	;; [unrolled: 2-line block ×4, first 2 shown]
	s_cbranch_execz .LBB128_73
	s_branch .LBB128_90
.LBB128_69:
	ds_load_b128 v[16:19], v14
	s_waitcnt lgkmcnt(0)
	ds_store_b128 v12, v[16:19]
	s_or_b32 exec_lo, exec_lo, s9
	s_and_saveexec_b32 s5, s6
	s_cbranch_execz .LBB128_62
.LBB128_70:
	ds_load_b128 v[16:19], v11
	s_waitcnt lgkmcnt(0)
	ds_store_b128 v12, v[16:19] offset:16
	s_or_b32 exec_lo, exec_lo, s5
	s_and_saveexec_b32 s5, s7
	s_cbranch_execz .LBB128_63
.LBB128_71:
	ds_load_b128 v[16:19], v7
	s_waitcnt lgkmcnt(0)
	ds_store_b128 v12, v[16:19] offset:32
	s_or_b32 exec_lo, exec_lo, s5
	s_and_saveexec_b32 s5, s8
	s_cbranch_execnz .LBB128_64
	s_branch .LBB128_65
.LBB128_72:
                                        ; implicit-def: $vgpr11
                                        ; implicit-def: $vgpr7
                                        ; implicit-def: $vgpr6
                                        ; implicit-def: $vgpr8
                                        ; implicit-def: $vgpr5
                                        ; implicit-def: $vgpr10
                                        ; implicit-def: $vgpr14
.LBB128_73:
	v_lshlrev_b32_e32 v15, 4, v4
	s_ashr_i32 s13, s12, 31
	v_or_b32_e32 v7, 32, v4
	s_lshl_b64 s[8:9], s[12:13], 4
	v_mad_u32_u24 v11, v9, 33, v4
	v_sub_co_u32 v5, vcc_lo, v40, v15
	v_subrev_co_ci_u32_e32 v6, vcc_lo, 0, v41, vcc_lo
	v_cmp_le_i32_e64 s6, s12, v9
	s_delay_alu instid0(VALU_DEP_3) | instskip(NEXT) | instid1(VALU_DEP_3)
	v_add_co_u32 v5, vcc_lo, v5, s8
	v_add_co_ci_u32_e32 v6, vcc_lo, s9, v6, vcc_lo
	v_lshlrev_b32_e32 v16, 4, v11
	s_delay_alu instid0(VALU_DEP_3) | instskip(NEXT) | instid1(VALU_DEP_3)
	v_add_co_u32 v5, vcc_lo, 0xfffffdf0, v5
	v_add_co_ci_u32_e32 v6, vcc_lo, -1, v6, vcc_lo
	v_cmp_gt_i32_e32 vcc_lo, s12, v7
	s_delay_alu instid0(VALU_DEP_2) | instskip(SKIP_1) | instid1(SALU_CYCLE_1)
	v_dual_cndmask_b32 v6, v6, v41 :: v_dual_cndmask_b32 v5, v5, v40
	s_and_saveexec_b32 s7, s6
	s_xor_b32 s6, exec_lo, s7
	s_cbranch_execz .LBB128_75
; %bb.74:
	v_mov_b32_e32 v17, 0
	s_delay_alu instid0(VALU_DEP_1)
	v_mov_b32_e32 v18, v17
	v_mov_b32_e32 v19, v17
	;; [unrolled: 1-line block ×3, first 2 shown]
	ds_store_b128 v16, v[17:20]
.LBB128_75:
	s_and_not1_saveexec_b32 s6, s6
	s_cbranch_execz .LBB128_77
; %bb.76:
	global_load_b128 v[17:20], v[5:6], off
	s_waitcnt vmcnt(0)
	ds_store_2addr_b64 v16, v[17:18], v[19:20] offset1:1
.LBB128_77:
	s_or_b32 exec_lo, exec_lo, s6
	v_add_nc_u32_e32 v7, 8, v9
	s_delay_alu instid0(VALU_DEP_1) | instskip(NEXT) | instid1(VALU_DEP_1)
	v_cmp_le_i32_e64 s6, s12, v7
	s_and_saveexec_b32 s7, s6
	s_delay_alu instid0(SALU_CYCLE_1)
	s_xor_b32 s6, exec_lo, s7
	s_cbranch_execz .LBB128_79
; %bb.78:
	v_mul_u32_u24_e32 v8, 33, v7
	v_mov_b32_e32 v17, 0
	s_delay_alu instid0(VALU_DEP_2) | instskip(NEXT) | instid1(VALU_DEP_2)
	v_add_lshl_u32 v8, v8, v4, 4
	v_mov_b32_e32 v18, v17
	v_mov_b32_e32 v19, v17
	;; [unrolled: 1-line block ×3, first 2 shown]
	ds_store_b128 v8, v[17:20]
.LBB128_79:
	s_and_not1_saveexec_b32 s7, s6
	s_cbranch_execz .LBB128_81
; %bb.80:
	s_lshl_b64 s[18:19], s[20:21], 7
	v_add_nc_u32_e32 v8, 0x1080, v16
	v_add_co_u32 v17, s6, v5, s18
	s_delay_alu instid0(VALU_DEP_1)
	v_add_co_ci_u32_e64 v18, s6, s19, v6, s6
	global_load_b128 v[17:20], v[17:18], off
	s_waitcnt vmcnt(0)
	ds_store_2addr_b64 v8, v[17:18], v[19:20] offset1:1
.LBB128_81:
	s_or_b32 exec_lo, exec_lo, s7
	v_add_nc_u32_e32 v8, 16, v9
	s_delay_alu instid0(VALU_DEP_1) | instskip(NEXT) | instid1(VALU_DEP_1)
	v_cmp_le_i32_e64 s6, s12, v8
	s_and_saveexec_b32 s7, s6
	s_delay_alu instid0(SALU_CYCLE_1)
	s_xor_b32 s6, exec_lo, s7
	s_cbranch_execz .LBB128_83
; %bb.82:
	v_mul_u32_u24_e32 v10, 33, v8
	v_mov_b32_e32 v17, 0
	s_delay_alu instid0(VALU_DEP_2) | instskip(NEXT) | instid1(VALU_DEP_2)
	v_add_lshl_u32 v4, v10, v4, 4
	v_mov_b32_e32 v18, v17
	v_mov_b32_e32 v19, v17
	;; [unrolled: 1-line block ×3, first 2 shown]
	ds_store_b128 v4, v[17:20]
.LBB128_83:
	s_and_not1_saveexec_b32 s7, s6
	s_cbranch_execz .LBB128_85
; %bb.84:
	s_lshl_b64 s[18:19], s[20:21], 8
	v_add_nc_u32_e32 v4, 0x2100, v16
	v_add_co_u32 v17, s6, v5, s18
	s_delay_alu instid0(VALU_DEP_1)
	v_add_co_ci_u32_e64 v18, s6, s19, v6, s6
	global_load_b128 v[17:20], v[17:18], off
	s_waitcnt vmcnt(0)
	ds_store_2addr_b64 v4, v[17:18], v[19:20] offset1:1
.LBB128_85:
	s_or_b32 exec_lo, exec_lo, s7
	v_add_nc_u32_e32 v10, 24, v9
                                        ; implicit-def: $vgpr14
	s_delay_alu instid0(VALU_DEP_1) | instskip(NEXT) | instid1(VALU_DEP_1)
	v_cmp_le_i32_e64 s6, s12, v10
	s_and_saveexec_b32 s7, s6
	s_delay_alu instid0(SALU_CYCLE_1)
	s_xor_b32 s6, exec_lo, s7
	s_cbranch_execz .LBB128_87
; %bb.86:
	v_dual_mov_b32 v17, 0 :: v_dual_add_nc_u32 v14, 0x318, v11
	s_delay_alu instid0(VALU_DEP_1)
	v_mov_b32_e32 v18, v17
	v_mov_b32_e32 v19, v17
	;; [unrolled: 1-line block ×3, first 2 shown]
	ds_store_b128 v16, v[17:20] offset:12672
                                        ; implicit-def: $vgpr16
.LBB128_87:
	s_and_not1_saveexec_b32 s6, s6
	s_cbranch_execz .LBB128_89
; %bb.88:
	v_mad_u64_u32 v[17:18], null, 0x180, s20, v[5:6]
	v_add_nc_u32_e32 v14, 0x318, v11
	s_delay_alu instid0(VALU_DEP_2) | instskip(NEXT) | instid1(VALU_DEP_1)
	v_mov_b32_e32 v4, v18
	v_mad_u64_u32 v[18:19], null, 0x180, s21, v[4:5]
	v_add_nc_u32_e32 v4, 0x3180, v16
	global_load_b128 v[17:20], v[17:18], off
	s_waitcnt vmcnt(0)
	ds_store_2addr_b64 v4, v[17:18], v[19:20] offset1:1
.LBB128_89:
	s_or_b32 exec_lo, exec_lo, s6
	v_add_co_u32 v4, s6, v5, v15
	s_delay_alu instid0(VALU_DEP_1) | instskip(NEXT) | instid1(VALU_DEP_2)
	v_add_co_ci_u32_e64 v5, s6, 0, v6, s6
	v_sub_co_u32 v4, s6, v4, s8
	s_delay_alu instid0(VALU_DEP_1) | instskip(NEXT) | instid1(VALU_DEP_2)
	v_subrev_co_ci_u32_e64 v5, s6, s9, v5, s6
	v_add_co_u32 v4, s6, 0x210, v4
	s_delay_alu instid0(VALU_DEP_1) | instskip(SKIP_1) | instid1(VALU_DEP_2)
	v_add_co_ci_u32_e64 v5, s6, 0, v5, s6
	v_add_nc_u32_e32 v6, 0x108, v11
	v_dual_cndmask_b32 v40, v4, v40 :: v_dual_cndmask_b32 v41, v5, v41
	v_add_nc_u32_e32 v5, 0x210, v11
.LBB128_90:
	v_lshlrev_b32_e32 v4, 4, v9
	v_lshlrev_b32_e32 v9, 4, v11
	s_waitcnt lgkmcnt(0)
	s_barrier
	buffer_gl0_inv
	ds_load_b128 v[15:18], v4 offset:18176
	ds_load_b128 v[19:22], v9
	v_lshlrev_b32_e32 v4, 4, v7
	v_lshlrev_b32_e32 v6, 4, v6
	;; [unrolled: 1-line block ×3, first 2 shown]
	s_waitcnt lgkmcnt(0)
	v_mul_f64 v[29:30], v[17:18], v[21:22]
	v_mul_f64 v[31:32], v[15:16], v[21:22]
	ds_load_b128 v[21:24], v4 offset:18176
	ds_load_b128 v[25:28], v6
	v_lshlrev_b32_e32 v4, 4, v8
	v_lshlrev_b32_e32 v8, 4, v5
	s_waitcnt lgkmcnt(0)
	v_mul_f64 v[33:34], v[23:24], v[27:28]
	v_mul_f64 v[27:28], v[21:22], v[27:28]
	v_fma_f64 v[29:30], v[15:16], v[19:20], -v[29:30]
	v_fma_f64 v[19:20], v[17:18], v[19:20], v[31:32]
	ds_load_b128 v[4:7], v4 offset:18176
	ds_load_b128 v[15:18], v8
	v_lshlrev_b32_e32 v8, 4, v10
	s_waitcnt lgkmcnt(0)
	v_mul_f64 v[31:32], v[6:7], v[17:18]
	v_mul_f64 v[46:47], v[4:5], v[17:18]
	v_fma_f64 v[21:22], v[21:22], v[25:26], -v[33:34]
	v_fma_f64 v[23:24], v[23:24], v[25:26], v[27:28]
	v_add_f64 v[25:26], v[29:30], 0
	v_add_f64 v[27:28], v[19:20], 0
	ds_load_b128 v[8:11], v8 offset:18176
	ds_load_b128 v[17:20], v14
	s_waitcnt lgkmcnt(0)
	v_mul_f64 v[29:30], v[10:11], v[19:20]
	v_mul_f64 v[19:20], v[8:9], v[19:20]
	v_fma_f64 v[4:5], v[4:5], v[15:16], -v[31:32]
	v_fma_f64 v[6:7], v[6:7], v[15:16], v[46:47]
	v_add_f64 v[14:15], v[25:26], v[21:22]
	v_add_f64 v[21:22], v[27:28], v[23:24]
	v_fma_f64 v[8:9], v[8:9], v[17:18], -v[29:30]
	v_fma_f64 v[10:11], v[10:11], v[17:18], v[19:20]
	s_delay_alu instid0(VALU_DEP_4) | instskip(NEXT) | instid1(VALU_DEP_4)
	v_add_f64 v[4:5], v[14:15], v[4:5]
	v_add_f64 v[6:7], v[21:22], v[6:7]
	s_delay_alu instid0(VALU_DEP_2) | instskip(NEXT) | instid1(VALU_DEP_2)
	v_add_f64 v[46:47], v[4:5], v[8:9]
	v_add_f64 v[48:49], v[6:7], v[10:11]
	ds_load_b128 v[28:31], v12
	ds_load_b128 v[20:23], v12 offset:16
	ds_load_b128 v[8:11], v12 offset:32
	ds_load_b128 v[4:7], v12 offset:48
	ds_load_b128 v[32:35], v13 offset:512
	ds_load_b128 v[24:27], v13 offset:528
	ds_load_b128 v[16:19], v13 offset:544
	ds_load_b128 v[12:15], v13 offset:560
	s_waitcnt lgkmcnt(0)
	s_barrier
	buffer_gl0_inv
	ds_store_b128 v45, v[46:49]
	s_waitcnt lgkmcnt(0)
	s_barrier
	buffer_gl0_inv
	s_and_saveexec_b32 s6, s5
	s_cbranch_execz .LBB128_92
; %bb.91:
	v_lshlrev_b32_e32 v54, 4, v44
	ds_load_b128 v[46:49], v54
	ds_load_b128 v[50:53], v54 offset:16
	s_waitcnt lgkmcnt(1)
	v_add_f64 v[0:1], v[0:1], v[46:47]
	v_add_f64 v[2:3], v[2:3], v[48:49]
	s_waitcnt lgkmcnt(0)
	s_delay_alu instid0(VALU_DEP_2) | instskip(NEXT) | instid1(VALU_DEP_2)
	v_add_f64 v[50:51], v[0:1], v[50:51]
	v_add_f64 v[52:53], v[2:3], v[52:53]
	ds_load_b128 v[0:3], v54 offset:32
	ds_load_b128 v[46:49], v54 offset:48
	s_waitcnt lgkmcnt(1)
	v_add_f64 v[0:1], v[50:51], v[0:1]
	v_add_f64 v[2:3], v[52:53], v[2:3]
	s_waitcnt lgkmcnt(0)
	s_delay_alu instid0(VALU_DEP_2) | instskip(NEXT) | instid1(VALU_DEP_2)
	v_add_f64 v[50:51], v[0:1], v[46:47]
	v_add_f64 v[52:53], v[2:3], v[48:49]
	ds_load_b128 v[0:3], v54 offset:64
	;; [unrolled: 9-line block ×3, first 2 shown]
	ds_load_b128 v[46:49], v54 offset:112
	s_waitcnt lgkmcnt(1)
	v_add_f64 v[0:1], v[50:51], v[0:1]
	v_add_f64 v[2:3], v[52:53], v[2:3]
	s_waitcnt lgkmcnt(0)
	s_delay_alu instid0(VALU_DEP_2) | instskip(NEXT) | instid1(VALU_DEP_2)
	v_add_f64 v[0:1], v[0:1], v[46:47]
	v_add_f64 v[2:3], v[2:3], v[48:49]
.LBB128_92:
	s_or_b32 exec_lo, exec_lo, s6
	v_mul_f64 v[46:47], v[30:31], v[34:35]
	v_mul_f64 v[34:35], v[28:29], v[34:35]
	;; [unrolled: 1-line block ×4, first 2 shown]
	s_barrier
	buffer_gl0_inv
	v_fma_f64 v[28:29], v[28:29], v[32:33], -v[46:47]
	v_fma_f64 v[30:31], v[30:31], v[32:33], v[34:35]
	v_mul_f64 v[32:33], v[10:11], v[18:19]
	v_mul_f64 v[18:19], v[8:9], v[18:19]
	v_fma_f64 v[20:21], v[20:21], v[24:25], -v[48:49]
	v_fma_f64 v[22:23], v[22:23], v[24:25], v[26:27]
	v_add_f64 v[24:25], v[28:29], 0
	v_add_f64 v[26:27], v[30:31], 0
	v_mul_f64 v[28:29], v[6:7], v[14:15]
	v_mul_f64 v[14:15], v[4:5], v[14:15]
	v_fma_f64 v[8:9], v[8:9], v[16:17], -v[32:33]
	v_fma_f64 v[10:11], v[10:11], v[16:17], v[18:19]
	v_add_f64 v[16:17], v[24:25], v[20:21]
	v_add_f64 v[18:19], v[26:27], v[22:23]
	v_fma_f64 v[4:5], v[4:5], v[12:13], -v[28:29]
	v_fma_f64 v[6:7], v[6:7], v[12:13], v[14:15]
	s_delay_alu instid0(VALU_DEP_4) | instskip(NEXT) | instid1(VALU_DEP_4)
	v_add_f64 v[8:9], v[16:17], v[8:9]
	v_add_f64 v[10:11], v[18:19], v[10:11]
	s_delay_alu instid0(VALU_DEP_2) | instskip(NEXT) | instid1(VALU_DEP_2)
	v_add_f64 v[4:5], v[8:9], v[4:5]
	v_add_f64 v[6:7], v[10:11], v[6:7]
	ds_store_b128 v45, v[4:7]
	s_waitcnt lgkmcnt(0)
	s_barrier
	buffer_gl0_inv
	s_and_saveexec_b32 s5, s4
	s_cbranch_execz .LBB128_94
; %bb.93:
	v_lshlrev_b32_e32 v12, 4, v44
	ds_load_b128 v[4:7], v12
	ds_load_b128 v[8:11], v12 offset:16
	s_waitcnt lgkmcnt(1)
	v_add_f64 v[0:1], v[0:1], v[4:5]
	v_add_f64 v[2:3], v[2:3], v[6:7]
	s_waitcnt lgkmcnt(0)
	s_delay_alu instid0(VALU_DEP_2) | instskip(NEXT) | instid1(VALU_DEP_2)
	v_add_f64 v[8:9], v[0:1], v[8:9]
	v_add_f64 v[10:11], v[2:3], v[10:11]
	ds_load_b128 v[0:3], v12 offset:32
	ds_load_b128 v[4:7], v12 offset:48
	s_waitcnt lgkmcnt(1)
	v_add_f64 v[0:1], v[8:9], v[0:1]
	v_add_f64 v[2:3], v[10:11], v[2:3]
	s_waitcnt lgkmcnt(0)
	s_delay_alu instid0(VALU_DEP_2) | instskip(NEXT) | instid1(VALU_DEP_2)
	v_add_f64 v[8:9], v[0:1], v[4:5]
	v_add_f64 v[10:11], v[2:3], v[6:7]
	ds_load_b128 v[0:3], v12 offset:64
	;; [unrolled: 9-line block ×3, first 2 shown]
	ds_load_b128 v[4:7], v12 offset:112
	s_waitcnt lgkmcnt(1)
	v_add_f64 v[0:1], v[8:9], v[0:1]
	v_add_f64 v[2:3], v[10:11], v[2:3]
	s_waitcnt lgkmcnt(0)
	s_delay_alu instid0(VALU_DEP_2) | instskip(NEXT) | instid1(VALU_DEP_2)
	v_add_f64 v[0:1], v[0:1], v[4:5]
	v_add_f64 v[2:3], v[2:3], v[6:7]
.LBB128_94:
	s_or_b32 exec_lo, exec_lo, s5
	s_load_b64 s[0:1], s[0:1], 0x78
	s_mul_hi_u32 s4, s30, s15
	s_mul_i32 s25, s25, s15
	s_mul_i32 s5, s30, s15
	s_add_i32 s4, s4, s25
	s_mul_hi_u32 s6, s5, s24
	s_mul_i32 s7, s4, s24
	s_mul_i32 s4, s5, s24
	s_add_i32 s5, s6, s7
	s_mul_i32 s6, s14, s30
	s_lshl_b64 s[4:5], s[4:5], 4
	v_cmp_le_i32_e32 vcc_lo, s12, v42
	v_lshlrev_b32_e32 v139, 4, v42
	s_waitcnt lgkmcnt(0)
	s_barrier
	buffer_gl0_inv
	s_add_u32 s4, s0, s4
	s_addc_u32 s5, s1, s5
	s_ashr_i32 s7, s6, 31
	s_delay_alu instid0(SALU_CYCLE_1) | instskip(NEXT) | instid1(SALU_CYCLE_1)
	s_lshl_b64 s[0:1], s[6:7], 4
	s_add_u32 s6, s4, s0
	s_addc_u32 s7, s5, s1
	s_and_b32 vcc_lo, s22, vcc_lo
	s_cmp_lt_i32 s14, 1
	s_cbranch_scc1 .LBB128_101
; %bb.95:
	v_lshlrev_b32_e32 v8, 2, v138
	s_ashr_i32 s13, s12, 31
	v_mov_b32_e32 v135, 0
	s_lshl_b64 s[8:9], s[12:13], 4
	s_mul_i32 s1, s10, s29
	v_mad_u64_u32 v[4:5], null, v8, s20, 0
	s_mul_hi_u32 s5, s10, s28
	s_mul_i32 s11, s11, s28
	s_add_i32 s1, s5, s1
	s_mul_i32 s4, s10, s28
	s_add_i32 s5, s1, s11
	v_or_b32_e32 v10, 0xf0, v139
	s_delay_alu instid0(VALU_DEP_2) | instskip(SKIP_1) | instid1(VALU_DEP_1)
	v_mad_u64_u32 v[6:7], null, v8, s21, v[5:6]
	v_sub_co_u32 v8, s0, v40, s16
	v_subrev_co_ci_u32_e64 v9, s0, s17, v41, s0
	s_lshl_b64 s[4:5], s[4:5], 4
	s_delay_alu instid0(VALU_DEP_2) | instskip(NEXT) | instid1(VALU_DEP_4)
	v_sub_co_u32 v8, s0, v8, v38
	v_dual_mov_b32 v5, v6 :: v_dual_and_b32 v6, 48, v42
	s_delay_alu instid0(VALU_DEP_3) | instskip(SKIP_1) | instid1(VALU_DEP_3)
	v_sub_co_ci_u32_e64 v9, s0, v9, v39, s0
	v_add_nc_u32_e32 v142, 0x4300, v139
	v_lshlrev_b64 v[4:5], 4, v[4:5]
	v_add_nc_u32_e32 v143, 0x4700, v139
	v_lshl_add_u32 v147, v138, 6, 0x4300
	v_mad_u32_u24 v148, 0x10c0, v138, v139
	s_mul_i32 s1, s21, 0xd0
	s_mov_b32 s10, 0
	v_add_co_u32 v4, s0, v8, v4
	s_delay_alu instid0(VALU_DEP_1) | instskip(NEXT) | instid1(VALU_DEP_2)
	v_add_co_ci_u32_e64 v5, s0, v9, v5, s0
	v_add_co_u32 v8, s0, v4, s8
	s_delay_alu instid0(VALU_DEP_1) | instskip(SKIP_1) | instid1(VALU_DEP_1)
	v_add_co_ci_u32_e64 v9, s0, s9, v5, s0
	v_add_co_u32 v4, s0, v4, v139
	v_add_co_ci_u32_e64 v5, s0, 0, v5, s0
	s_delay_alu instid0(VALU_DEP_4) | instskip(NEXT) | instid1(VALU_DEP_1)
	v_add_co_u32 v8, s0, 0xfffffdf0, v8
	v_add_co_ci_u32_e64 v9, s0, -1, v9, s0
	s_delay_alu instid0(VALU_DEP_4) | instskip(NEXT) | instid1(VALU_DEP_1)
	v_add_co_u32 v4, s0, 0xfffffe00, v4
	v_add_co_ci_u32_e64 v5, s0, -1, v5, s0
	s_delay_alu instid0(VALU_DEP_2) | instskip(NEXT) | instid1(VALU_DEP_2)
	v_dual_cndmask_b32 v4, v4, v8 :: v_dual_and_b32 v7, 15, v42
	v_dual_cndmask_b32 v5, v5, v9 :: v_dual_lshlrev_b32 v8, 2, v43
	v_lshlrev_b32_e32 v9, 4, v6
	v_sub_co_u32 v140, s0, v36, s4
	s_delay_alu instid0(VALU_DEP_3) | instskip(SKIP_1) | instid1(VALU_DEP_4)
	v_and_b32_e32 v8, 0x7ffc0, v8
	v_subrev_co_ci_u32_e64 v141, s0, s5, v37, s0
	v_mad_u32_u24 v144, 0x430, v7, v9
	v_and_b32_e32 v9, 0x1fff0, v43
	v_cmp_gt_u32_e64 s0, 64, v43
	v_mad_u32_u24 v145, 0x430, v7, v10
	v_mad_u32_u24 v146, 0x430, v7, v8
	v_or_b32_e32 v150, v6, v7
	v_mad_u32_u24 v149, 0x430, v7, v9
	s_mul_hi_u32 s8, s20, 0xd0
	s_lshl_b64 s[4:5], s[20:21], 4
	s_add_i32 s8, s8, s1
	s_mul_i32 s9, s20, 0xd0
	s_branch .LBB128_97
.LBB128_96:                             ;   in Loop: Header=BB128_97 Depth=1
	s_or_b32 exec_lo, exec_lo, s11
	v_mul_f64 v[151:152], v[10:11], v[38:39]
	v_mul_f64 v[38:39], v[8:9], v[38:39]
	;; [unrolled: 1-line block ×4, first 2 shown]
	s_add_i32 s14, s14, -1
	s_add_i32 s10, s10, 64
	s_cmp_eq_u32 s14, 0
	s_waitcnt_vscnt null, 0x0
	s_barrier
	buffer_gl0_inv
	v_fma_f64 v[8:9], v[8:9], v[36:37], -v[151:152]
	v_fma_f64 v[10:11], v[10:11], v[36:37], v[38:39]
	v_mul_f64 v[36:37], v[14:15], v[46:47]
	v_mul_f64 v[38:39], v[12:13], v[46:47]
	v_fma_f64 v[16:17], v[16:17], v[48:49], -v[153:154]
	v_fma_f64 v[18:19], v[18:19], v[48:49], v[50:51]
	v_add_f64 v[0:1], v[0:1], v[8:9]
	v_add_f64 v[2:3], v[2:3], v[10:11]
	v_mul_f64 v[8:9], v[6:7], v[42:43]
	v_mul_f64 v[10:11], v[4:5], v[42:43]
	v_fma_f64 v[12:13], v[12:13], v[44:45], -v[36:37]
	v_fma_f64 v[14:15], v[14:15], v[44:45], v[38:39]
	v_add_f64 v[0:1], v[0:1], v[16:17]
	v_add_f64 v[2:3], v[2:3], v[18:19]
	v_mul_f64 v[16:17], v[34:35], v[74:75]
	v_mul_f64 v[18:19], v[32:33], v[74:75]
	v_fma_f64 v[4:5], v[4:5], v[40:41], -v[8:9]
	v_fma_f64 v[6:7], v[6:7], v[40:41], v[10:11]
	v_mul_f64 v[8:9], v[30:31], v[82:83]
	v_mul_f64 v[10:11], v[28:29], v[82:83]
	v_add_f64 v[0:1], v[0:1], v[12:13]
	v_add_f64 v[2:3], v[2:3], v[14:15]
	v_fma_f64 v[12:13], v[32:33], v[72:73], -v[16:17]
	v_fma_f64 v[14:15], v[34:35], v[72:73], v[18:19]
	v_fma_f64 v[8:9], v[28:29], v[80:81], -v[8:9]
	v_fma_f64 v[10:11], v[30:31], v[80:81], v[10:11]
	v_add_f64 v[0:1], v[0:1], v[4:5]
	v_add_f64 v[2:3], v[2:3], v[6:7]
	v_mul_f64 v[4:5], v[26:27], v[78:79]
	v_mul_f64 v[6:7], v[24:25], v[78:79]
	s_delay_alu instid0(VALU_DEP_4) | instskip(NEXT) | instid1(VALU_DEP_4)
	v_add_f64 v[0:1], v[0:1], v[12:13]
	v_add_f64 v[2:3], v[2:3], v[14:15]
	v_mul_f64 v[12:13], v[22:23], v[70:71]
	v_mul_f64 v[14:15], v[20:21], v[70:71]
	v_fma_f64 v[4:5], v[24:25], v[76:77], -v[4:5]
	v_fma_f64 v[6:7], v[26:27], v[76:77], v[6:7]
	v_add_f64 v[0:1], v[0:1], v[8:9]
	v_add_f64 v[2:3], v[2:3], v[10:11]
	v_mul_f64 v[8:9], v[66:67], v[102:103]
	v_mul_f64 v[10:11], v[64:65], v[102:103]
	v_fma_f64 v[12:13], v[20:21], v[68:69], -v[12:13]
	v_fma_f64 v[14:15], v[22:23], v[68:69], v[14:15]
	;; [unrolled: 6-line block ×9, first 2 shown]
	v_add_f64 v[0:1], v[0:1], v[12:13]
	v_add_f64 v[2:3], v[2:3], v[14:15]
	v_fma_f64 v[4:5], v[104:105], v[120:121], -v[4:5]
	v_fma_f64 v[6:7], v[106:107], v[120:121], v[6:7]
	s_delay_alu instid0(VALU_DEP_4) | instskip(NEXT) | instid1(VALU_DEP_4)
	v_add_f64 v[0:1], v[0:1], v[8:9]
	v_add_f64 v[2:3], v[2:3], v[10:11]
	s_delay_alu instid0(VALU_DEP_2) | instskip(NEXT) | instid1(VALU_DEP_2)
	v_add_f64 v[0:1], v[0:1], v[4:5]
	v_add_f64 v[2:3], v[2:3], v[6:7]
	v_add_co_u32 v4, s1, v136, s9
	s_delay_alu instid0(VALU_DEP_1)
	v_add_co_ci_u32_e64 v5, s1, s8, v137, s1
	s_cbranch_scc1 .LBB128_101
.LBB128_97:                             ; =>This Inner Loop Header: Depth=1
	s_and_saveexec_b32 s11, s3
	s_cbranch_execz .LBB128_99
; %bb.98:                               ;   in Loop: Header=BB128_97 Depth=1
	s_mul_i32 s1, s10, s29
	s_mul_hi_u32 s13, s10, s28
	s_mul_i32 s12, s10, s28
	s_add_i32 s13, s13, s1
	s_delay_alu instid0(SALU_CYCLE_1) | instskip(NEXT) | instid1(SALU_CYCLE_1)
	s_lshl_b64 s[12:13], s[12:13], 4
	v_add_co_u32 v6, s1, v140, s12
	s_delay_alu instid0(VALU_DEP_1)
	v_add_co_ci_u32_e64 v7, s1, s13, v141, s1
	global_load_b128 v[6:9], v[6:7], off
	s_waitcnt vmcnt(0)
	ds_store_2addr_b64 v142, v[6:7], v[8:9] offset1:1
.LBB128_99:                             ;   in Loop: Header=BB128_97 Depth=1
	s_or_b32 exec_lo, exec_lo, s11
	v_add_co_u32 v6, s1, v4, s4
	s_delay_alu instid0(VALU_DEP_1) | instskip(SKIP_1) | instid1(VALU_DEP_2)
	v_add_co_ci_u32_e64 v7, s1, s5, v5, s1
	s_waitcnt lgkmcnt(0)
	v_add_co_u32 v12, s1, v6, s4
	s_delay_alu instid0(VALU_DEP_1) | instskip(SKIP_1) | instid1(VALU_DEP_2)
	v_add_co_ci_u32_e64 v13, s1, s5, v7, s1
	s_barrier
	v_add_co_u32 v34, s1, v12, s4
	buffer_gl0_inv
	global_load_b128 v[8:11], v[4:5], off
	v_add_co_ci_u32_e64 v35, s1, s5, v13, s1
	s_clause 0x2
	global_load_b128 v[16:19], v[6:7], off
	global_load_b128 v[12:15], v[12:13], off
	;; [unrolled: 1-line block ×3, first 2 shown]
	ds_load_b128 v[20:23], v143
	s_waitcnt vmcnt(3) lgkmcnt(0)
	v_mul_f64 v[24:25], v[10:11], v[22:23]
	v_mul_f64 v[26:27], v[8:9], v[22:23]
	s_waitcnt vmcnt(2)
	v_mul_f64 v[28:29], v[18:19], v[22:23]
	v_mul_f64 v[30:31], v[16:17], v[22:23]
	s_waitcnt vmcnt(1)
	;; [unrolled: 3-line block ×3, first 2 shown]
	v_mul_f64 v[38:39], v[6:7], v[22:23]
	v_mul_f64 v[40:41], v[4:5], v[22:23]
	v_fma_f64 v[22:23], v[8:9], v[20:21], -v[24:25]
	v_fma_f64 v[24:25], v[10:11], v[20:21], v[26:27]
	v_fma_f64 v[26:27], v[16:17], v[20:21], -v[28:29]
	v_fma_f64 v[28:29], v[18:19], v[20:21], v[30:31]
	;; [unrolled: 2-line block ×4, first 2 shown]
	v_add_co_u32 v20, s1, v34, s9
	s_delay_alu instid0(VALU_DEP_1) | instskip(SKIP_2) | instid1(VALU_DEP_1)
	v_add_co_ci_u32_e64 v21, s1, s8, v35, s1
	ds_load_b128 v[36:39], v147
	v_add_co_u32 v56, s1, v20, s4
	v_add_co_ci_u32_e64 v57, s1, s5, v21, s1
	s_delay_alu instid0(VALU_DEP_2) | instskip(NEXT) | instid1(VALU_DEP_1)
	v_add_co_u32 v58, s1, v56, s4
	v_add_co_ci_u32_e64 v59, s1, s5, v57, s1
	s_delay_alu instid0(VALU_DEP_2) | instskip(NEXT) | instid1(VALU_DEP_1)
	v_add_co_u32 v66, s1, v58, s4
	v_add_co_ci_u32_e64 v67, s1, s5, v59, s1
	ds_store_b128 v148, v[22:25]
	ds_load_b128 v[48:51], v147 offset:16
	ds_store_b128 v148, v[26:29] offset:1072
	ds_load_b128 v[44:47], v147 offset:32
	ds_store_b128 v148, v[30:33] offset:2144
	;; [unrolled: 2-line block ×3, first 2 shown]
	s_waitcnt lgkmcnt(0)
	s_barrier
	buffer_gl0_inv
	ds_load_b128 v[84:87], v146
	ds_load_b128 v[88:91], v146 offset:16
	ds_load_b128 v[116:119], v146 offset:32
	;; [unrolled: 1-line block ×3, first 2 shown]
	s_waitcnt lgkmcnt(0)
	s_barrier
	buffer_gl0_inv
	s_clause 0x2
	global_load_b128 v[32:35], v[20:21], off
	global_load_b128 v[28:31], v[56:57], off
	;; [unrolled: 1-line block ×4, first 2 shown]
	ds_load_b128 v[52:55], v143
	v_add_f64 v[159:160], v[84:85], 0
	v_add_f64 v[161:162], v[86:87], 0
	s_delay_alu instid0(VALU_DEP_2) | instskip(NEXT) | instid1(VALU_DEP_2)
	v_add_f64 v[169:170], v[159:160], v[88:89]
	v_add_f64 v[171:172], v[161:162], v[90:91]
	s_waitcnt vmcnt(2) lgkmcnt(0)
	v_mul_f64 v[60:61], v[30:31], v[54:55]
	v_mul_f64 v[56:57], v[34:35], v[54:55]
	;; [unrolled: 1-line block ×4, first 2 shown]
	s_waitcnt vmcnt(1)
	v_mul_f64 v[64:65], v[26:27], v[54:55]
	v_mul_f64 v[68:69], v[24:25], v[54:55]
	s_waitcnt vmcnt(0)
	v_mul_f64 v[70:71], v[22:23], v[54:55]
	v_mul_f64 v[72:73], v[20:21], v[54:55]
	v_fma_f64 v[54:55], v[32:33], v[52:53], -v[56:57]
	v_fma_f64 v[56:57], v[34:35], v[52:53], v[58:59]
	v_fma_f64 v[58:59], v[28:29], v[52:53], -v[60:61]
	v_fma_f64 v[60:61], v[30:31], v[52:53], v[62:63]
	;; [unrolled: 2-line block ×4, first 2 shown]
	v_add_co_u32 v52, s1, v66, s9
	s_delay_alu instid0(VALU_DEP_1) | instskip(SKIP_2) | instid1(VALU_DEP_1)
	v_add_co_ci_u32_e64 v53, s1, s8, v67, s1
	ds_load_b128 v[72:75], v147 offset:256
	v_add_co_u32 v96, s1, v52, s4
	v_add_co_ci_u32_e64 v97, s1, s5, v53, s1
	s_delay_alu instid0(VALU_DEP_2) | instskip(NEXT) | instid1(VALU_DEP_1)
	v_add_co_u32 v98, s1, v96, s4
	v_add_co_ci_u32_e64 v99, s1, s5, v97, s1
	s_delay_alu instid0(VALU_DEP_2) | instskip(NEXT) | instid1(VALU_DEP_1)
	v_add_co_u32 v100, s1, v98, s4
	v_add_co_ci_u32_e64 v101, s1, s5, v99, s1
	ds_store_b128 v148, v[54:57]
	ds_load_b128 v[80:83], v147 offset:272
	ds_store_b128 v148, v[58:61] offset:1072
	ds_load_b128 v[76:79], v147 offset:288
	ds_store_b128 v148, v[62:65] offset:2144
	;; [unrolled: 2-line block ×3, first 2 shown]
	s_waitcnt lgkmcnt(0)
	s_barrier
	buffer_gl0_inv
	ds_load_b128 v[92:95], v146
	ds_load_b128 v[120:123], v146 offset:16
	ds_load_b128 v[124:127], v146 offset:32
	;; [unrolled: 1-line block ×3, first 2 shown]
	s_waitcnt lgkmcnt(0)
	s_barrier
	buffer_gl0_inv
	global_load_b128 v[64:67], v[52:53], off
	global_load_b128 v[60:63], v[96:97], off
	;; [unrolled: 1-line block ×4, first 2 shown]
	ds_load_b128 v[96:99], v143
	v_add_f64 v[92:93], v[92:93], 0
	v_add_f64 v[94:95], v[94:95], 0
	s_delay_alu instid0(VALU_DEP_2) | instskip(NEXT) | instid1(VALU_DEP_2)
	v_add_f64 v[120:121], v[92:93], v[120:121]
	v_add_f64 v[122:123], v[94:95], v[122:123]
	s_delay_alu instid0(VALU_DEP_2) | instskip(NEXT) | instid1(VALU_DEP_2)
	v_add_f64 v[120:121], v[120:121], v[124:125]
	v_add_f64 v[122:123], v[122:123], v[126:127]
	s_delay_alu instid0(VALU_DEP_1)
	v_add_f64 v[173:174], v[122:123], v[130:131]
	s_waitcnt vmcnt(2) lgkmcnt(0)
	v_mul_f64 v[110:111], v[62:63], v[98:99]
	v_mul_f64 v[102:103], v[66:67], v[98:99]
	;; [unrolled: 1-line block ×4, first 2 shown]
	s_waitcnt vmcnt(1)
	v_mul_f64 v[114:115], v[58:59], v[98:99]
	v_mul_f64 v[136:137], v[56:57], v[98:99]
	s_waitcnt vmcnt(0)
	v_mul_f64 v[155:156], v[54:55], v[98:99]
	v_mul_f64 v[98:99], v[52:53], v[98:99]
	v_fma_f64 v[84:85], v[64:65], v[96:97], -v[102:103]
	v_fma_f64 v[86:87], v[66:67], v[96:97], v[108:109]
	v_fma_f64 v[108:109], v[60:61], v[96:97], -v[110:111]
	v_fma_f64 v[110:111], v[62:63], v[96:97], v[112:113]
	;; [unrolled: 2-line block ×4, first 2 shown]
	v_add_co_u32 v136, s1, v100, s9
	s_delay_alu instid0(VALU_DEP_1) | instskip(SKIP_2) | instid1(VALU_DEP_1)
	v_add_co_ci_u32_e64 v137, s1, s8, v101, s1
	ds_load_b128 v[100:103], v147 offset:512
	v_add_co_u32 v167, s1, v136, s4
	v_add_co_ci_u32_e64 v168, s1, s5, v137, s1
	s_delay_alu instid0(VALU_DEP_2) | instskip(NEXT) | instid1(VALU_DEP_1)
	v_add_co_u32 v175, s1, v167, s4
	v_add_co_ci_u32_e64 v176, s1, s5, v168, s1
	ds_store_b128 v148, v[84:87]
	ds_load_b128 v[112:115], v147 offset:528
	ds_store_b128 v148, v[108:111] offset:1072
	ds_load_b128 v[108:111], v147 offset:544
	ds_store_b128 v148, v[151:154] offset:2144
	;; [unrolled: 2-line block ×3, first 2 shown]
	s_waitcnt lgkmcnt(0)
	s_barrier
	buffer_gl0_inv
	ds_load_b128 v[151:154], v146
	ds_load_b128 v[155:158], v146 offset:16
	ds_load_b128 v[159:162], v146 offset:32
	;; [unrolled: 1-line block ×3, first 2 shown]
	s_waitcnt lgkmcnt(0)
	s_barrier
	buffer_gl0_inv
	global_load_b128 v[88:91], v[136:137], off
	v_add_f64 v[136:137], v[169:170], v[116:117]
	v_add_f64 v[169:170], v[171:172], v[118:119]
	ds_load_b128 v[116:119], v143
	global_load_b128 v[84:87], v[167:168], off
	global_load_b128 v[92:95], v[175:176], off
	v_add_f64 v[171:172], v[120:121], v[128:129]
	v_add_f64 v[167:168], v[136:137], v[104:105]
	;; [unrolled: 1-line block ×3, first 2 shown]
	v_add_co_u32 v136, s1, v175, s4
	s_delay_alu instid0(VALU_DEP_1)
	v_add_co_ci_u32_e64 v137, s1, s5, v176, s1
	s_waitcnt vmcnt(2) lgkmcnt(0)
	v_mul_f64 v[104:105], v[90:91], v[118:119]
	v_mul_f64 v[106:107], v[88:89], v[118:119]
	s_waitcnt vmcnt(1)
	v_mul_f64 v[124:125], v[86:87], v[118:119]
	s_waitcnt vmcnt(0)
	v_mul_f64 v[128:129], v[94:95], v[118:119]
	v_mul_f64 v[126:127], v[84:85], v[118:119]
	;; [unrolled: 1-line block ×3, first 2 shown]
	v_fma_f64 v[120:121], v[88:89], v[116:117], -v[104:105]
	v_fma_f64 v[122:123], v[90:91], v[116:117], v[106:107]
	global_load_b128 v[104:107], v[136:137], off
	v_fma_f64 v[124:125], v[84:85], v[116:117], -v[124:125]
	v_fma_f64 v[175:176], v[92:93], v[116:117], -v[128:129]
	v_fma_f64 v[126:127], v[86:87], v[116:117], v[126:127]
	v_fma_f64 v[177:178], v[94:95], v[116:117], v[130:131]
	s_waitcnt vmcnt(0)
	v_mul_f64 v[128:129], v[106:107], v[118:119]
	v_mul_f64 v[118:119], v[104:105], v[118:119]
	s_delay_alu instid0(VALU_DEP_2) | instskip(NEXT) | instid1(VALU_DEP_2)
	v_fma_f64 v[179:180], v[104:105], v[116:117], -v[128:129]
	v_fma_f64 v[181:182], v[106:107], v[116:117], v[118:119]
	v_add_f64 v[116:117], v[151:152], 0
	v_add_f64 v[118:119], v[153:154], 0
	s_delay_alu instid0(VALU_DEP_2) | instskip(NEXT) | instid1(VALU_DEP_2)
	v_add_f64 v[155:156], v[116:117], v[155:156]
	v_add_f64 v[157:158], v[118:119], v[157:158]
	ds_load_b128 v[116:119], v147 offset:768
	ds_store_b128 v148, v[120:123]
	ds_load_b128 v[128:131], v147 offset:784
	ds_store_b128 v148, v[124:127] offset:1072
	ds_load_b128 v[124:127], v147 offset:800
	ds_store_b128 v148, v[175:178] offset:2144
	ds_load_b128 v[120:123], v147 offset:816
	ds_store_b128 v148, v[179:182] offset:3216
	s_waitcnt lgkmcnt(0)
	s_barrier
	buffer_gl0_inv
	ds_load_b128 v[151:154], v146
	s_waitcnt lgkmcnt(0)
	v_add_f64 v[175:176], v[151:152], 0
	v_add_f64 v[177:178], v[153:154], 0
	ds_load_b128 v[151:154], v146 offset:16
	v_add_f64 v[155:156], v[155:156], v[159:160]
	v_add_f64 v[157:158], v[157:158], v[161:162]
	s_waitcnt lgkmcnt(0)
	v_add_f64 v[175:176], v[175:176], v[151:152]
	v_add_f64 v[177:178], v[177:178], v[153:154]
	ds_load_b128 v[151:154], v146 offset:32
	s_waitcnt lgkmcnt(0)
	v_add_f64 v[159:160], v[175:176], v[151:152]
	v_add_f64 v[161:162], v[177:178], v[153:154]
	;; [unrolled: 1-line block ×4, first 2 shown]
	ds_load_b128 v[155:158], v146 offset:48
	s_waitcnt lgkmcnt(0)
	s_barrier
	buffer_gl0_inv
	v_add_f64 v[155:156], v[159:160], v[155:156]
	v_add_f64 v[157:158], v[161:162], v[157:158]
	ds_store_b128 v149, v[167:170]
	ds_store_b128 v149, v[171:174] offset:256
	ds_store_b128 v149, v[151:154] offset:512
	;; [unrolled: 1-line block ×3, first 2 shown]
	s_waitcnt lgkmcnt(0)
	s_barrier
	buffer_gl0_inv
	s_and_saveexec_b32 s11, s0
	s_cbranch_execz .LBB128_96
; %bb.100:                              ;   in Loop: Header=BB128_97 Depth=1
	ds_load_b128 v[151:154], v144
	ds_load_b128 v[155:158], v144 offset:16
	v_add_nc_u32_e32 v134, s10, v150
	s_waitcnt lgkmcnt(0)
	v_add_f64 v[159:160], v[155:156], v[151:152]
	v_add_f64 v[161:162], v[157:158], v[153:154]
	ds_load_b128 v[151:154], v144 offset:32
	ds_load_b128 v[155:158], v144 offset:48
	s_waitcnt lgkmcnt(1)
	v_add_f64 v[151:152], v[159:160], v[151:152]
	v_add_f64 v[153:154], v[161:162], v[153:154]
	s_waitcnt lgkmcnt(0)
	s_delay_alu instid0(VALU_DEP_2) | instskip(NEXT) | instid1(VALU_DEP_2)
	v_add_f64 v[159:160], v[151:152], v[155:156]
	v_add_f64 v[161:162], v[153:154], v[157:158]
	ds_load_b128 v[151:154], v144 offset:64
	ds_load_b128 v[155:158], v144 offset:80
	s_waitcnt lgkmcnt(1)
	v_add_f64 v[151:152], v[159:160], v[151:152]
	v_add_f64 v[153:154], v[161:162], v[153:154]
	s_waitcnt lgkmcnt(0)
	s_delay_alu instid0(VALU_DEP_2) | instskip(NEXT) | instid1(VALU_DEP_2)
	;; [unrolled: 9-line block ×6, first 2 shown]
	v_add_f64 v[159:160], v[151:152], v[155:156]
	v_add_f64 v[161:162], v[153:154], v[157:158]
	ds_load_b128 v[151:154], v144 offset:224
	ds_load_b128 v[155:158], v145
	s_waitcnt lgkmcnt(1)
	v_add_f64 v[151:152], v[159:160], v[151:152]
	v_add_f64 v[153:154], v[161:162], v[153:154]
	s_waitcnt lgkmcnt(0)
	s_delay_alu instid0(VALU_DEP_2) | instskip(NEXT) | instid1(VALU_DEP_2)
	v_add_f64 v[151:152], v[151:152], v[155:156]
	v_add_f64 v[153:154], v[153:154], v[157:158]
	v_lshlrev_b64 v[155:156], 4, v[134:135]
	s_delay_alu instid0(VALU_DEP_1) | instskip(NEXT) | instid1(VALU_DEP_1)
	v_add_co_u32 v155, s1, s6, v155
	v_add_co_ci_u32_e64 v156, s1, s7, v156, s1
	global_store_b128 v[155:156], v[151:154], off
	s_branch .LBB128_96
.LBB128_101:
	v_mad_u32_u24 v4, 0x430, v138, v139
	s_or_b32 s0, s2, vcc_lo
	s_delay_alu instid0(SALU_CYCLE_1)
	s_xor_b32 s0, s0, -1
	ds_store_b128 v4, v[0:3]
	s_waitcnt lgkmcnt(0)
	s_barrier
	buffer_gl0_inv
	s_and_saveexec_b32 s1, s0
	s_cbranch_execz .LBB128_103
; %bb.102:
	ds_load_b128 v[0:3], v139 offset:1072
	ds_load_b128 v[4:7], v139
	s_waitcnt lgkmcnt(0)
	v_add_f64 v[8:9], v[0:1], v[4:5]
	v_add_f64 v[10:11], v[2:3], v[6:7]
	ds_load_b128 v[0:3], v139 offset:2144
	ds_load_b128 v[4:7], v139 offset:3216
	s_waitcnt lgkmcnt(1)
	v_add_f64 v[0:1], v[8:9], v[0:1]
	v_add_f64 v[2:3], v[10:11], v[2:3]
	s_waitcnt lgkmcnt(0)
	s_delay_alu instid0(VALU_DEP_2) | instskip(NEXT) | instid1(VALU_DEP_2)
	v_add_f64 v[0:1], v[0:1], v[4:5]
	v_add_f64 v[2:3], v[2:3], v[6:7]
	v_lshlrev_b64 v[4:5], 4, v[132:133]
	s_delay_alu instid0(VALU_DEP_1) | instskip(NEXT) | instid1(VALU_DEP_2)
	v_add_co_u32 v4, vcc_lo, s6, v4
	v_add_co_ci_u32_e32 v5, vcc_lo, s7, v5, vcc_lo
	global_store_b128 v[4:5], v[0:3], off
.LBB128_103:
	s_nop 0
	s_sendmsg sendmsg(MSG_DEALLOC_VGPRS)
	s_endpgm
	.section	.rodata,"a",@progbits
	.p2align	6, 0x0
	.amdhsa_kernel _ZL26rocblas_hemvn_kernel_lowerILb0ELi64ELi4ELi33ELi32ELi16El19rocblas_complex_numIdEPKS1_PS1_EviT6_lT7_lT5_lS6_lS7_lS5_lT8_i
		.amdhsa_group_segment_fixed_size 19200
		.amdhsa_private_segment_fixed_size 0
		.amdhsa_kernarg_size 392
		.amdhsa_user_sgpr_count 14
		.amdhsa_user_sgpr_dispatch_ptr 0
		.amdhsa_user_sgpr_queue_ptr 0
		.amdhsa_user_sgpr_kernarg_segment_ptr 1
		.amdhsa_user_sgpr_dispatch_id 0
		.amdhsa_user_sgpr_private_segment_size 0
		.amdhsa_wavefront_size32 1
		.amdhsa_uses_dynamic_stack 0
		.amdhsa_enable_private_segment 0
		.amdhsa_system_sgpr_workgroup_id_x 1
		.amdhsa_system_sgpr_workgroup_id_y 0
		.amdhsa_system_sgpr_workgroup_id_z 1
		.amdhsa_system_sgpr_workgroup_info 0
		.amdhsa_system_vgpr_workitem_id 1
		.amdhsa_next_free_vgpr 183
		.amdhsa_next_free_sgpr 32
		.amdhsa_reserve_vcc 1
		.amdhsa_float_round_mode_32 0
		.amdhsa_float_round_mode_16_64 0
		.amdhsa_float_denorm_mode_32 3
		.amdhsa_float_denorm_mode_16_64 3
		.amdhsa_dx10_clamp 1
		.amdhsa_ieee_mode 1
		.amdhsa_fp16_overflow 0
		.amdhsa_workgroup_processor_mode 1
		.amdhsa_memory_ordered 1
		.amdhsa_forward_progress 0
		.amdhsa_shared_vgpr_count 0
		.amdhsa_exception_fp_ieee_invalid_op 0
		.amdhsa_exception_fp_denorm_src 0
		.amdhsa_exception_fp_ieee_div_zero 0
		.amdhsa_exception_fp_ieee_overflow 0
		.amdhsa_exception_fp_ieee_underflow 0
		.amdhsa_exception_fp_ieee_inexact 0
		.amdhsa_exception_int_div_zero 0
	.end_amdhsa_kernel
	.section	.text._ZL26rocblas_hemvn_kernel_lowerILb0ELi64ELi4ELi33ELi32ELi16El19rocblas_complex_numIdEPKS1_PS1_EviT6_lT7_lT5_lS6_lS7_lS5_lT8_i,"axG",@progbits,_ZL26rocblas_hemvn_kernel_lowerILb0ELi64ELi4ELi33ELi32ELi16El19rocblas_complex_numIdEPKS1_PS1_EviT6_lT7_lT5_lS6_lS7_lS5_lT8_i,comdat
.Lfunc_end128:
	.size	_ZL26rocblas_hemvn_kernel_lowerILb0ELi64ELi4ELi33ELi32ELi16El19rocblas_complex_numIdEPKS1_PS1_EviT6_lT7_lT5_lS6_lS7_lS5_lT8_i, .Lfunc_end128-_ZL26rocblas_hemvn_kernel_lowerILb0ELi64ELi4ELi33ELi32ELi16El19rocblas_complex_numIdEPKS1_PS1_EviT6_lT7_lT5_lS6_lS7_lS5_lT8_i
                                        ; -- End function
	.section	.AMDGPU.csdata,"",@progbits
; Kernel info:
; codeLenInByte = 10316
; NumSgprs: 34
; NumVgprs: 183
; ScratchSize: 0
; MemoryBound: 0
; FloatMode: 240
; IeeeMode: 1
; LDSByteSize: 19200 bytes/workgroup (compile time only)
; SGPRBlocks: 4
; VGPRBlocks: 22
; NumSGPRsForWavesPerEU: 34
; NumVGPRsForWavesPerEU: 183
; Occupancy: 8
; WaveLimiterHint : 0
; COMPUTE_PGM_RSRC2:SCRATCH_EN: 0
; COMPUTE_PGM_RSRC2:USER_SGPR: 14
; COMPUTE_PGM_RSRC2:TRAP_HANDLER: 0
; COMPUTE_PGM_RSRC2:TGID_X_EN: 1
; COMPUTE_PGM_RSRC2:TGID_Y_EN: 0
; COMPUTE_PGM_RSRC2:TGID_Z_EN: 1
; COMPUTE_PGM_RSRC2:TIDIG_COMP_CNT: 1
	.section	.text._ZL26rocblas_hemvn_kernel_lowerILb0ELi64ELi4ELi33ELi32ELi16Ei19rocblas_complex_numIdEPKS1_PS1_EviT6_lT7_lT5_lS6_lS7_lS5_lT8_i,"axG",@progbits,_ZL26rocblas_hemvn_kernel_lowerILb0ELi64ELi4ELi33ELi32ELi16Ei19rocblas_complex_numIdEPKS1_PS1_EviT6_lT7_lT5_lS6_lS7_lS5_lT8_i,comdat
	.globl	_ZL26rocblas_hemvn_kernel_lowerILb0ELi64ELi4ELi33ELi32ELi16Ei19rocblas_complex_numIdEPKS1_PS1_EviT6_lT7_lT5_lS6_lS7_lS5_lT8_i ; -- Begin function _ZL26rocblas_hemvn_kernel_lowerILb0ELi64ELi4ELi33ELi32ELi16Ei19rocblas_complex_numIdEPKS1_PS1_EviT6_lT7_lT5_lS6_lS7_lS5_lT8_i
	.p2align	8
	.type	_ZL26rocblas_hemvn_kernel_lowerILb0ELi64ELi4ELi33ELi32ELi16Ei19rocblas_complex_numIdEPKS1_PS1_EviT6_lT7_lT5_lS6_lS7_lS5_lT8_i,@function
_ZL26rocblas_hemvn_kernel_lowerILb0ELi64ELi4ELi33ELi32ELi16Ei19rocblas_complex_numIdEPKS1_PS1_EviT6_lT7_lT5_lS6_lS7_lS5_lT8_i: ; @_ZL26rocblas_hemvn_kernel_lowerILb0ELi64ELi4ELi33ELi32ELi16Ei19rocblas_complex_numIdEPKS1_PS1_EviT6_lT7_lT5_lS6_lS7_lS5_lT8_i
; %bb.0:
	s_load_b64 s[4:5], s[0:1], 0x94
	s_add_u32 s2, s0, 0x88
	s_addc_u32 s3, s1, 0
	s_waitcnt lgkmcnt(0)
	s_lshr_b32 s6, s4, 16
	s_and_b32 s4, s4, 0xffff
	s_and_b32 s5, s5, 0xffff
	s_mul_i32 s4, s6, s4
	s_delay_alu instid0(SALU_CYCLE_1) | instskip(NEXT) | instid1(SALU_CYCLE_1)
	s_mul_i32 s4, s4, s5
	s_cmpk_lg_i32 s4, 0x100
	s_cbranch_scc1 .LBB129_103
; %bb.1:
	s_load_b128 s[4:7], s[0:1], 0x8
	s_waitcnt lgkmcnt(0)
	v_cmp_neq_f64_e64 s12, s[4:5], 0
	v_cmp_neq_f64_e64 s6, s[6:7], 0
	s_clause 0x1
	s_load_b128 s[8:11], s[0:1], 0x58
	s_load_b64 s[4:5], s[0:1], 0x68
	s_mov_b32 s7, -1
	s_delay_alu instid0(VALU_DEP_1) | instskip(NEXT) | instid1(SALU_CYCLE_1)
	s_or_b32 s6, s12, s6
	s_and_b32 vcc_lo, exec_lo, s6
	s_cbranch_vccnz .LBB129_3
; %bb.2:
	s_waitcnt lgkmcnt(0)
	v_cmp_neq_f64_e64 s7, s[10:11], 1.0
	v_cmp_neq_f64_e64 s4, s[4:5], 0
	s_delay_alu instid0(VALU_DEP_1)
	s_or_b32 s7, s7, s4
.LBB129_3:
	s_delay_alu instid0(SALU_CYCLE_1)
	s_and_not1_b32 vcc_lo, exec_lo, s7
	s_cbranch_vccnz .LBB129_103
; %bb.4:
	s_and_not1_b32 vcc_lo, exec_lo, s6
	s_cbranch_vccnz .LBB129_103
; %bb.5:
	s_waitcnt lgkmcnt(0)
	s_clause 0x2
	s_load_b128 s[4:7], s[0:1], 0x38
	s_load_b64 s[10:11], s[0:1], 0x48
	s_load_b32 s24, s[0:1], 0x50
	s_mul_i32 s9, s15, s9
	s_mul_hi_u32 s12, s15, s8
	s_mul_i32 s8, s15, s8
	s_add_i32 s9, s12, s9
	v_and_b32_e32 v42, 0x3ff, v0
	s_lshl_b64 s[8:9], s[8:9], 4
	s_load_b32 s25, s[0:1], 0x0
	s_load_b32 s26, s[2:3], 0x0
	v_bfe_u32 v149, v0, 10, 10
	s_waitcnt lgkmcnt(0)
	s_add_u32 s8, s6, s8
	s_addc_u32 s9, s7, s9
	s_lshl_b64 s[6:7], s[10:11], 4
	s_delay_alu instid0(SALU_CYCLE_1) | instskip(SKIP_2) | instid1(SALU_CYCLE_1)
	s_add_u32 s6, s8, s6
	s_addc_u32 s7, s9, s7
	s_lshl_b32 s16, s14, 6
	v_add_nc_u32_e32 v144, s16, v42
	s_ashr_i32 s27, s25, 31
	s_add_i32 s8, s26, -1
	s_lshr_b32 s2, s27, 26
	s_delay_alu instid0(VALU_DEP_1) | instskip(SKIP_3) | instid1(SALU_CYCLE_1)
	v_mul_lo_u32 v1, v144, s24
	s_add_i32 s3, s25, s2
	v_cmp_ne_u32_e64 s2, 0, v149
	s_and_not1_b32 s3, s3, 63
	s_sub_i32 s9, s25, s3
	v_cmp_eq_u32_e64 s3, 0, v149
	s_cmp_eq_u32 s14, s8
	s_delay_alu instid0(VALU_DEP_3) | instskip(SKIP_1) | instid1(VALU_DEP_1)
	v_ashrrev_i32_e32 v2, 31, v1
	s_cselect_b32 s10, s9, 0
	v_lshlrev_b64 v[0:1], 4, v[1:2]
	s_delay_alu instid0(VALU_DEP_1) | instskip(NEXT) | instid1(VALU_DEP_2)
	v_add_co_u32 v36, vcc_lo, s6, v0
	v_add_co_ci_u32_e32 v37, vcc_lo, s7, v1, vcc_lo
	s_mov_b32 s6, -1
	s_and_saveexec_b32 s7, s3
	s_cbranch_execz .LBB129_10
; %bb.6:
	v_cmp_le_i32_e32 vcc_lo, s10, v42
	s_cmp_lg_u32 s10, 0
	v_lshl_add_u32 v0, v42, 4, 0x4700
	s_cselect_b32 s8, -1, 0
	s_delay_alu instid0(SALU_CYCLE_1) | instskip(NEXT) | instid1(SALU_CYCLE_1)
	s_and_b32 s8, s8, vcc_lo
	s_and_saveexec_b32 s9, s8
	s_delay_alu instid0(SALU_CYCLE_1)
	s_xor_b32 s8, exec_lo, s9
	s_cbranch_execz .LBB129_8
; %bb.7:
	v_mov_b32_e32 v1, 0
	s_delay_alu instid0(VALU_DEP_1)
	v_mov_b32_e32 v2, v1
	v_mov_b32_e32 v3, v1
	;; [unrolled: 1-line block ×3, first 2 shown]
	ds_store_b128 v0, v[1:4]
                                        ; implicit-def: $vgpr0
.LBB129_8:
	s_and_not1_saveexec_b32 s8, s8
	s_cbranch_execz .LBB129_10
; %bb.9:
	global_load_b128 v[1:4], v[36:37], off
	s_waitcnt vmcnt(0)
	ds_store_2addr_b64 v0, v[1:2], v[3:4] offset1:1
.LBB129_10:
	s_or_b32 exec_lo, exec_lo, s7
	s_clause 0x1
	s_load_b128 s[20:23], s[0:1], 0x20
	s_load_b32 s12, s[0:1], 0x30
	v_lshl_add_u32 v43, v149, 6, v42
	v_and_b32_e32 v4, 31, v42
	s_mul_i32 s5, s15, s5
	s_mul_hi_u32 s7, s15, s4
	s_mul_i32 s4, s15, s4
	v_lshrrev_b32_e32 v9, 5, v43
	s_add_i32 s5, s7, s5
	s_delay_alu instid0(SALU_CYCLE_1)
	s_lshl_b64 s[4:5], s[4:5], 4
	s_waitcnt lgkmcnt(0)
	s_add_u32 s7, s20, s4
	v_mad_u64_u32 v[0:1], null, v9, s12, v[4:5]
	s_addc_u32 s8, s21, s5
	s_lshl_b64 s[4:5], s[22:23], 4
	s_delay_alu instid0(SALU_CYCLE_1) | instskip(SKIP_2) | instid1(VALU_DEP_1)
	s_add_u32 s7, s7, s4
	s_addc_u32 s9, s8, s5
	s_ashr_i32 s17, s16, 31
	v_ashrrev_i32_e32 v1, 31, v0
	s_lshl_b64 s[4:5], s[16:17], 4
	s_mul_i32 s8, s16, s12
	s_add_u32 s4, s7, s4
	s_addc_u32 s5, s9, s5
	s_ashr_i32 s9, s8, 31
	v_lshlrev_b64 v[38:39], 4, v[0:1]
	s_lshl_b64 s[18:19], s[8:9], 4
	s_delay_alu instid0(SALU_CYCLE_1) | instskip(SKIP_2) | instid1(VALU_DEP_1)
	s_add_u32 s4, s18, s4
	s_addc_u32 s5, s19, s5
	s_cmp_lg_u32 s10, 0
	v_add_co_u32 v5, vcc_lo, s4, v38
	v_add_co_ci_u32_e32 v6, vcc_lo, s5, v39, vcc_lo
	s_cselect_b32 s17, -1, 0
	s_cmp_eq_u32 s10, 0
	s_cselect_b32 s9, -1, 0
	s_and_b32 vcc_lo, exec_lo, s17
	s_cbranch_vccnz .LBB129_12
; %bb.11:
	s_lshl_b32 s4, s12, 3
	s_ashr_i32 s13, s12, 31
	s_ashr_i32 s5, s4, 31
	s_mov_b32 s6, 0
	s_lshl_b64 s[4:5], s[4:5], 4
	s_delay_alu instid0(SALU_CYCLE_1)
	v_add_co_u32 v7, vcc_lo, v5, s4
	v_add_co_ci_u32_e32 v8, vcc_lo, s5, v6, vcc_lo
	s_lshl_b64 s[4:5], s[12:13], 7
	s_delay_alu instid0(VALU_DEP_2) | instid1(SALU_CYCLE_1)
	v_add_co_u32 v14, vcc_lo, v7, s4
	s_delay_alu instid0(VALU_DEP_2) | instskip(NEXT) | instid1(VALU_DEP_2)
	v_add_co_ci_u32_e32 v15, vcc_lo, s5, v8, vcc_lo
	v_add_co_u32 v18, vcc_lo, v14, s4
	s_delay_alu instid0(VALU_DEP_2)
	v_add_co_ci_u32_e32 v19, vcc_lo, s5, v15, vcc_lo
	s_clause 0x1
	global_load_b128 v[0:3], v[5:6], off
	global_load_b128 v[10:13], v[7:8], off
	;; [unrolled: 1-line block ×4, first 2 shown]
	v_mul_u32_u24_e32 v7, 33, v9
	s_delay_alu instid0(VALU_DEP_1) | instskip(NEXT) | instid1(VALU_DEP_1)
	v_add_lshl_u32 v7, v7, v4, 4
	v_add_nc_u32_e32 v22, 0x2100, v7
	v_add_nc_u32_e32 v8, 0x1080, v7
	;; [unrolled: 1-line block ×3, first 2 shown]
	s_waitcnt vmcnt(3)
	ds_store_2addr_b64 v7, v[0:1], v[2:3] offset1:1
	s_waitcnt vmcnt(2)
	ds_store_2addr_b64 v8, v[10:11], v[12:13] offset1:1
	;; [unrolled: 2-line block ×4, first 2 shown]
.LBB129_12:
	s_and_not1_b32 vcc_lo, exec_lo, s6
	s_cbranch_vccnz .LBB129_30
; %bb.13:
	v_lshlrev_b32_e32 v2, 4, v4
	s_ashr_i32 s11, s10, 31
	v_mul_u32_u24_e32 v3, 33, v9
	s_lshl_b64 s[6:7], s[10:11], 4
	v_cmp_le_i32_e64 s4, s10, v9
	v_sub_co_u32 v0, vcc_lo, v5, v2
	v_subrev_co_ci_u32_e32 v1, vcc_lo, 0, v6, vcc_lo
	v_add_lshl_u32 v3, v3, v4, 4
	s_delay_alu instid0(VALU_DEP_3) | instskip(NEXT) | instid1(VALU_DEP_3)
	v_add_co_u32 v0, vcc_lo, v0, s6
	v_add_co_ci_u32_e32 v1, vcc_lo, s7, v1, vcc_lo
	s_delay_alu instid0(VALU_DEP_2) | instskip(NEXT) | instid1(VALU_DEP_2)
	v_add_co_u32 v0, vcc_lo, v0, -16
	v_add_co_ci_u32_e32 v1, vcc_lo, -1, v1, vcc_lo
	v_cmp_gt_i32_e32 vcc_lo, s10, v4
	s_delay_alu instid0(VALU_DEP_2) | instskip(SKIP_1) | instid1(SALU_CYCLE_1)
	v_dual_cndmask_b32 v1, v1, v6 :: v_dual_cndmask_b32 v0, v0, v5
	s_and_saveexec_b32 s5, s4
	s_xor_b32 s4, exec_lo, s5
	s_cbranch_execz .LBB129_15
; %bb.14:
	v_mov_b32_e32 v10, 0
	s_delay_alu instid0(VALU_DEP_1)
	v_mov_b32_e32 v11, v10
	v_mov_b32_e32 v12, v10
	;; [unrolled: 1-line block ×3, first 2 shown]
	ds_store_b128 v3, v[10:13]
.LBB129_15:
	s_and_not1_saveexec_b32 s4, s4
	s_cbranch_execz .LBB129_17
; %bb.16:
	global_load_b128 v[10:13], v[0:1], off
	s_waitcnt vmcnt(0)
	ds_store_2addr_b64 v3, v[10:11], v[12:13] offset1:1
.LBB129_17:
	s_or_b32 exec_lo, exec_lo, s4
	v_add_nc_u32_e32 v7, 8, v9
	s_delay_alu instid0(VALU_DEP_1) | instskip(NEXT) | instid1(VALU_DEP_1)
	v_cmp_le_i32_e64 s4, s10, v7
	s_and_saveexec_b32 s5, s4
	s_delay_alu instid0(SALU_CYCLE_1)
	s_xor_b32 s4, exec_lo, s5
	s_cbranch_execz .LBB129_19
; %bb.18:
	v_mul_u32_u24_e32 v7, 33, v7
	v_mov_b32_e32 v10, 0
	s_delay_alu instid0(VALU_DEP_2) | instskip(NEXT) | instid1(VALU_DEP_2)
	v_add_lshl_u32 v7, v7, v4, 4
	v_mov_b32_e32 v11, v10
	v_mov_b32_e32 v12, v10
	;; [unrolled: 1-line block ×3, first 2 shown]
	ds_store_b128 v7, v[10:13]
.LBB129_19:
	s_and_not1_saveexec_b32 s5, s4
	s_cbranch_execz .LBB129_21
; %bb.20:
	s_lshl_b32 s20, s12, 3
	s_delay_alu instid0(SALU_CYCLE_1) | instskip(NEXT) | instid1(SALU_CYCLE_1)
	s_ashr_i32 s21, s20, 31
	s_lshl_b64 s[20:21], s[20:21], 4
	s_delay_alu instid0(SALU_CYCLE_1) | instskip(NEXT) | instid1(VALU_DEP_1)
	v_add_co_u32 v7, s4, v0, s20
	v_add_co_ci_u32_e64 v8, s4, s21, v1, s4
	global_load_b128 v[10:13], v[7:8], off
	v_add_nc_u32_e32 v7, 0x1080, v3
	s_waitcnt vmcnt(0)
	ds_store_2addr_b64 v7, v[10:11], v[12:13] offset1:1
.LBB129_21:
	s_or_b32 exec_lo, exec_lo, s5
	v_add_nc_u32_e32 v7, 16, v9
	s_delay_alu instid0(VALU_DEP_1) | instskip(NEXT) | instid1(VALU_DEP_1)
	v_cmp_le_i32_e64 s4, s10, v7
	s_and_saveexec_b32 s5, s4
	s_delay_alu instid0(SALU_CYCLE_1)
	s_xor_b32 s4, exec_lo, s5
	s_cbranch_execz .LBB129_23
; %bb.22:
	v_mul_u32_u24_e32 v7, 33, v7
	v_mov_b32_e32 v10, 0
	s_delay_alu instid0(VALU_DEP_2) | instskip(NEXT) | instid1(VALU_DEP_2)
	v_add_lshl_u32 v7, v7, v4, 4
	v_mov_b32_e32 v11, v10
	v_mov_b32_e32 v12, v10
	;; [unrolled: 1-line block ×3, first 2 shown]
	ds_store_b128 v7, v[10:13]
.LBB129_23:
	s_and_not1_saveexec_b32 s5, s4
	s_cbranch_execz .LBB129_25
; %bb.24:
	s_lshl_b32 s20, s12, 4
	s_delay_alu instid0(SALU_CYCLE_1) | instskip(NEXT) | instid1(SALU_CYCLE_1)
	s_ashr_i32 s21, s20, 31
	s_lshl_b64 s[20:21], s[20:21], 4
	s_delay_alu instid0(SALU_CYCLE_1) | instskip(NEXT) | instid1(VALU_DEP_1)
	v_add_co_u32 v7, s4, v0, s20
	v_add_co_ci_u32_e64 v8, s4, s21, v1, s4
	global_load_b128 v[10:13], v[7:8], off
	v_add_nc_u32_e32 v7, 0x2100, v3
	s_waitcnt vmcnt(0)
	ds_store_2addr_b64 v7, v[10:11], v[12:13] offset1:1
.LBB129_25:
	s_or_b32 exec_lo, exec_lo, s5
	v_add_nc_u32_e32 v7, 24, v9
	s_delay_alu instid0(VALU_DEP_1) | instskip(NEXT) | instid1(VALU_DEP_1)
	v_cmp_le_i32_e64 s4, s10, v7
	s_and_saveexec_b32 s5, s4
	s_delay_alu instid0(SALU_CYCLE_1)
	s_xor_b32 s4, exec_lo, s5
	s_cbranch_execz .LBB129_27
; %bb.26:
	v_mov_b32_e32 v10, 0
	s_delay_alu instid0(VALU_DEP_1)
	v_mov_b32_e32 v11, v10
	v_mov_b32_e32 v12, v10
	;; [unrolled: 1-line block ×3, first 2 shown]
	ds_store_b128 v3, v[10:13] offset:12672
                                        ; implicit-def: $vgpr3
.LBB129_27:
	s_and_not1_saveexec_b32 s5, s4
	s_cbranch_execz .LBB129_29
; %bb.28:
	s_mul_i32 s20, s12, 24
	v_add_nc_u32_e32 v3, 0x3180, v3
	s_ashr_i32 s21, s20, 31
	s_delay_alu instid0(SALU_CYCLE_1) | instskip(NEXT) | instid1(SALU_CYCLE_1)
	s_lshl_b64 s[20:21], s[20:21], 4
	v_add_co_u32 v7, s4, v0, s20
	s_delay_alu instid0(VALU_DEP_1)
	v_add_co_ci_u32_e64 v8, s4, s21, v1, s4
	global_load_b128 v[10:13], v[7:8], off
	s_waitcnt vmcnt(0)
	ds_store_2addr_b64 v3, v[10:11], v[12:13] offset1:1
.LBB129_29:
	s_or_b32 exec_lo, exec_lo, s5
	v_add_co_u32 v0, s4, v0, v2
	s_delay_alu instid0(VALU_DEP_1) | instskip(NEXT) | instid1(VALU_DEP_2)
	v_add_co_ci_u32_e64 v1, s4, 0, v1, s4
	v_sub_co_u32 v0, s4, v0, s6
	s_delay_alu instid0(VALU_DEP_1) | instskip(NEXT) | instid1(VALU_DEP_2)
	v_subrev_co_ci_u32_e64 v1, s4, s7, v1, s4
	v_add_co_u32 v0, s4, v0, 16
	s_delay_alu instid0(VALU_DEP_1) | instskip(NEXT) | instid1(VALU_DEP_1)
	v_add_co_ci_u32_e64 v1, s4, 0, v1, s4
	v_dual_cndmask_b32 v5, v0, v5 :: v_dual_cndmask_b32 v6, v1, v6
.LBB129_30:
	v_lshlrev_b32_e32 v0, 2, v9
	v_mul_u32_u24_e32 v44, 33, v4
	v_mul_u32_u24_e32 v1, 0x84, v9
	s_waitcnt lgkmcnt(0)
	s_barrier
	v_cmp_lt_u32_e64 s5, v0, v4
	v_add_lshl_u32 v12, v0, v44, 4
	buffer_gl0_inv
	s_and_saveexec_b32 s4, s5
	s_cbranch_execz .LBB129_32
; %bb.31:
	v_add_lshl_u32 v2, v1, v4, 4
	ds_load_b128 v[13:16], v2
	s_waitcnt lgkmcnt(0)
	ds_store_b128 v12, v[13:16]
.LBB129_32:
	s_or_b32 exec_lo, exec_lo, s4
	v_or_b32_e32 v2, 1, v0
	s_delay_alu instid0(VALU_DEP_1) | instskip(NEXT) | instid1(VALU_DEP_1)
	v_cmp_lt_u32_e64 s6, v2, v4
	s_and_saveexec_b32 s4, s6
	s_cbranch_execz .LBB129_34
; %bb.33:
	v_mul_u32_u24_e32 v2, 33, v2
	s_delay_alu instid0(VALU_DEP_1)
	v_add_lshl_u32 v2, v2, v4, 4
	ds_load_b128 v[13:16], v2
	s_waitcnt lgkmcnt(0)
	ds_store_b128 v12, v[13:16] offset:16
.LBB129_34:
	s_or_b32 exec_lo, exec_lo, s4
	v_or_b32_e32 v2, 2, v0
	s_delay_alu instid0(VALU_DEP_1) | instskip(NEXT) | instid1(VALU_DEP_1)
	v_cmp_lt_u32_e64 s7, v2, v4
	s_and_saveexec_b32 s4, s7
	s_cbranch_execz .LBB129_36
; %bb.35:
	v_mul_u32_u24_e32 v2, 33, v2
	s_delay_alu instid0(VALU_DEP_1)
	v_add_lshl_u32 v2, v2, v4, 4
	ds_load_b128 v[13:16], v2
	s_waitcnt lgkmcnt(0)
	ds_store_b128 v12, v[13:16] offset:32
.LBB129_36:
	s_or_b32 exec_lo, exec_lo, s4
	v_or_b32_e32 v2, 3, v0
	s_delay_alu instid0(VALU_DEP_1) | instskip(SKIP_1) | instid1(VALU_DEP_2)
	v_mad_u32_u24 v3, v2, 33, v4
	v_cmp_lt_u32_e64 s8, v2, v4
	v_lshlrev_b32_e32 v10, 4, v3
	s_delay_alu instid0(VALU_DEP_2)
	s_and_saveexec_b32 s4, s8
	s_cbranch_execz .LBB129_38
; %bb.37:
	ds_load_b128 v[13:16], v10
	s_waitcnt lgkmcnt(0)
	ds_store_b128 v12, v[13:16] offset:48
.LBB129_38:
	s_or_b32 exec_lo, exec_lo, s4
	v_lshlrev_b32_e32 v13, 4, v0
	v_add_lshl_u32 v14, v1, v4, 4
	s_waitcnt lgkmcnt(0)
	s_barrier
	buffer_gl0_inv
	ds_load_b128 v[0:3], v13 offset:18176
	ds_load_b128 v[15:18], v14
	v_add_nc_u32_e32 v11, 0xfffffbe0, v10
	ds_load_b128 v[19:22], v11
	ds_load_b128 v[23:26], v11 offset:528
	ds_load_b128 v[27:30], v13 offset:18192
	;; [unrolled: 1-line block ×3, first 2 shown]
	v_add_lshl_u32 v45, v9, v44, 4
	v_cmp_gt_u32_e64 s4, 32, v43
	s_waitcnt lgkmcnt(4)
	v_mul_f64 v[7:8], v[2:3], v[17:18]
	v_mul_f64 v[17:18], v[0:1], v[17:18]
	s_waitcnt lgkmcnt(1)
	v_mul_f64 v[40:41], v[29:30], v[21:22]
	v_mul_f64 v[21:22], v[27:28], v[21:22]
	s_delay_alu instid0(VALU_DEP_4) | instskip(NEXT) | instid1(VALU_DEP_4)
	v_fma_f64 v[0:1], v[0:1], v[15:16], -v[7:8]
	v_fma_f64 v[2:3], v[2:3], v[15:16], v[17:18]
	s_waitcnt lgkmcnt(0)
	v_mul_f64 v[7:8], v[33:34], v[25:26]
	v_mul_f64 v[25:26], v[31:32], v[25:26]
	v_fma_f64 v[27:28], v[27:28], v[19:20], -v[40:41]
	v_fma_f64 v[19:20], v[29:30], v[19:20], v[21:22]
	v_add_f64 v[21:22], v[0:1], 0
	v_add_f64 v[29:30], v[2:3], 0
	ds_load_b128 v[0:3], v13 offset:18224
	ds_load_b128 v[15:18], v10
	v_fma_f64 v[7:8], v[31:32], v[23:24], -v[7:8]
	v_fma_f64 v[23:24], v[33:34], v[23:24], v[25:26]
	s_waitcnt lgkmcnt(0)
	s_barrier
	buffer_gl0_inv
	v_mul_f64 v[40:41], v[2:3], v[17:18]
	v_mul_f64 v[17:18], v[0:1], v[17:18]
	v_add_f64 v[21:22], v[21:22], v[27:28]
	v_add_f64 v[19:20], v[29:30], v[19:20]
	s_delay_alu instid0(VALU_DEP_4) | instskip(NEXT) | instid1(VALU_DEP_4)
	v_fma_f64 v[0:1], v[0:1], v[15:16], -v[40:41]
	v_fma_f64 v[2:3], v[2:3], v[15:16], v[17:18]
	s_delay_alu instid0(VALU_DEP_4) | instskip(NEXT) | instid1(VALU_DEP_4)
	v_add_f64 v[7:8], v[21:22], v[7:8]
	v_add_f64 v[17:18], v[19:20], v[23:24]
	s_delay_alu instid0(VALU_DEP_2) | instskip(NEXT) | instid1(VALU_DEP_2)
	v_add_f64 v[15:16], v[7:8], v[0:1]
	v_add_f64 v[17:18], v[17:18], v[2:3]
	v_mov_b32_e32 v0, 0
	v_mov_b32_e32 v1, 0
	s_delay_alu instid0(VALU_DEP_1)
	v_dual_mov_b32 v3, v1 :: v_dual_mov_b32 v2, v0
	ds_store_b128 v45, v[15:18]
	s_waitcnt lgkmcnt(0)
	s_barrier
	buffer_gl0_inv
	s_and_saveexec_b32 s11, s4
	s_cbranch_execz .LBB129_40
; %bb.39:
	v_lshlrev_b32_e32 v21, 4, v44
	ds_load_b128 v[0:3], v21
	ds_load_b128 v[15:18], v21 offset:16
	s_waitcnt lgkmcnt(0)
	v_add_f64 v[7:8], v[15:16], v[0:1]
	v_add_f64 v[19:20], v[17:18], v[2:3]
	ds_load_b128 v[0:3], v21 offset:32
	ds_load_b128 v[15:18], v21 offset:48
	s_waitcnt lgkmcnt(1)
	v_add_f64 v[0:1], v[7:8], v[0:1]
	v_add_f64 v[2:3], v[19:20], v[2:3]
	s_waitcnt lgkmcnt(0)
	s_delay_alu instid0(VALU_DEP_2) | instskip(NEXT) | instid1(VALU_DEP_2)
	v_add_f64 v[7:8], v[0:1], v[15:16]
	v_add_f64 v[19:20], v[2:3], v[17:18]
	ds_load_b128 v[0:3], v21 offset:64
	ds_load_b128 v[15:18], v21 offset:80
	s_waitcnt lgkmcnt(1)
	v_add_f64 v[0:1], v[7:8], v[0:1]
	v_add_f64 v[2:3], v[19:20], v[2:3]
	s_waitcnt lgkmcnt(0)
	s_delay_alu instid0(VALU_DEP_2) | instskip(NEXT) | instid1(VALU_DEP_2)
	;; [unrolled: 9-line block ×3, first 2 shown]
	v_add_f64 v[0:1], v[0:1], v[15:16]
	v_add_f64 v[2:3], v[2:3], v[17:18]
.LBB129_40:
	s_or_b32 exec_lo, exec_lo, s11
	s_lshl_b32 s20, s12, 5
	v_cndmask_b32_e64 v15, 0, 1, s9
	s_ashr_i32 s21, s20, 31
	s_delay_alu instid0(SALU_CYCLE_1)
	s_lshl_b64 s[20:21], s[20:21], 4
	s_barrier
	v_add_co_u32 v7, vcc_lo, v5, s20
	v_add_co_ci_u32_e32 v8, vcc_lo, s21, v6, vcc_lo
	buffer_gl0_inv
	v_add_co_u32 v5, vcc_lo, 0x200, v7
	v_add_co_ci_u32_e32 v6, vcc_lo, 0, v8, vcc_lo
	s_and_not1_b32 vcc_lo, exec_lo, s9
	s_cbranch_vccnz .LBB129_42
; %bb.41:
	s_lshl_b32 s22, s12, 3
	s_ashr_i32 s13, s12, 31
	s_ashr_i32 s23, s22, 31
	s_delay_alu instid0(SALU_CYCLE_1) | instskip(NEXT) | instid1(SALU_CYCLE_1)
	s_lshl_b64 s[22:23], s[22:23], 4
	v_add_co_u32 v7, vcc_lo, v7, s22
	v_add_co_ci_u32_e32 v8, vcc_lo, s23, v8, vcc_lo
	s_lshl_b64 s[22:23], s[12:13], 7
	s_delay_alu instid0(VALU_DEP_2) | instid1(SALU_CYCLE_1)
	v_add_co_u32 v24, vcc_lo, v7, s22
	s_delay_alu instid0(VALU_DEP_2) | instskip(NEXT) | instid1(VALU_DEP_2)
	v_add_co_ci_u32_e32 v25, vcc_lo, s23, v8, vcc_lo
	v_add_co_u32 v28, vcc_lo, v24, s22
	s_delay_alu instid0(VALU_DEP_2)
	v_add_co_ci_u32_e32 v29, vcc_lo, s23, v25, vcc_lo
	s_clause 0x3
	global_load_b128 v[16:19], v[5:6], off
	global_load_b128 v[20:23], v[7:8], off offset:512
	global_load_b128 v[24:27], v[24:25], off offset:512
	;; [unrolled: 1-line block ×3, first 2 shown]
	v_mul_u32_u24_e32 v7, 33, v9
	s_delay_alu instid0(VALU_DEP_1) | instskip(NEXT) | instid1(VALU_DEP_1)
	v_add_lshl_u32 v7, v7, v4, 4
	v_add_nc_u32_e32 v32, 0x2100, v7
	v_add_nc_u32_e32 v8, 0x1080, v7
	;; [unrolled: 1-line block ×3, first 2 shown]
	s_waitcnt vmcnt(3)
	ds_store_2addr_b64 v7, v[16:17], v[18:19] offset1:1
	s_waitcnt vmcnt(2)
	ds_store_2addr_b64 v8, v[20:21], v[22:23] offset1:1
	;; [unrolled: 2-line block ×4, first 2 shown]
	s_cbranch_execz .LBB129_43
	s_branch .LBB129_60
.LBB129_42:
.LBB129_43:
	v_lshlrev_b32_e32 v16, 4, v4
	s_ashr_i32 s11, s10, 31
	v_or_b32_e32 v17, 32, v4
	s_lshl_b64 s[22:23], s[10:11], 4
	s_sub_i32 s11, s10, 32
	v_sub_co_u32 v7, vcc_lo, v5, v16
	v_subrev_co_ci_u32_e32 v8, vcc_lo, 0, v6, vcc_lo
	v_cmp_le_i32_e64 s9, s11, v9
	s_delay_alu instid0(VALU_DEP_3) | instskip(NEXT) | instid1(VALU_DEP_3)
	v_add_co_u32 v7, vcc_lo, v7, s22
	v_add_co_ci_u32_e32 v8, vcc_lo, s23, v8, vcc_lo
	s_delay_alu instid0(VALU_DEP_2) | instskip(NEXT) | instid1(VALU_DEP_2)
	v_add_co_u32 v7, vcc_lo, 0xfffffdf0, v7
	v_add_co_ci_u32_e32 v8, vcc_lo, -1, v8, vcc_lo
	v_cmp_gt_i32_e32 vcc_lo, s10, v17
	v_mul_u32_u24_e32 v17, 33, v9
	s_delay_alu instid0(VALU_DEP_3) | instskip(NEXT) | instid1(VALU_DEP_2)
	v_dual_cndmask_b32 v7, v7, v5 :: v_dual_cndmask_b32 v8, v8, v6
	v_add_lshl_u32 v17, v17, v4, 4
	s_and_saveexec_b32 s13, s9
	s_delay_alu instid0(SALU_CYCLE_1)
	s_xor_b32 s9, exec_lo, s13
	s_cbranch_execz .LBB129_45
; %bb.44:
	v_mov_b32_e32 v18, 0
	s_delay_alu instid0(VALU_DEP_1)
	v_mov_b32_e32 v19, v18
	v_mov_b32_e32 v20, v18
	;; [unrolled: 1-line block ×3, first 2 shown]
	ds_store_b128 v17, v[18:21]
.LBB129_45:
	s_and_not1_saveexec_b32 s9, s9
	s_cbranch_execz .LBB129_47
; %bb.46:
	global_load_b128 v[18:21], v[7:8], off
	s_waitcnt vmcnt(0)
	ds_store_2addr_b64 v17, v[18:19], v[20:21] offset1:1
.LBB129_47:
	s_or_b32 exec_lo, exec_lo, s9
	v_add_nc_u32_e32 v18, 8, v9
	s_delay_alu instid0(VALU_DEP_1) | instskip(NEXT) | instid1(VALU_DEP_1)
	v_cmp_le_i32_e64 s9, s11, v18
	s_and_saveexec_b32 s13, s9
	s_delay_alu instid0(SALU_CYCLE_1)
	s_xor_b32 s9, exec_lo, s13
	s_cbranch_execz .LBB129_49
; %bb.48:
	v_mul_u32_u24_e32 v19, 33, v18
	v_mov_b32_e32 v18, 0
	s_delay_alu instid0(VALU_DEP_2) | instskip(NEXT) | instid1(VALU_DEP_2)
	v_add_lshl_u32 v22, v19, v4, 4
	v_mov_b32_e32 v19, v18
	v_mov_b32_e32 v20, v18
	;; [unrolled: 1-line block ×3, first 2 shown]
	ds_store_b128 v22, v[18:21]
.LBB129_49:
	s_and_not1_saveexec_b32 s13, s9
	s_cbranch_execz .LBB129_51
; %bb.50:
	s_lshl_b32 s28, s12, 3
	v_add_nc_u32_e32 v22, 0x1080, v17
	s_ashr_i32 s29, s28, 31
	s_delay_alu instid0(SALU_CYCLE_1) | instskip(NEXT) | instid1(SALU_CYCLE_1)
	s_lshl_b64 s[28:29], s[28:29], 4
	v_add_co_u32 v18, s9, v7, s28
	s_delay_alu instid0(VALU_DEP_1)
	v_add_co_ci_u32_e64 v19, s9, s29, v8, s9
	global_load_b128 v[18:21], v[18:19], off
	s_waitcnt vmcnt(0)
	ds_store_2addr_b64 v22, v[18:19], v[20:21] offset1:1
.LBB129_51:
	s_or_b32 exec_lo, exec_lo, s13
	v_add_nc_u32_e32 v18, 16, v9
	s_delay_alu instid0(VALU_DEP_1) | instskip(NEXT) | instid1(VALU_DEP_1)
	v_cmp_le_i32_e64 s9, s11, v18
	s_and_saveexec_b32 s13, s9
	s_delay_alu instid0(SALU_CYCLE_1)
	s_xor_b32 s9, exec_lo, s13
	s_cbranch_execz .LBB129_53
; %bb.52:
	v_mul_u32_u24_e32 v19, 33, v18
	v_mov_b32_e32 v18, 0
	s_delay_alu instid0(VALU_DEP_2) | instskip(NEXT) | instid1(VALU_DEP_2)
	v_add_lshl_u32 v22, v19, v4, 4
	v_mov_b32_e32 v19, v18
	v_mov_b32_e32 v20, v18
	v_mov_b32_e32 v21, v18
	ds_store_b128 v22, v[18:21]
.LBB129_53:
	s_and_not1_saveexec_b32 s13, s9
	s_cbranch_execz .LBB129_55
; %bb.54:
	s_lshl_b32 s28, s12, 4
	v_add_nc_u32_e32 v22, 0x2100, v17
	s_ashr_i32 s29, s28, 31
	s_delay_alu instid0(SALU_CYCLE_1) | instskip(NEXT) | instid1(SALU_CYCLE_1)
	s_lshl_b64 s[28:29], s[28:29], 4
	v_add_co_u32 v18, s9, v7, s28
	s_delay_alu instid0(VALU_DEP_1)
	v_add_co_ci_u32_e64 v19, s9, s29, v8, s9
	global_load_b128 v[18:21], v[18:19], off
	s_waitcnt vmcnt(0)
	ds_store_2addr_b64 v22, v[18:19], v[20:21] offset1:1
.LBB129_55:
	s_or_b32 exec_lo, exec_lo, s13
	v_add_nc_u32_e32 v18, 24, v9
	s_delay_alu instid0(VALU_DEP_1) | instskip(NEXT) | instid1(VALU_DEP_1)
	v_cmp_le_i32_e64 s9, s11, v18
	s_and_saveexec_b32 s11, s9
	s_delay_alu instid0(SALU_CYCLE_1)
	s_xor_b32 s9, exec_lo, s11
	s_cbranch_execz .LBB129_57
; %bb.56:
	v_mov_b32_e32 v18, 0
	s_delay_alu instid0(VALU_DEP_1)
	v_mov_b32_e32 v19, v18
	v_mov_b32_e32 v20, v18
	;; [unrolled: 1-line block ×3, first 2 shown]
	ds_store_b128 v17, v[18:21] offset:12672
                                        ; implicit-def: $vgpr17
.LBB129_57:
	s_and_not1_saveexec_b32 s11, s9
	s_cbranch_execz .LBB129_59
; %bb.58:
	s_mul_i32 s28, s12, 24
	v_add_nc_u32_e32 v17, 0x3180, v17
	s_ashr_i32 s29, s28, 31
	s_delay_alu instid0(SALU_CYCLE_1) | instskip(NEXT) | instid1(SALU_CYCLE_1)
	s_lshl_b64 s[28:29], s[28:29], 4
	v_add_co_u32 v18, s9, v7, s28
	s_delay_alu instid0(VALU_DEP_1)
	v_add_co_ci_u32_e64 v19, s9, s29, v8, s9
	global_load_b128 v[18:21], v[18:19], off
	s_waitcnt vmcnt(0)
	ds_store_2addr_b64 v17, v[18:19], v[20:21] offset1:1
.LBB129_59:
	s_or_b32 exec_lo, exec_lo, s11
	v_add_co_u32 v7, s9, v7, v16
	s_delay_alu instid0(VALU_DEP_1) | instskip(NEXT) | instid1(VALU_DEP_2)
	v_add_co_ci_u32_e64 v8, s9, 0, v8, s9
	v_sub_co_u32 v7, s9, v7, s22
	s_delay_alu instid0(VALU_DEP_1) | instskip(NEXT) | instid1(VALU_DEP_2)
	v_subrev_co_ci_u32_e64 v8, s9, s23, v8, s9
	v_add_co_u32 v7, s9, 0x210, v7
	s_delay_alu instid0(VALU_DEP_1) | instskip(NEXT) | instid1(VALU_DEP_1)
	v_add_co_ci_u32_e64 v8, s9, 0, v8, s9
	v_dual_cndmask_b32 v5, v7, v5 :: v_dual_cndmask_b32 v6, v8, v6
.LBB129_60:
	v_add_nc_u32_e32 v13, 0x4700, v13
	v_add_nc_u32_e32 v7, 0x210, v11
	s_waitcnt lgkmcnt(0)
	s_barrier
	buffer_gl0_inv
	s_and_saveexec_b32 s9, s5
	s_cbranch_execnz .LBB129_69
; %bb.61:
	s_or_b32 exec_lo, exec_lo, s9
	s_and_saveexec_b32 s5, s6
	s_cbranch_execnz .LBB129_70
.LBB129_62:
	s_or_b32 exec_lo, exec_lo, s5
	s_and_saveexec_b32 s5, s7
	s_cbranch_execnz .LBB129_71
.LBB129_63:
	s_or_b32 exec_lo, exec_lo, s5
	s_and_saveexec_b32 s5, s8
	s_cbranch_execz .LBB129_65
.LBB129_64:
	ds_load_b128 v[16:19], v10
	s_waitcnt lgkmcnt(0)
	ds_store_b128 v12, v[16:19] offset:48
.LBB129_65:
	s_or_b32 exec_lo, exec_lo, s5
	s_waitcnt lgkmcnt(0)
	s_barrier
	buffer_gl0_inv
	ds_load_b128 v[16:19], v13 offset:512
	ds_load_b128 v[20:23], v14
	v_cmp_eq_u32_e64 s5, 1, v9
	s_waitcnt lgkmcnt(0)
	v_mul_f64 v[7:8], v[18:19], v[22:23]
	v_mul_f64 v[34:35], v[16:17], v[22:23]
	ds_load_b128 v[22:25], v11
	ds_load_b128 v[26:29], v13 offset:528
	ds_load_b128 v[30:33], v13 offset:544
	s_waitcnt lgkmcnt(1)
	v_mul_f64 v[40:41], v[28:29], v[24:25]
	v_mul_f64 v[24:25], v[26:27], v[24:25]
	v_fma_f64 v[7:8], v[16:17], v[20:21], -v[7:8]
	v_fma_f64 v[20:21], v[18:19], v[20:21], v[34:35]
	ds_load_b128 v[16:19], v11 offset:528
	ds_load_b128 v[46:49], v10
	s_waitcnt lgkmcnt(1)
	v_mul_f64 v[10:11], v[32:33], v[18:19]
	v_mul_f64 v[34:35], v[30:31], v[18:19]
	v_fma_f64 v[26:27], v[26:27], v[22:23], -v[40:41]
	v_fma_f64 v[22:23], v[28:29], v[22:23], v[24:25]
	v_add_f64 v[7:8], v[7:8], 0
	v_add_f64 v[24:25], v[20:21], 0
	ds_load_b128 v[18:21], v13 offset:560
	s_waitcnt lgkmcnt(0)
	s_barrier
	buffer_gl0_inv
	v_fma_f64 v[10:11], v[30:31], v[16:17], -v[10:11]
	v_mul_f64 v[28:29], v[20:21], v[48:49]
	v_mul_f64 v[40:41], v[18:19], v[48:49]
	v_fma_f64 v[16:17], v[32:33], v[16:17], v[34:35]
	v_add_f64 v[7:8], v[7:8], v[26:27]
	v_add_f64 v[22:23], v[24:25], v[22:23]
	v_fma_f64 v[18:19], v[18:19], v[46:47], -v[28:29]
	v_fma_f64 v[20:21], v[20:21], v[46:47], v[40:41]
	s_delay_alu instid0(VALU_DEP_4) | instskip(NEXT) | instid1(VALU_DEP_4)
	v_add_f64 v[7:8], v[7:8], v[10:11]
	v_add_f64 v[10:11], v[22:23], v[16:17]
	s_delay_alu instid0(VALU_DEP_2) | instskip(NEXT) | instid1(VALU_DEP_2)
	v_add_f64 v[16:17], v[7:8], v[18:19]
	v_add_f64 v[18:19], v[10:11], v[20:21]
	ds_store_b128 v45, v[16:19]
	s_waitcnt lgkmcnt(0)
	s_barrier
	buffer_gl0_inv
	s_and_saveexec_b32 s6, s5
	s_cbranch_execz .LBB129_67
; %bb.66:
	v_lshlrev_b32_e32 v14, 4, v44
	ds_load_b128 v[0:3], v14
	ds_load_b128 v[16:19], v14 offset:16
	s_waitcnt lgkmcnt(0)
	v_add_f64 v[7:8], v[16:17], v[0:1]
	v_add_f64 v[10:11], v[18:19], v[2:3]
	ds_load_b128 v[0:3], v14 offset:32
	ds_load_b128 v[16:19], v14 offset:48
	s_waitcnt lgkmcnt(1)
	v_add_f64 v[0:1], v[7:8], v[0:1]
	v_add_f64 v[2:3], v[10:11], v[2:3]
	s_waitcnt lgkmcnt(0)
	s_delay_alu instid0(VALU_DEP_2) | instskip(NEXT) | instid1(VALU_DEP_2)
	v_add_f64 v[7:8], v[0:1], v[16:17]
	v_add_f64 v[10:11], v[2:3], v[18:19]
	ds_load_b128 v[0:3], v14 offset:64
	ds_load_b128 v[16:19], v14 offset:80
	s_waitcnt lgkmcnt(1)
	v_add_f64 v[0:1], v[7:8], v[0:1]
	v_add_f64 v[2:3], v[10:11], v[2:3]
	s_waitcnt lgkmcnt(0)
	s_delay_alu instid0(VALU_DEP_2) | instskip(NEXT) | instid1(VALU_DEP_2)
	;; [unrolled: 9-line block ×3, first 2 shown]
	v_add_f64 v[0:1], v[0:1], v[16:17]
	v_add_f64 v[2:3], v[2:3], v[18:19]
.LBB129_67:
	s_or_b32 exec_lo, exec_lo, s6
	v_cmp_ne_u32_e32 vcc_lo, 1, v15
	v_sub_co_u32 v40, s6, v5, s20
	s_delay_alu instid0(VALU_DEP_1)
	v_subrev_co_ci_u32_e64 v41, s6, s21, v6, s6
	s_barrier
	buffer_gl0_inv
	s_cbranch_vccnz .LBB129_72
; %bb.68:
	s_lshl_b32 s6, s12, 3
	s_ashr_i32 s13, s12, 31
	s_ashr_i32 s7, s6, 31
	s_delay_alu instid0(SALU_CYCLE_1) | instskip(NEXT) | instid1(SALU_CYCLE_1)
	s_lshl_b64 s[6:7], s[6:7], 4
	v_add_co_u32 v5, vcc_lo, v40, s6
	v_add_co_ci_u32_e32 v6, vcc_lo, s7, v41, vcc_lo
	s_lshl_b64 s[6:7], s[12:13], 7
	s_delay_alu instid0(VALU_DEP_2) | instid1(SALU_CYCLE_1)
	v_add_co_u32 v7, vcc_lo, v5, s6
	s_delay_alu instid0(VALU_DEP_2) | instskip(NEXT) | instid1(VALU_DEP_2)
	v_add_co_ci_u32_e32 v8, vcc_lo, s7, v6, vcc_lo
	v_add_co_u32 v10, vcc_lo, v7, s6
	s_delay_alu instid0(VALU_DEP_2)
	v_add_co_ci_u32_e32 v11, vcc_lo, s7, v8, vcc_lo
	s_clause 0x3
	global_load_b128 v[15:18], v[40:41], off
	global_load_b128 v[19:22], v[5:6], off
	;; [unrolled: 1-line block ×4, first 2 shown]
	v_mad_u32_u24 v11, v9, 33, v4
	v_add_nc_u32_e32 v7, 8, v9
	v_add_nc_u32_e32 v8, 16, v9
	;; [unrolled: 1-line block ×3, first 2 shown]
	s_delay_alu instid0(VALU_DEP_4) | instskip(SKIP_3) | instid1(VALU_DEP_4)
	v_lshlrev_b32_e32 v31, 4, v11
	v_add_nc_u32_e32 v6, 0x108, v11
	v_add_nc_u32_e32 v5, 0x210, v11
	;; [unrolled: 1-line block ×6, first 2 shown]
	s_waitcnt vmcnt(3)
	ds_store_2addr_b64 v31, v[15:16], v[17:18] offset1:1
	s_waitcnt vmcnt(2)
	ds_store_2addr_b64 v32, v[19:20], v[21:22] offset1:1
	;; [unrolled: 2-line block ×4, first 2 shown]
	s_cbranch_execz .LBB129_73
	s_branch .LBB129_90
.LBB129_69:
	ds_load_b128 v[16:19], v14
	s_waitcnt lgkmcnt(0)
	ds_store_b128 v12, v[16:19]
	s_or_b32 exec_lo, exec_lo, s9
	s_and_saveexec_b32 s5, s6
	s_cbranch_execz .LBB129_62
.LBB129_70:
	ds_load_b128 v[16:19], v11
	s_waitcnt lgkmcnt(0)
	ds_store_b128 v12, v[16:19] offset:16
	s_or_b32 exec_lo, exec_lo, s5
	s_and_saveexec_b32 s5, s7
	s_cbranch_execz .LBB129_63
.LBB129_71:
	ds_load_b128 v[16:19], v7
	s_waitcnt lgkmcnt(0)
	ds_store_b128 v12, v[16:19] offset:32
	s_or_b32 exec_lo, exec_lo, s5
	s_and_saveexec_b32 s5, s8
	s_cbranch_execnz .LBB129_64
	s_branch .LBB129_65
.LBB129_72:
                                        ; implicit-def: $vgpr11
                                        ; implicit-def: $vgpr7
                                        ; implicit-def: $vgpr6
                                        ; implicit-def: $vgpr8
                                        ; implicit-def: $vgpr5
                                        ; implicit-def: $vgpr10
                                        ; implicit-def: $vgpr14
.LBB129_73:
	v_lshlrev_b32_e32 v15, 4, v4
	s_ashr_i32 s11, s10, 31
	v_or_b32_e32 v7, 32, v4
	s_lshl_b64 s[8:9], s[10:11], 4
	v_mad_u32_u24 v11, v9, 33, v4
	v_sub_co_u32 v5, vcc_lo, v40, v15
	v_subrev_co_ci_u32_e32 v6, vcc_lo, 0, v41, vcc_lo
	v_cmp_le_i32_e64 s6, s10, v9
	s_delay_alu instid0(VALU_DEP_3) | instskip(NEXT) | instid1(VALU_DEP_3)
	v_add_co_u32 v5, vcc_lo, v5, s8
	v_add_co_ci_u32_e32 v6, vcc_lo, s9, v6, vcc_lo
	v_lshlrev_b32_e32 v16, 4, v11
	s_delay_alu instid0(VALU_DEP_3) | instskip(NEXT) | instid1(VALU_DEP_3)
	v_add_co_u32 v5, vcc_lo, 0xfffffdf0, v5
	v_add_co_ci_u32_e32 v6, vcc_lo, -1, v6, vcc_lo
	v_cmp_gt_i32_e32 vcc_lo, s10, v7
	s_delay_alu instid0(VALU_DEP_2) | instskip(SKIP_1) | instid1(SALU_CYCLE_1)
	v_dual_cndmask_b32 v6, v6, v41 :: v_dual_cndmask_b32 v5, v5, v40
	s_and_saveexec_b32 s7, s6
	s_xor_b32 s6, exec_lo, s7
	s_cbranch_execz .LBB129_75
; %bb.74:
	v_mov_b32_e32 v17, 0
	s_delay_alu instid0(VALU_DEP_1)
	v_mov_b32_e32 v18, v17
	v_mov_b32_e32 v19, v17
	;; [unrolled: 1-line block ×3, first 2 shown]
	ds_store_b128 v16, v[17:20]
.LBB129_75:
	s_and_not1_saveexec_b32 s6, s6
	s_cbranch_execz .LBB129_77
; %bb.76:
	global_load_b128 v[17:20], v[5:6], off
	s_waitcnt vmcnt(0)
	ds_store_2addr_b64 v16, v[17:18], v[19:20] offset1:1
.LBB129_77:
	s_or_b32 exec_lo, exec_lo, s6
	v_add_nc_u32_e32 v7, 8, v9
	s_delay_alu instid0(VALU_DEP_1) | instskip(NEXT) | instid1(VALU_DEP_1)
	v_cmp_le_i32_e64 s6, s10, v7
	s_and_saveexec_b32 s7, s6
	s_delay_alu instid0(SALU_CYCLE_1)
	s_xor_b32 s6, exec_lo, s7
	s_cbranch_execz .LBB129_79
; %bb.78:
	v_mul_u32_u24_e32 v8, 33, v7
	v_mov_b32_e32 v17, 0
	s_delay_alu instid0(VALU_DEP_2) | instskip(NEXT) | instid1(VALU_DEP_2)
	v_add_lshl_u32 v8, v8, v4, 4
	v_mov_b32_e32 v18, v17
	v_mov_b32_e32 v19, v17
	;; [unrolled: 1-line block ×3, first 2 shown]
	ds_store_b128 v8, v[17:20]
.LBB129_79:
	s_and_not1_saveexec_b32 s7, s6
	s_cbranch_execz .LBB129_81
; %bb.80:
	s_lshl_b32 s20, s12, 3
	v_add_nc_u32_e32 v8, 0x1080, v16
	s_ashr_i32 s21, s20, 31
	s_delay_alu instid0(SALU_CYCLE_1) | instskip(NEXT) | instid1(SALU_CYCLE_1)
	s_lshl_b64 s[20:21], s[20:21], 4
	v_add_co_u32 v17, s6, v5, s20
	s_delay_alu instid0(VALU_DEP_1)
	v_add_co_ci_u32_e64 v18, s6, s21, v6, s6
	global_load_b128 v[17:20], v[17:18], off
	s_waitcnt vmcnt(0)
	ds_store_2addr_b64 v8, v[17:18], v[19:20] offset1:1
.LBB129_81:
	s_or_b32 exec_lo, exec_lo, s7
	v_add_nc_u32_e32 v8, 16, v9
	s_delay_alu instid0(VALU_DEP_1) | instskip(NEXT) | instid1(VALU_DEP_1)
	v_cmp_le_i32_e64 s6, s10, v8
	s_and_saveexec_b32 s7, s6
	s_delay_alu instid0(SALU_CYCLE_1)
	s_xor_b32 s6, exec_lo, s7
	s_cbranch_execz .LBB129_83
; %bb.82:
	v_mul_u32_u24_e32 v10, 33, v8
	v_mov_b32_e32 v17, 0
	s_delay_alu instid0(VALU_DEP_2) | instskip(NEXT) | instid1(VALU_DEP_2)
	v_add_lshl_u32 v10, v10, v4, 4
	v_mov_b32_e32 v18, v17
	v_mov_b32_e32 v19, v17
	;; [unrolled: 1-line block ×3, first 2 shown]
	ds_store_b128 v10, v[17:20]
.LBB129_83:
	s_and_not1_saveexec_b32 s7, s6
	s_cbranch_execz .LBB129_85
; %bb.84:
	s_lshl_b32 s20, s12, 4
	v_add_nc_u32_e32 v10, 0x2100, v16
	s_ashr_i32 s21, s20, 31
	s_delay_alu instid0(SALU_CYCLE_1) | instskip(NEXT) | instid1(SALU_CYCLE_1)
	s_lshl_b64 s[20:21], s[20:21], 4
	v_add_co_u32 v17, s6, v5, s20
	s_delay_alu instid0(VALU_DEP_1)
	v_add_co_ci_u32_e64 v18, s6, s21, v6, s6
	global_load_b128 v[17:20], v[17:18], off
	s_waitcnt vmcnt(0)
	ds_store_2addr_b64 v10, v[17:18], v[19:20] offset1:1
.LBB129_85:
	s_or_b32 exec_lo, exec_lo, s7
	v_add_nc_u32_e32 v10, 24, v9
                                        ; implicit-def: $vgpr14
	s_delay_alu instid0(VALU_DEP_1) | instskip(NEXT) | instid1(VALU_DEP_1)
	v_cmp_le_i32_e64 s6, s10, v10
	s_and_saveexec_b32 s7, s6
	s_delay_alu instid0(SALU_CYCLE_1)
	s_xor_b32 s6, exec_lo, s7
	s_cbranch_execz .LBB129_87
; %bb.86:
	v_mad_u32_u24 v14, v10, 33, v4
	v_mov_b32_e32 v16, 0
	s_delay_alu instid0(VALU_DEP_1)
	v_dual_mov_b32 v17, v16 :: v_dual_lshlrev_b32 v4, 4, v14
	v_mov_b32_e32 v18, v16
	v_mov_b32_e32 v19, v16
	ds_store_b128 v4, v[16:19]
                                        ; implicit-def: $vgpr16
.LBB129_87:
	s_and_not1_saveexec_b32 s7, s6
	s_cbranch_execz .LBB129_89
; %bb.88:
	s_mul_i32 s20, s12, 24
	v_add_nc_u32_e32 v4, 0x3180, v16
	s_ashr_i32 s21, s20, 31
	v_add_nc_u32_e32 v14, 0x318, v11
	s_lshl_b64 s[20:21], s[20:21], 4
	s_delay_alu instid0(SALU_CYCLE_1) | instskip(NEXT) | instid1(VALU_DEP_1)
	v_add_co_u32 v17, s6, v5, s20
	v_add_co_ci_u32_e64 v18, s6, s21, v6, s6
	global_load_b128 v[17:20], v[17:18], off
	s_waitcnt vmcnt(0)
	ds_store_2addr_b64 v4, v[17:18], v[19:20] offset1:1
.LBB129_89:
	s_or_b32 exec_lo, exec_lo, s7
	v_add_co_u32 v4, s6, v5, v15
	s_delay_alu instid0(VALU_DEP_1) | instskip(NEXT) | instid1(VALU_DEP_2)
	v_add_co_ci_u32_e64 v5, s6, 0, v6, s6
	v_sub_co_u32 v4, s6, v4, s8
	s_delay_alu instid0(VALU_DEP_1) | instskip(NEXT) | instid1(VALU_DEP_2)
	v_subrev_co_ci_u32_e64 v5, s6, s9, v5, s6
	v_add_co_u32 v4, s6, 0x210, v4
	s_delay_alu instid0(VALU_DEP_1) | instskip(SKIP_1) | instid1(VALU_DEP_2)
	v_add_co_ci_u32_e64 v5, s6, 0, v5, s6
	v_add_nc_u32_e32 v6, 0x108, v11
	v_dual_cndmask_b32 v40, v4, v40 :: v_dual_cndmask_b32 v41, v5, v41
	v_add_nc_u32_e32 v5, 0x210, v11
.LBB129_90:
	v_lshlrev_b32_e32 v4, 4, v9
	v_lshlrev_b32_e32 v9, 4, v11
	s_waitcnt lgkmcnt(0)
	s_barrier
	buffer_gl0_inv
	ds_load_b128 v[15:18], v4 offset:18176
	ds_load_b128 v[19:22], v9
	v_lshlrev_b32_e32 v4, 4, v7
	v_lshlrev_b32_e32 v6, 4, v6
	;; [unrolled: 1-line block ×3, first 2 shown]
	s_waitcnt lgkmcnt(0)
	v_mul_f64 v[29:30], v[17:18], v[21:22]
	v_mul_f64 v[31:32], v[15:16], v[21:22]
	ds_load_b128 v[21:24], v4 offset:18176
	ds_load_b128 v[25:28], v6
	v_lshlrev_b32_e32 v4, 4, v8
	v_lshlrev_b32_e32 v8, 4, v5
	s_waitcnt lgkmcnt(0)
	v_mul_f64 v[33:34], v[23:24], v[27:28]
	v_mul_f64 v[27:28], v[21:22], v[27:28]
	v_fma_f64 v[29:30], v[15:16], v[19:20], -v[29:30]
	v_fma_f64 v[19:20], v[17:18], v[19:20], v[31:32]
	ds_load_b128 v[4:7], v4 offset:18176
	ds_load_b128 v[15:18], v8
	v_lshlrev_b32_e32 v8, 4, v10
	s_waitcnt lgkmcnt(0)
	v_mul_f64 v[31:32], v[6:7], v[17:18]
	v_mul_f64 v[46:47], v[4:5], v[17:18]
	v_fma_f64 v[21:22], v[21:22], v[25:26], -v[33:34]
	v_fma_f64 v[23:24], v[23:24], v[25:26], v[27:28]
	v_add_f64 v[25:26], v[29:30], 0
	v_add_f64 v[27:28], v[19:20], 0
	ds_load_b128 v[8:11], v8 offset:18176
	ds_load_b128 v[17:20], v14
	s_waitcnt lgkmcnt(0)
	v_mul_f64 v[29:30], v[10:11], v[19:20]
	v_mul_f64 v[19:20], v[8:9], v[19:20]
	v_fma_f64 v[4:5], v[4:5], v[15:16], -v[31:32]
	v_fma_f64 v[6:7], v[6:7], v[15:16], v[46:47]
	v_add_f64 v[14:15], v[25:26], v[21:22]
	v_add_f64 v[21:22], v[27:28], v[23:24]
	v_fma_f64 v[8:9], v[8:9], v[17:18], -v[29:30]
	v_fma_f64 v[10:11], v[10:11], v[17:18], v[19:20]
	s_delay_alu instid0(VALU_DEP_4) | instskip(NEXT) | instid1(VALU_DEP_4)
	v_add_f64 v[4:5], v[14:15], v[4:5]
	v_add_f64 v[6:7], v[21:22], v[6:7]
	s_delay_alu instid0(VALU_DEP_2) | instskip(NEXT) | instid1(VALU_DEP_2)
	v_add_f64 v[46:47], v[4:5], v[8:9]
	v_add_f64 v[48:49], v[6:7], v[10:11]
	ds_load_b128 v[28:31], v12
	ds_load_b128 v[20:23], v12 offset:16
	ds_load_b128 v[8:11], v12 offset:32
	;; [unrolled: 1-line block ×7, first 2 shown]
	s_waitcnt lgkmcnt(0)
	s_barrier
	buffer_gl0_inv
	ds_store_b128 v45, v[46:49]
	s_waitcnt lgkmcnt(0)
	s_barrier
	buffer_gl0_inv
	s_and_saveexec_b32 s6, s5
	s_cbranch_execz .LBB129_92
; %bb.91:
	v_lshlrev_b32_e32 v54, 4, v44
	ds_load_b128 v[46:49], v54
	ds_load_b128 v[50:53], v54 offset:16
	s_waitcnt lgkmcnt(1)
	v_add_f64 v[0:1], v[0:1], v[46:47]
	v_add_f64 v[2:3], v[2:3], v[48:49]
	s_waitcnt lgkmcnt(0)
	s_delay_alu instid0(VALU_DEP_2) | instskip(NEXT) | instid1(VALU_DEP_2)
	v_add_f64 v[50:51], v[0:1], v[50:51]
	v_add_f64 v[52:53], v[2:3], v[52:53]
	ds_load_b128 v[0:3], v54 offset:32
	ds_load_b128 v[46:49], v54 offset:48
	s_waitcnt lgkmcnt(1)
	v_add_f64 v[0:1], v[50:51], v[0:1]
	v_add_f64 v[2:3], v[52:53], v[2:3]
	s_waitcnt lgkmcnt(0)
	s_delay_alu instid0(VALU_DEP_2) | instskip(NEXT) | instid1(VALU_DEP_2)
	v_add_f64 v[50:51], v[0:1], v[46:47]
	v_add_f64 v[52:53], v[2:3], v[48:49]
	ds_load_b128 v[0:3], v54 offset:64
	;; [unrolled: 9-line block ×3, first 2 shown]
	ds_load_b128 v[46:49], v54 offset:112
	s_waitcnt lgkmcnt(1)
	v_add_f64 v[0:1], v[50:51], v[0:1]
	v_add_f64 v[2:3], v[52:53], v[2:3]
	s_waitcnt lgkmcnt(0)
	s_delay_alu instid0(VALU_DEP_2) | instskip(NEXT) | instid1(VALU_DEP_2)
	v_add_f64 v[0:1], v[0:1], v[46:47]
	v_add_f64 v[2:3], v[2:3], v[48:49]
.LBB129_92:
	s_or_b32 exec_lo, exec_lo, s6
	v_mul_f64 v[46:47], v[30:31], v[34:35]
	v_mul_f64 v[34:35], v[28:29], v[34:35]
	;; [unrolled: 1-line block ×4, first 2 shown]
	s_barrier
	buffer_gl0_inv
	v_fma_f64 v[28:29], v[28:29], v[32:33], -v[46:47]
	v_fma_f64 v[30:31], v[30:31], v[32:33], v[34:35]
	v_mul_f64 v[32:33], v[10:11], v[18:19]
	v_mul_f64 v[18:19], v[8:9], v[18:19]
	v_fma_f64 v[20:21], v[20:21], v[24:25], -v[48:49]
	v_fma_f64 v[22:23], v[22:23], v[24:25], v[26:27]
	v_add_f64 v[24:25], v[28:29], 0
	v_add_f64 v[26:27], v[30:31], 0
	v_mul_f64 v[28:29], v[6:7], v[14:15]
	v_mul_f64 v[14:15], v[4:5], v[14:15]
	v_fma_f64 v[8:9], v[8:9], v[16:17], -v[32:33]
	v_fma_f64 v[10:11], v[10:11], v[16:17], v[18:19]
	v_add_f64 v[16:17], v[24:25], v[20:21]
	v_add_f64 v[18:19], v[26:27], v[22:23]
	v_fma_f64 v[4:5], v[4:5], v[12:13], -v[28:29]
	v_fma_f64 v[6:7], v[6:7], v[12:13], v[14:15]
	s_delay_alu instid0(VALU_DEP_4) | instskip(NEXT) | instid1(VALU_DEP_4)
	v_add_f64 v[8:9], v[16:17], v[8:9]
	v_add_f64 v[10:11], v[18:19], v[10:11]
	s_delay_alu instid0(VALU_DEP_2) | instskip(NEXT) | instid1(VALU_DEP_2)
	v_add_f64 v[4:5], v[8:9], v[4:5]
	v_add_f64 v[6:7], v[10:11], v[6:7]
	ds_store_b128 v45, v[4:7]
	s_waitcnt lgkmcnt(0)
	s_barrier
	buffer_gl0_inv
	s_and_saveexec_b32 s5, s4
	s_cbranch_execz .LBB129_94
; %bb.93:
	v_lshlrev_b32_e32 v12, 4, v44
	ds_load_b128 v[4:7], v12
	ds_load_b128 v[8:11], v12 offset:16
	s_waitcnt lgkmcnt(1)
	v_add_f64 v[0:1], v[0:1], v[4:5]
	v_add_f64 v[2:3], v[2:3], v[6:7]
	s_waitcnt lgkmcnt(0)
	s_delay_alu instid0(VALU_DEP_2) | instskip(NEXT) | instid1(VALU_DEP_2)
	v_add_f64 v[8:9], v[0:1], v[8:9]
	v_add_f64 v[10:11], v[2:3], v[10:11]
	ds_load_b128 v[0:3], v12 offset:32
	ds_load_b128 v[4:7], v12 offset:48
	s_waitcnt lgkmcnt(1)
	v_add_f64 v[0:1], v[8:9], v[0:1]
	v_add_f64 v[2:3], v[10:11], v[2:3]
	s_waitcnt lgkmcnt(0)
	s_delay_alu instid0(VALU_DEP_2) | instskip(NEXT) | instid1(VALU_DEP_2)
	v_add_f64 v[8:9], v[0:1], v[4:5]
	v_add_f64 v[10:11], v[2:3], v[6:7]
	ds_load_b128 v[0:3], v12 offset:64
	;; [unrolled: 9-line block ×3, first 2 shown]
	ds_load_b128 v[4:7], v12 offset:112
	s_waitcnt lgkmcnt(1)
	v_add_f64 v[0:1], v[8:9], v[0:1]
	v_add_f64 v[2:3], v[10:11], v[2:3]
	s_waitcnt lgkmcnt(0)
	s_delay_alu instid0(VALU_DEP_2) | instskip(NEXT) | instid1(VALU_DEP_2)
	v_add_f64 v[0:1], v[0:1], v[4:5]
	v_add_f64 v[2:3], v[2:3], v[6:7]
.LBB129_94:
	s_or_b32 exec_lo, exec_lo, s5
	s_load_b64 s[0:1], s[0:1], 0x78
	s_mul_hi_u32 s4, s25, s15
	s_mul_i32 s27, s27, s15
	s_mul_i32 s5, s25, s15
	s_add_i32 s4, s4, s27
	s_mul_hi_u32 s6, s5, s26
	s_mul_i32 s7, s4, s26
	s_mul_i32 s4, s5, s26
	s_add_i32 s5, s6, s7
	s_mul_i32 s6, s14, s25
	s_lshl_b64 s[4:5], s[4:5], 4
	v_cmp_le_i32_e32 vcc_lo, s10, v42
	v_lshlrev_b32_e32 v150, 4, v42
	s_waitcnt lgkmcnt(0)
	s_barrier
	buffer_gl0_inv
	s_add_u32 s4, s0, s4
	s_addc_u32 s5, s1, s5
	s_ashr_i32 s7, s6, 31
	s_delay_alu instid0(SALU_CYCLE_1) | instskip(NEXT) | instid1(SALU_CYCLE_1)
	s_lshl_b64 s[0:1], s[6:7], 4
	s_add_u32 s8, s4, s0
	s_addc_u32 s9, s5, s1
	s_and_b32 vcc_lo, s17, vcc_lo
	s_cmp_lt_i32 s14, 1
	s_cbranch_scc1 .LBB129_101
; %bb.95:
	v_mul_lo_u32 v4, v149, s12
	v_sub_co_u32 v7, s0, v40, s18
	s_delay_alu instid0(VALU_DEP_1) | instskip(SKIP_1) | instid1(VALU_DEP_2)
	v_subrev_co_ci_u32_e64 v8, s0, s19, v41, s0
	s_ashr_i32 s11, s10, 31
	v_sub_co_u32 v7, s0, v7, v38
	s_delay_alu instid0(VALU_DEP_4) | instskip(NEXT) | instid1(VALU_DEP_3)
	v_lshl_add_u32 v4, v4, 2, v42
	v_sub_co_ci_u32_e64 v8, s0, v8, v39, s0
	s_lshl_b64 s[6:7], s[10:11], 4
	v_dual_mov_b32 v146, 0 :: v_dual_and_b32 v9, 48, v42
	s_delay_alu instid0(VALU_DEP_3)
	v_ashrrev_i32_e32 v5, 31, v4
	s_mul_i32 s4, s16, s24
	v_or_b32_e32 v10, 0xf0, v150
	s_ashr_i32 s5, s4, 31
	v_add_nc_u32_e32 v154, 0x4700, v150
	v_lshlrev_b64 v[4:5], 4, v[4:5]
	s_lshl_b64 s[4:5], s[4:5], 4
	v_lshl_add_u32 v158, v149, 6, 0x4300
	v_mad_u32_u24 v159, 0x10c0, v149, v150
	s_ashr_i32 s13, s12, 31
	s_lshl_b32 s10, s24, 6
	v_add_co_u32 v4, s0, v7, v4
	s_delay_alu instid0(VALU_DEP_1) | instskip(SKIP_1) | instid1(VALU_DEP_2)
	v_add_co_ci_u32_e64 v5, s0, v8, v5, s0
	s_mul_hi_i32 s11, s12, 0xd0
	v_sub_co_u32 v7, s0, v4, v150
	s_delay_alu instid0(VALU_DEP_1) | instskip(SKIP_1) | instid1(VALU_DEP_3)
	v_subrev_co_ci_u32_e64 v8, s0, 0, v5, s0
	v_add_nc_u32_e32 v153, 0x4300, v150
	v_add_co_u32 v7, s0, v7, s6
	s_delay_alu instid0(VALU_DEP_1) | instskip(SKIP_1) | instid1(VALU_DEP_1)
	v_add_co_ci_u32_e64 v8, s0, s7, v8, s0
	v_add_co_u32 v4, s0, 0xfffffe00, v4
	v_add_co_ci_u32_e64 v5, s0, -1, v5, s0
	s_delay_alu instid0(VALU_DEP_4) | instskip(NEXT) | instid1(VALU_DEP_1)
	v_add_co_u32 v7, s0, 0xfffffdf0, v7
	v_add_co_ci_u32_e64 v8, s0, -1, v8, s0
	v_and_b32_e32 v6, 15, v42
	s_delay_alu instid0(VALU_DEP_3) | instskip(SKIP_1) | instid1(VALU_DEP_4)
	v_cndmask_b32_e32 v4, v4, v7, vcc_lo
	v_lshlrev_b32_e32 v7, 2, v43
	v_dual_cndmask_b32 v5, v5, v8 :: v_dual_lshlrev_b32 v8, 4, v9
	v_sub_co_u32 v151, s0, v36, s4
	s_delay_alu instid0(VALU_DEP_3) | instskip(SKIP_1) | instid1(VALU_DEP_4)
	v_and_b32_e32 v7, 0x7ffc0, v7
	v_subrev_co_ci_u32_e64 v152, s0, s5, v37, s0
	v_mad_u32_u24 v155, 0x430, v6, v8
	v_and_b32_e32 v8, 0x1fff0, v43
	v_cmp_gt_u32_e64 s0, 64, v43
	v_mad_u32_u24 v156, 0x430, v6, v10
	v_mad_u32_u24 v157, 0x430, v6, v7
	v_or_b32_e32 v145, v9, v6
	v_mad_u32_u24 v160, 0x430, v6, v8
	s_lshl_b64 s[4:5], s[12:13], 4
	s_mulk_i32 s12, 0xd0
	s_mov_b32 s6, 0
	s_branch .LBB129_97
.LBB129_96:                             ;   in Loop: Header=BB129_97 Depth=1
	s_or_b32 exec_lo, exec_lo, s7
	v_mul_f64 v[108:109], v[10:11], v[38:39]
	v_mul_f64 v[38:39], v[8:9], v[38:39]
	;; [unrolled: 1-line block ×4, first 2 shown]
	v_add_nc_u32_e32 v145, 64, v145
	s_add_i32 s14, s14, -1
	s_add_i32 s6, s6, s10
	s_cmp_eq_u32 s14, 0
	s_waitcnt_vscnt null, 0x0
	s_barrier
	buffer_gl0_inv
	v_fma_f64 v[8:9], v[8:9], v[36:37], -v[108:109]
	v_fma_f64 v[10:11], v[10:11], v[36:37], v[38:39]
	v_mul_f64 v[36:37], v[14:15], v[46:47]
	v_mul_f64 v[38:39], v[12:13], v[46:47]
	v_fma_f64 v[16:17], v[16:17], v[48:49], -v[110:111]
	v_fma_f64 v[18:19], v[18:19], v[48:49], v[50:51]
	v_add_f64 v[0:1], v[0:1], v[8:9]
	v_add_f64 v[2:3], v[2:3], v[10:11]
	v_mul_f64 v[8:9], v[6:7], v[42:43]
	v_mul_f64 v[10:11], v[4:5], v[42:43]
	v_fma_f64 v[12:13], v[12:13], v[44:45], -v[36:37]
	v_fma_f64 v[14:15], v[14:15], v[44:45], v[38:39]
	v_add_f64 v[0:1], v[0:1], v[16:17]
	v_add_f64 v[2:3], v[2:3], v[18:19]
	v_mul_f64 v[16:17], v[34:35], v[74:75]
	v_mul_f64 v[18:19], v[32:33], v[74:75]
	v_fma_f64 v[4:5], v[4:5], v[40:41], -v[8:9]
	v_fma_f64 v[6:7], v[6:7], v[40:41], v[10:11]
	v_mul_f64 v[8:9], v[30:31], v[82:83]
	v_mul_f64 v[10:11], v[28:29], v[82:83]
	v_add_f64 v[0:1], v[0:1], v[12:13]
	v_add_f64 v[2:3], v[2:3], v[14:15]
	v_fma_f64 v[12:13], v[32:33], v[72:73], -v[16:17]
	v_fma_f64 v[14:15], v[34:35], v[72:73], v[18:19]
	v_fma_f64 v[8:9], v[28:29], v[80:81], -v[8:9]
	v_fma_f64 v[10:11], v[30:31], v[80:81], v[10:11]
	v_add_f64 v[0:1], v[0:1], v[4:5]
	v_add_f64 v[2:3], v[2:3], v[6:7]
	v_mul_f64 v[4:5], v[26:27], v[78:79]
	v_mul_f64 v[6:7], v[24:25], v[78:79]
	s_delay_alu instid0(VALU_DEP_4) | instskip(NEXT) | instid1(VALU_DEP_4)
	v_add_f64 v[0:1], v[0:1], v[12:13]
	v_add_f64 v[2:3], v[2:3], v[14:15]
	v_mul_f64 v[12:13], v[22:23], v[70:71]
	v_mul_f64 v[14:15], v[20:21], v[70:71]
	v_fma_f64 v[4:5], v[24:25], v[76:77], -v[4:5]
	v_fma_f64 v[6:7], v[26:27], v[76:77], v[6:7]
	v_add_f64 v[0:1], v[0:1], v[8:9]
	v_add_f64 v[2:3], v[2:3], v[10:11]
	v_mul_f64 v[8:9], v[66:67], v[102:103]
	v_mul_f64 v[10:11], v[64:65], v[102:103]
	v_fma_f64 v[12:13], v[20:21], v[68:69], -v[12:13]
	v_fma_f64 v[14:15], v[22:23], v[68:69], v[14:15]
	;; [unrolled: 6-line block ×9, first 2 shown]
	v_add_f64 v[0:1], v[0:1], v[12:13]
	v_add_f64 v[2:3], v[2:3], v[14:15]
	v_fma_f64 v[4:5], v[120:121], v[128:129], -v[4:5]
	v_fma_f64 v[6:7], v[122:123], v[128:129], v[6:7]
	s_delay_alu instid0(VALU_DEP_4) | instskip(NEXT) | instid1(VALU_DEP_4)
	v_add_f64 v[0:1], v[0:1], v[8:9]
	v_add_f64 v[2:3], v[2:3], v[10:11]
	s_delay_alu instid0(VALU_DEP_2) | instskip(NEXT) | instid1(VALU_DEP_2)
	v_add_f64 v[0:1], v[0:1], v[4:5]
	v_add_f64 v[2:3], v[2:3], v[6:7]
	v_add_co_u32 v4, s1, v147, s12
	s_delay_alu instid0(VALU_DEP_1)
	v_add_co_ci_u32_e64 v5, s1, s11, v148, s1
	s_cbranch_scc1 .LBB129_101
.LBB129_97:                             ; =>This Inner Loop Header: Depth=1
	s_and_saveexec_b32 s13, s3
	s_cbranch_execz .LBB129_99
; %bb.98:                               ;   in Loop: Header=BB129_97 Depth=1
	s_ashr_i32 s7, s6, 31
	s_delay_alu instid0(SALU_CYCLE_1) | instskip(NEXT) | instid1(SALU_CYCLE_1)
	s_lshl_b64 s[16:17], s[6:7], 4
	v_add_co_u32 v6, s1, v151, s16
	s_delay_alu instid0(VALU_DEP_1)
	v_add_co_ci_u32_e64 v7, s1, s17, v152, s1
	global_load_b128 v[6:9], v[6:7], off
	s_waitcnt vmcnt(0)
	ds_store_2addr_b64 v153, v[6:7], v[8:9] offset1:1
.LBB129_99:                             ;   in Loop: Header=BB129_97 Depth=1
	s_or_b32 exec_lo, exec_lo, s13
	v_add_co_u32 v6, s1, v4, s4
	s_delay_alu instid0(VALU_DEP_1) | instskip(SKIP_1) | instid1(VALU_DEP_2)
	v_add_co_ci_u32_e64 v7, s1, s5, v5, s1
	s_waitcnt lgkmcnt(0)
	v_add_co_u32 v12, s1, v6, s4
	s_delay_alu instid0(VALU_DEP_1) | instskip(SKIP_1) | instid1(VALU_DEP_2)
	v_add_co_ci_u32_e64 v13, s1, s5, v7, s1
	s_barrier
	v_add_co_u32 v34, s1, v12, s4
	buffer_gl0_inv
	global_load_b128 v[8:11], v[4:5], off
	v_add_co_ci_u32_e64 v35, s1, s5, v13, s1
	s_clause 0x2
	global_load_b128 v[16:19], v[6:7], off
	global_load_b128 v[12:15], v[12:13], off
	;; [unrolled: 1-line block ×3, first 2 shown]
	ds_load_b128 v[20:23], v154
	ds_load_b128 v[36:39], v158
	s_waitcnt vmcnt(3) lgkmcnt(1)
	v_mul_f64 v[24:25], v[10:11], v[22:23]
	v_mul_f64 v[26:27], v[8:9], v[22:23]
	s_waitcnt vmcnt(2)
	v_mul_f64 v[28:29], v[18:19], v[22:23]
	v_mul_f64 v[30:31], v[16:17], v[22:23]
	s_waitcnt vmcnt(1)
	;; [unrolled: 3-line block ×3, first 2 shown]
	v_mul_f64 v[42:43], v[6:7], v[22:23]
	v_mul_f64 v[44:45], v[4:5], v[22:23]
	v_fma_f64 v[22:23], v[8:9], v[20:21], -v[24:25]
	v_fma_f64 v[24:25], v[10:11], v[20:21], v[26:27]
	v_fma_f64 v[26:27], v[16:17], v[20:21], -v[28:29]
	v_fma_f64 v[28:29], v[18:19], v[20:21], v[30:31]
	v_fma_f64 v[30:31], v[12:13], v[20:21], -v[32:33]
	v_fma_f64 v[32:33], v[14:15], v[20:21], v[40:41]
	v_fma_f64 v[52:53], v[4:5], v[20:21], -v[42:43]
	v_fma_f64 v[54:55], v[6:7], v[20:21], v[44:45]
	v_add_co_u32 v20, s1, v34, s12
	s_delay_alu instid0(VALU_DEP_1) | instskip(NEXT) | instid1(VALU_DEP_2)
	v_add_co_ci_u32_e64 v21, s1, s11, v35, s1
	v_add_co_u32 v56, s1, v20, s4
	s_delay_alu instid0(VALU_DEP_1) | instskip(NEXT) | instid1(VALU_DEP_2)
	v_add_co_ci_u32_e64 v57, s1, s5, v21, s1
	;; [unrolled: 3-line block ×3, first 2 shown]
	v_add_co_u32 v66, s1, v58, s4
	s_delay_alu instid0(VALU_DEP_1)
	v_add_co_ci_u32_e64 v67, s1, s5, v59, s1
	ds_store_b128 v159, v[22:25]
	ds_load_b128 v[48:51], v158 offset:16
	ds_store_b128 v159, v[26:29] offset:1072
	ds_load_b128 v[44:47], v158 offset:32
	ds_store_b128 v159, v[30:33] offset:2144
	;; [unrolled: 2-line block ×3, first 2 shown]
	s_waitcnt lgkmcnt(0)
	s_barrier
	buffer_gl0_inv
	ds_load_b128 v[128:131], v157
	ds_load_b128 v[140:143], v157 offset:16
	ds_load_b128 v[116:119], v157 offset:32
	;; [unrolled: 1-line block ×3, first 2 shown]
	s_waitcnt lgkmcnt(0)
	s_barrier
	buffer_gl0_inv
	s_clause 0x2
	global_load_b128 v[32:35], v[20:21], off
	global_load_b128 v[28:31], v[56:57], off
	;; [unrolled: 1-line block ×4, first 2 shown]
	ds_load_b128 v[52:55], v154
	ds_load_b128 v[72:75], v158 offset:256
	v_add_f64 v[205:206], v[128:129], 0
	v_add_f64 v[207:208], v[130:131], 0
	s_waitcnt vmcnt(2) lgkmcnt(1)
	v_mul_f64 v[60:61], v[30:31], v[54:55]
	v_mul_f64 v[56:57], v[34:35], v[54:55]
	v_mul_f64 v[58:59], v[32:33], v[54:55]
	v_mul_f64 v[62:63], v[28:29], v[54:55]
	s_waitcnt vmcnt(1)
	v_mul_f64 v[64:65], v[26:27], v[54:55]
	v_mul_f64 v[68:69], v[24:25], v[54:55]
	s_waitcnt vmcnt(0)
	v_mul_f64 v[70:71], v[22:23], v[54:55]
	v_mul_f64 v[76:77], v[20:21], v[54:55]
	v_fma_f64 v[54:55], v[32:33], v[52:53], -v[56:57]
	v_fma_f64 v[56:57], v[34:35], v[52:53], v[58:59]
	v_fma_f64 v[58:59], v[28:29], v[52:53], -v[60:61]
	v_fma_f64 v[60:61], v[30:31], v[52:53], v[62:63]
	;; [unrolled: 2-line block ×4, first 2 shown]
	v_add_co_u32 v52, s1, v66, s12
	s_delay_alu instid0(VALU_DEP_1) | instskip(NEXT) | instid1(VALU_DEP_2)
	v_add_co_ci_u32_e64 v53, s1, s11, v67, s1
	v_add_co_u32 v88, s1, v52, s4
	s_delay_alu instid0(VALU_DEP_1) | instskip(NEXT) | instid1(VALU_DEP_2)
	v_add_co_ci_u32_e64 v89, s1, s5, v53, s1
	;; [unrolled: 3-line block ×3, first 2 shown]
	v_add_co_u32 v98, s1, v90, s4
	s_delay_alu instid0(VALU_DEP_1)
	v_add_co_ci_u32_e64 v99, s1, s5, v91, s1
	ds_store_b128 v159, v[54:57]
	ds_load_b128 v[80:83], v158 offset:272
	ds_store_b128 v159, v[58:61] offset:1072
	ds_load_b128 v[76:79], v158 offset:288
	ds_store_b128 v159, v[62:65] offset:2144
	;; [unrolled: 2-line block ×3, first 2 shown]
	s_waitcnt lgkmcnt(0)
	s_barrier
	buffer_gl0_inv
	ds_load_b128 v[161:164], v157
	ds_load_b128 v[165:168], v157 offset:16
	ds_load_b128 v[169:172], v157 offset:32
	;; [unrolled: 1-line block ×3, first 2 shown]
	s_waitcnt lgkmcnt(0)
	s_barrier
	buffer_gl0_inv
	global_load_b128 v[64:67], v[52:53], off
	global_load_b128 v[60:63], v[88:89], off
	;; [unrolled: 1-line block ×4, first 2 shown]
	ds_load_b128 v[84:87], v154
	ds_load_b128 v[100:103], v158 offset:512
	v_add_f64 v[161:162], v[161:162], 0
	v_add_f64 v[163:164], v[163:164], 0
	s_delay_alu instid0(VALU_DEP_2) | instskip(NEXT) | instid1(VALU_DEP_2)
	v_add_f64 v[161:162], v[161:162], v[165:166]
	v_add_f64 v[163:164], v[163:164], v[167:168]
	s_delay_alu instid0(VALU_DEP_2) | instskip(NEXT) | instid1(VALU_DEP_2)
	v_add_f64 v[161:162], v[161:162], v[169:170]
	v_add_f64 v[163:164], v[163:164], v[171:172]
	s_waitcnt vmcnt(2) lgkmcnt(1)
	v_mul_f64 v[92:93], v[62:63], v[86:87]
	v_mul_f64 v[88:89], v[66:67], v[86:87]
	;; [unrolled: 1-line block ×4, first 2 shown]
	s_waitcnt vmcnt(1)
	v_mul_f64 v[96:97], v[58:59], v[86:87]
	v_mul_f64 v[104:105], v[56:57], v[86:87]
	s_waitcnt vmcnt(0)
	v_mul_f64 v[106:107], v[54:55], v[86:87]
	v_mul_f64 v[112:113], v[52:53], v[86:87]
	v_fma_f64 v[86:87], v[64:65], v[84:85], -v[88:89]
	v_fma_f64 v[88:89], v[66:67], v[84:85], v[90:91]
	v_fma_f64 v[90:91], v[60:61], v[84:85], -v[92:93]
	v_fma_f64 v[92:93], v[62:63], v[84:85], v[94:95]
	;; [unrolled: 2-line block ×4, first 2 shown]
	v_add_co_u32 v84, s1, v98, s12
	s_delay_alu instid0(VALU_DEP_1) | instskip(NEXT) | instid1(VALU_DEP_2)
	v_add_co_ci_u32_e64 v85, s1, s11, v99, s1
	v_add_co_u32 v124, s1, v84, s4
	s_delay_alu instid0(VALU_DEP_1) | instskip(NEXT) | instid1(VALU_DEP_2)
	v_add_co_ci_u32_e64 v125, s1, s5, v85, s1
	;; [unrolled: 3-line block ×3, first 2 shown]
	v_add_co_u32 v147, s1, v136, s4
	s_delay_alu instid0(VALU_DEP_1)
	v_add_co_ci_u32_e64 v148, s1, s5, v137, s1
	ds_store_b128 v159, v[86:89]
	ds_load_b128 v[112:115], v158 offset:528
	ds_store_b128 v159, v[90:93] offset:1072
	ds_load_b128 v[104:107], v158 offset:544
	ds_store_b128 v159, v[94:97] offset:2144
	;; [unrolled: 2-line block ×3, first 2 shown]
	s_waitcnt lgkmcnt(0)
	s_barrier
	buffer_gl0_inv
	ds_load_b128 v[177:180], v157
	ds_load_b128 v[181:184], v157 offset:16
	ds_load_b128 v[185:188], v157 offset:32
	;; [unrolled: 1-line block ×3, first 2 shown]
	s_waitcnt lgkmcnt(0)
	s_barrier
	buffer_gl0_inv
	global_load_b128 v[88:91], v[84:85], off
	global_load_b128 v[84:87], v[124:125], off
	;; [unrolled: 1-line block ×3, first 2 shown]
	ds_load_b128 v[132:135], v154
	ds_load_b128 v[124:127], v158 offset:768
	v_add_f64 v[177:178], v[177:178], 0
	v_add_f64 v[179:180], v[179:180], 0
	s_delay_alu instid0(VALU_DEP_2) | instskip(NEXT) | instid1(VALU_DEP_2)
	v_add_f64 v[165:166], v[177:178], v[181:182]
	v_add_f64 v[167:168], v[179:180], v[183:184]
	s_delay_alu instid0(VALU_DEP_2) | instskip(NEXT) | instid1(VALU_DEP_2)
	v_add_f64 v[165:166], v[165:166], v[185:186]
	v_add_f64 v[167:168], v[167:168], v[187:188]
	s_waitcnt vmcnt(2) lgkmcnt(1)
	v_mul_f64 v[120:121], v[90:91], v[134:135]
	v_mul_f64 v[122:123], v[88:89], v[134:135]
	s_waitcnt vmcnt(1)
	v_mul_f64 v[193:194], v[86:87], v[134:135]
	v_mul_f64 v[195:196], v[84:85], v[134:135]
	s_waitcnt vmcnt(0)
	v_mul_f64 v[197:198], v[94:95], v[134:135]
	v_mul_f64 v[199:200], v[92:93], v[134:135]
	v_fma_f64 v[136:137], v[88:89], v[132:133], -v[120:121]
	v_fma_f64 v[138:139], v[90:91], v[132:133], v[122:123]
	global_load_b128 v[120:123], v[147:148], off
	v_fma_f64 v[193:194], v[84:85], v[132:133], -v[193:194]
	v_fma_f64 v[195:196], v[86:87], v[132:133], v[195:196]
	v_fma_f64 v[197:198], v[92:93], v[132:133], -v[197:198]
	v_fma_f64 v[199:200], v[94:95], v[132:133], v[199:200]
	ds_store_b128 v159, v[136:139]
	ds_load_b128 v[136:139], v158 offset:784
	ds_store_b128 v159, v[193:196] offset:1072
	s_waitcnt vmcnt(0)
	v_mul_f64 v[201:202], v[122:123], v[134:135]
	v_mul_f64 v[134:135], v[120:121], v[134:135]
	s_delay_alu instid0(VALU_DEP_2) | instskip(NEXT) | instid1(VALU_DEP_2)
	v_fma_f64 v[201:202], v[120:121], v[132:133], -v[201:202]
	v_fma_f64 v[203:204], v[122:123], v[132:133], v[134:135]
	ds_load_b128 v[132:135], v158 offset:800
	ds_store_b128 v159, v[197:200] offset:2144
	ds_load_b128 v[128:131], v158 offset:816
	v_add_f64 v[197:198], v[205:206], v[140:141]
	v_add_f64 v[199:200], v[207:208], v[142:143]
	ds_store_b128 v159, v[201:204] offset:3216
	s_waitcnt lgkmcnt(0)
	s_barrier
	buffer_gl0_inv
	ds_load_b128 v[193:196], v157
	ds_load_b128 v[140:143], v157 offset:16
	v_add_f64 v[181:182], v[197:198], v[116:117]
	v_add_f64 v[183:184], v[199:200], v[118:119]
	ds_load_b128 v[116:119], v157 offset:48
	s_waitcnt lgkmcnt(2)
	v_add_f64 v[193:194], v[193:194], 0
	v_add_f64 v[195:196], v[195:196], 0
	;; [unrolled: 1-line block ×4, first 2 shown]
	s_waitcnt lgkmcnt(1)
	s_delay_alu instid0(VALU_DEP_4) | instskip(NEXT) | instid1(VALU_DEP_4)
	v_add_f64 v[177:178], v[193:194], v[140:141]
	v_add_f64 v[179:180], v[195:196], v[142:143]
	ds_load_b128 v[140:143], v157 offset:32
	s_waitcnt lgkmcnt(0)
	s_barrier
	buffer_gl0_inv
	v_add_f64 v[169:170], v[177:178], v[140:141]
	v_add_f64 v[171:172], v[179:180], v[142:143]
	;; [unrolled: 1-line block ×8, first 2 shown]
	ds_store_b128 v160, v[108:111]
	ds_store_b128 v160, v[140:143] offset:256
	ds_store_b128 v160, v[161:164] offset:512
	;; [unrolled: 1-line block ×3, first 2 shown]
	s_waitcnt lgkmcnt(0)
	s_barrier
	buffer_gl0_inv
	s_and_saveexec_b32 s7, s0
	s_cbranch_execz .LBB129_96
; %bb.100:                              ;   in Loop: Header=BB129_97 Depth=1
	ds_load_b128 v[108:111], v155
	ds_load_b128 v[116:119], v155 offset:16
	s_waitcnt lgkmcnt(0)
	v_add_f64 v[140:141], v[116:117], v[108:109]
	v_add_f64 v[142:143], v[118:119], v[110:111]
	ds_load_b128 v[108:111], v155 offset:32
	ds_load_b128 v[116:119], v155 offset:48
	s_waitcnt lgkmcnt(1)
	v_add_f64 v[108:109], v[140:141], v[108:109]
	v_add_f64 v[110:111], v[142:143], v[110:111]
	s_waitcnt lgkmcnt(0)
	s_delay_alu instid0(VALU_DEP_2) | instskip(NEXT) | instid1(VALU_DEP_2)
	v_add_f64 v[140:141], v[108:109], v[116:117]
	v_add_f64 v[142:143], v[110:111], v[118:119]
	ds_load_b128 v[108:111], v155 offset:64
	ds_load_b128 v[116:119], v155 offset:80
	s_waitcnt lgkmcnt(1)
	v_add_f64 v[108:109], v[140:141], v[108:109]
	v_add_f64 v[110:111], v[142:143], v[110:111]
	s_waitcnt lgkmcnt(0)
	s_delay_alu instid0(VALU_DEP_2) | instskip(NEXT) | instid1(VALU_DEP_2)
	;; [unrolled: 9-line block ×6, first 2 shown]
	v_add_f64 v[140:141], v[108:109], v[116:117]
	v_add_f64 v[142:143], v[110:111], v[118:119]
	ds_load_b128 v[108:111], v155 offset:224
	ds_load_b128 v[116:119], v156
	s_waitcnt lgkmcnt(1)
	v_add_f64 v[108:109], v[140:141], v[108:109]
	v_add_f64 v[110:111], v[142:143], v[110:111]
	s_waitcnt lgkmcnt(0)
	s_delay_alu instid0(VALU_DEP_2) | instskip(NEXT) | instid1(VALU_DEP_2)
	v_add_f64 v[108:109], v[108:109], v[116:117]
	v_add_f64 v[110:111], v[110:111], v[118:119]
	v_lshlrev_b64 v[116:117], 4, v[145:146]
	s_delay_alu instid0(VALU_DEP_1) | instskip(NEXT) | instid1(VALU_DEP_1)
	v_add_co_u32 v116, s1, s8, v116
	v_add_co_ci_u32_e64 v117, s1, s9, v117, s1
	global_store_b128 v[116:117], v[108:111], off
	s_branch .LBB129_96
.LBB129_101:
	v_mad_u32_u24 v4, 0x430, v149, v150
	s_or_b32 s0, s2, vcc_lo
	s_delay_alu instid0(SALU_CYCLE_1)
	s_xor_b32 s0, s0, -1
	ds_store_b128 v4, v[0:3]
	s_waitcnt lgkmcnt(0)
	s_barrier
	buffer_gl0_inv
	s_and_saveexec_b32 s1, s0
	s_cbranch_execz .LBB129_103
; %bb.102:
	ds_load_b128 v[0:3], v150 offset:1072
	ds_load_b128 v[4:7], v150
	v_ashrrev_i32_e32 v145, 31, v144
	s_waitcnt lgkmcnt(0)
	v_add_f64 v[8:9], v[0:1], v[4:5]
	v_add_f64 v[10:11], v[2:3], v[6:7]
	ds_load_b128 v[0:3], v150 offset:2144
	ds_load_b128 v[4:7], v150 offset:3216
	s_waitcnt lgkmcnt(1)
	v_add_f64 v[0:1], v[8:9], v[0:1]
	v_add_f64 v[2:3], v[10:11], v[2:3]
	s_waitcnt lgkmcnt(0)
	s_delay_alu instid0(VALU_DEP_2) | instskip(NEXT) | instid1(VALU_DEP_2)
	v_add_f64 v[0:1], v[0:1], v[4:5]
	v_add_f64 v[2:3], v[2:3], v[6:7]
	v_lshlrev_b64 v[4:5], 4, v[144:145]
	s_delay_alu instid0(VALU_DEP_1) | instskip(NEXT) | instid1(VALU_DEP_2)
	v_add_co_u32 v4, vcc_lo, s8, v4
	v_add_co_ci_u32_e32 v5, vcc_lo, s9, v5, vcc_lo
	global_store_b128 v[4:5], v[0:3], off
.LBB129_103:
	s_nop 0
	s_sendmsg sendmsg(MSG_DEALLOC_VGPRS)
	s_endpgm
	.section	.rodata,"a",@progbits
	.p2align	6, 0x0
	.amdhsa_kernel _ZL26rocblas_hemvn_kernel_lowerILb0ELi64ELi4ELi33ELi32ELi16Ei19rocblas_complex_numIdEPKS1_PS1_EviT6_lT7_lT5_lS6_lS7_lS5_lT8_i
		.amdhsa_group_segment_fixed_size 19200
		.amdhsa_private_segment_fixed_size 0
		.amdhsa_kernarg_size 392
		.amdhsa_user_sgpr_count 14
		.amdhsa_user_sgpr_dispatch_ptr 0
		.amdhsa_user_sgpr_queue_ptr 0
		.amdhsa_user_sgpr_kernarg_segment_ptr 1
		.amdhsa_user_sgpr_dispatch_id 0
		.amdhsa_user_sgpr_private_segment_size 0
		.amdhsa_wavefront_size32 1
		.amdhsa_uses_dynamic_stack 0
		.amdhsa_enable_private_segment 0
		.amdhsa_system_sgpr_workgroup_id_x 1
		.amdhsa_system_sgpr_workgroup_id_y 0
		.amdhsa_system_sgpr_workgroup_id_z 1
		.amdhsa_system_sgpr_workgroup_info 0
		.amdhsa_system_vgpr_workitem_id 1
		.amdhsa_next_free_vgpr 209
		.amdhsa_next_free_sgpr 30
		.amdhsa_reserve_vcc 1
		.amdhsa_float_round_mode_32 0
		.amdhsa_float_round_mode_16_64 0
		.amdhsa_float_denorm_mode_32 3
		.amdhsa_float_denorm_mode_16_64 3
		.amdhsa_dx10_clamp 1
		.amdhsa_ieee_mode 1
		.amdhsa_fp16_overflow 0
		.amdhsa_workgroup_processor_mode 1
		.amdhsa_memory_ordered 1
		.amdhsa_forward_progress 0
		.amdhsa_shared_vgpr_count 0
		.amdhsa_exception_fp_ieee_invalid_op 0
		.amdhsa_exception_fp_denorm_src 0
		.amdhsa_exception_fp_ieee_div_zero 0
		.amdhsa_exception_fp_ieee_overflow 0
		.amdhsa_exception_fp_ieee_underflow 0
		.amdhsa_exception_fp_ieee_inexact 0
		.amdhsa_exception_int_div_zero 0
	.end_amdhsa_kernel
	.section	.text._ZL26rocblas_hemvn_kernel_lowerILb0ELi64ELi4ELi33ELi32ELi16Ei19rocblas_complex_numIdEPKS1_PS1_EviT6_lT7_lT5_lS6_lS7_lS5_lT8_i,"axG",@progbits,_ZL26rocblas_hemvn_kernel_lowerILb0ELi64ELi4ELi33ELi32ELi16Ei19rocblas_complex_numIdEPKS1_PS1_EviT6_lT7_lT5_lS6_lS7_lS5_lT8_i,comdat
.Lfunc_end129:
	.size	_ZL26rocblas_hemvn_kernel_lowerILb0ELi64ELi4ELi33ELi32ELi16Ei19rocblas_complex_numIdEPKS1_PS1_EviT6_lT7_lT5_lS6_lS7_lS5_lT8_i, .Lfunc_end129-_ZL26rocblas_hemvn_kernel_lowerILb0ELi64ELi4ELi33ELi32ELi16Ei19rocblas_complex_numIdEPKS1_PS1_EviT6_lT7_lT5_lS6_lS7_lS5_lT8_i
                                        ; -- End function
	.section	.AMDGPU.csdata,"",@progbits
; Kernel info:
; codeLenInByte = 10396
; NumSgprs: 32
; NumVgprs: 209
; ScratchSize: 0
; MemoryBound: 0
; FloatMode: 240
; IeeeMode: 1
; LDSByteSize: 19200 bytes/workgroup (compile time only)
; SGPRBlocks: 3
; VGPRBlocks: 26
; NumSGPRsForWavesPerEU: 32
; NumVGPRsForWavesPerEU: 209
; Occupancy: 7
; WaveLimiterHint : 1
; COMPUTE_PGM_RSRC2:SCRATCH_EN: 0
; COMPUTE_PGM_RSRC2:USER_SGPR: 14
; COMPUTE_PGM_RSRC2:TRAP_HANDLER: 0
; COMPUTE_PGM_RSRC2:TGID_X_EN: 1
; COMPUTE_PGM_RSRC2:TGID_Y_EN: 0
; COMPUTE_PGM_RSRC2:TGID_Z_EN: 1
; COMPUTE_PGM_RSRC2:TIDIG_COMP_CNT: 1
	.section	.text._ZL50rocblas_symv_kernel_upper_double_buffered_diagonalILi32ELi4E24rocblas_internal_val_ptrIfEPKPKfPKPfEvbiT1_lT2_lllSA_lllS9_lT3_llli,"axG",@progbits,_ZL50rocblas_symv_kernel_upper_double_buffered_diagonalILi32ELi4E24rocblas_internal_val_ptrIfEPKPKfPKPfEvbiT1_lT2_lllSA_lllS9_lT3_llli,comdat
	.globl	_ZL50rocblas_symv_kernel_upper_double_buffered_diagonalILi32ELi4E24rocblas_internal_val_ptrIfEPKPKfPKPfEvbiT1_lT2_lllSA_lllS9_lT3_llli ; -- Begin function _ZL50rocblas_symv_kernel_upper_double_buffered_diagonalILi32ELi4E24rocblas_internal_val_ptrIfEPKPKfPKPfEvbiT1_lT2_lllSA_lllS9_lT3_llli
	.p2align	8
	.type	_ZL50rocblas_symv_kernel_upper_double_buffered_diagonalILi32ELi4E24rocblas_internal_val_ptrIfEPKPKfPKPfEvbiT1_lT2_lllSA_lllS9_lT3_llli,@function
_ZL50rocblas_symv_kernel_upper_double_buffered_diagonalILi32ELi4E24rocblas_internal_val_ptrIfEPKPKfPKPfEvbiT1_lT2_lllSA_lllS9_lT3_llli: ; @_ZL50rocblas_symv_kernel_upper_double_buffered_diagonalILi32ELi4E24rocblas_internal_val_ptrIfEPKPKfPKPfEvbiT1_lT2_lllSA_lllS9_lT3_llli
; %bb.0:
	s_clause 0x2
	s_load_b32 s3, s[0:1], 0x0
	s_load_b256 s[4:11], s[0:1], 0x8
	s_load_b64 s[12:13], s[0:1], 0x28
	s_mov_b32 s2, s15
	s_mov_b32 s20, -1
                                        ; implicit-def: $sgpr15
	s_waitcnt lgkmcnt(0)
	s_bitcmp1_b32 s3, 0
	s_cselect_b32 s3, -1, 0
	s_delay_alu instid0(SALU_CYCLE_1) | instskip(NEXT) | instid1(SALU_CYCLE_1)
	s_xor_b32 s3, s3, -1
	s_and_b32 vcc_lo, exec_lo, s3
	s_cbranch_vccnz .LBB130_7
; %bb.1:
	s_load_b128 s[16:19], s[0:1], 0x58
	s_and_not1_b32 vcc_lo, exec_lo, s20
	s_cbranch_vccz .LBB130_8
.LBB130_2:
	s_and_not1_b32 vcc_lo, exec_lo, s3
	s_cbranch_vccnz .LBB130_4
.LBB130_3:
	s_waitcnt lgkmcnt(0)
	s_mul_i32 s3, s2, s19
	s_mul_hi_u32 s4, s2, s18
	s_delay_alu instid0(SALU_CYCLE_1) | instskip(SKIP_1) | instid1(SALU_CYCLE_1)
	s_add_i32 s5, s4, s3
	s_mul_i32 s4, s2, s18
	s_lshl_b64 s[4:5], s[4:5], 2
	s_delay_alu instid0(SALU_CYCLE_1)
	s_add_u32 s4, s16, s4
	s_addc_u32 s5, s17, s5
	s_load_b32 s16, s[4:5], 0x0
.LBB130_4:
	s_waitcnt lgkmcnt(0)
	v_cmp_eq_f32_e64 s17, s15, 0
	v_cmp_eq_f32_e64 s3, s16, 1.0
	s_delay_alu instid0(VALU_DEP_1) | instskip(NEXT) | instid1(SALU_CYCLE_1)
	s_and_b32 s3, s17, s3
	s_and_b32 vcc_lo, exec_lo, s3
	s_cbranch_vccnz .LBB130_45
; %bb.5:
	v_cmp_neq_f32_e64 s22, s15, 0
	s_delay_alu instid0(VALU_DEP_1)
	s_and_b32 vcc_lo, exec_lo, s22
	s_cbranch_vccnz .LBB130_9
; %bb.6:
	s_mov_b32 s3, 0
	s_mov_b64 s[18:19], 0
	s_load_b64 s[20:21], s[0:1], 0x68
	s_cbranch_execz .LBB130_10
	s_branch .LBB130_11
.LBB130_7:
	s_mul_i32 s7, s2, s7
	s_mul_hi_u32 s15, s2, s6
	s_mul_i32 s6, s2, s6
	s_add_i32 s7, s15, s7
	s_delay_alu instid0(SALU_CYCLE_1) | instskip(NEXT) | instid1(SALU_CYCLE_1)
	s_lshl_b64 s[6:7], s[6:7], 2
	s_add_u32 s6, s4, s6
	s_addc_u32 s7, s5, s7
	s_load_b32 s15, s[6:7], 0x0
	s_load_b128 s[16:19], s[0:1], 0x58
	s_cbranch_execnz .LBB130_2
.LBB130_8:
	s_waitcnt lgkmcnt(0)
	s_mov_b32 s15, s4
	s_and_not1_b32 vcc_lo, exec_lo, s3
	s_cbranch_vccz .LBB130_3
	s_branch .LBB130_4
.LBB130_9:
	s_mov_b32 s3, -1
                                        ; implicit-def: $sgpr18_sgpr19
	s_load_b64 s[20:21], s[0:1], 0x68
.LBB130_10:
	s_mov_b32 s3, 0
	s_delay_alu instid0(SALU_CYCLE_1) | instskip(NEXT) | instid1(SALU_CYCLE_1)
	s_lshl_b64 s[4:5], s[2:3], 3
	s_add_u32 s4, s8, s4
	s_addc_u32 s5, s9, s5
	s_lshl_b64 s[6:7], s[10:11], 2
	s_load_b64 s[4:5], s[4:5], 0x0
	s_waitcnt lgkmcnt(0)
	s_add_u32 s18, s4, s6
	s_addc_u32 s19, s5, s7
.LBB130_11:
	s_clause 0x1
	s_load_b128 s[4:7], s[0:1], 0x38
	s_load_b64 s[8:9], s[0:1], 0x48
	s_and_not1_b32 vcc_lo, exec_lo, s22
	s_cbranch_vccnz .LBB130_13
; %bb.12:
	s_lshl_b64 s[10:11], s[2:3], 3
	s_waitcnt lgkmcnt(0)
	s_add_u32 s4, s4, s10
	s_addc_u32 s5, s5, s11
	s_lshl_b64 s[6:7], s[6:7], 2
	s_load_b64 s[4:5], s[4:5], 0x0
	s_waitcnt lgkmcnt(0)
	s_add_u32 s4, s4, s6
	s_addc_u32 s5, s5, s7
	s_branch .LBB130_14
.LBB130_13:
	s_waitcnt lgkmcnt(0)
	s_mov_b64 s[4:5], 0
.LBB130_14:
	s_lshl_b64 s[6:7], s[2:3], 3
	s_load_b128 s[0:3], s[0:1], 0x70
	s_add_u32 s6, s20, s6
	s_addc_u32 s7, s21, s7
	v_bfe_u32 v9, v0, 10, 10
	s_load_b64 s[6:7], s[6:7], 0x0
	v_and_b32_e32 v8, 0x3ff, v0
	s_waitcnt lgkmcnt(0)
	s_lshl_b64 s[0:1], s[0:1], 2
	s_delay_alu instid0(SALU_CYCLE_1) | instskip(SKIP_2) | instid1(SALU_CYCLE_1)
	s_add_u32 s20, s6, s0
	s_addc_u32 s21, s7, s1
	s_lshl_b32 s6, s14, 5
	s_mul_i32 s0, s6, s3
	s_mul_hi_u32 s1, s6, s2
	s_ashr_i32 s7, s6, 31
	s_add_i32 s1, s1, s0
	s_mul_i32 s10, s7, s2
	s_mul_i32 s0, s6, s2
	s_add_i32 s1, s1, s10
	s_delay_alu instid0(SALU_CYCLE_1)
	s_lshl_b64 s[10:11], s[0:1], 2
	v_cmp_eq_u32_e64 s0, 0, v9
	s_add_u32 s1, s20, s10
	s_addc_u32 s10, s21, s11
	s_and_not1_b32 vcc_lo, exec_lo, s17
	s_mov_b32 s11, -1
	s_cbranch_vccnz .LBB130_18
; %bb.15:
	s_mov_b32 s11, 0
	s_and_saveexec_b32 s14, s0
	s_cbranch_execz .LBB130_17
; %bb.16:
	v_mad_u64_u32 v[0:1], null, v8, s2, 0
	s_delay_alu instid0(VALU_DEP_1) | instskip(NEXT) | instid1(VALU_DEP_1)
	v_mad_u64_u32 v[2:3], null, v8, s3, v[1:2]
	v_mov_b32_e32 v1, v2
	s_delay_alu instid0(VALU_DEP_1) | instskip(NEXT) | instid1(VALU_DEP_1)
	v_lshlrev_b64 v[0:1], 2, v[0:1]
	v_add_co_u32 v0, vcc_lo, s1, v0
	s_delay_alu instid0(VALU_DEP_2)
	v_add_co_ci_u32_e32 v1, vcc_lo, s10, v1, vcc_lo
	global_load_b32 v2, v[0:1], off
	s_waitcnt vmcnt(0)
	v_mul_f32_e32 v2, s16, v2
	global_store_b32 v[0:1], v2, off
.LBB130_17:
	s_or_b32 exec_lo, exec_lo, s14
.LBB130_18:
	s_delay_alu instid0(SALU_CYCLE_1)
	s_and_not1_b32 vcc_lo, exec_lo, s11
	s_cbranch_vccnz .LBB130_45
; %bb.19:
	v_mov_b32_e32 v10, 0
	v_cmp_eq_u32_e64 s0, 0, v9
	s_delay_alu instid0(VALU_DEP_1)
	s_and_saveexec_b32 s11, s0
	s_cbranch_execz .LBB130_23
; %bb.20:
	v_cmp_eq_f32_e64 s14, s16, 0
	v_mov_b32_e32 v10, 0
	s_delay_alu instid0(VALU_DEP_2)
	s_and_b32 vcc_lo, exec_lo, s14
	s_cbranch_vccnz .LBB130_22
; %bb.21:
	v_mad_u64_u32 v[0:1], null, v8, s2, 0
	s_delay_alu instid0(VALU_DEP_1) | instskip(NEXT) | instid1(VALU_DEP_1)
	v_mad_u64_u32 v[2:3], null, v8, s3, v[1:2]
	v_mov_b32_e32 v1, v2
	s_delay_alu instid0(VALU_DEP_1) | instskip(NEXT) | instid1(VALU_DEP_1)
	v_lshlrev_b64 v[0:1], 2, v[0:1]
	v_add_co_u32 v0, vcc_lo, s1, v0
	s_delay_alu instid0(VALU_DEP_2)
	v_add_co_ci_u32_e32 v1, vcc_lo, s10, v1, vcc_lo
	global_load_b32 v0, v[0:1], off
	s_waitcnt vmcnt(0)
	v_mul_f32_e32 v10, s16, v0
.LBB130_22:
	v_mad_u64_u32 v[0:1], null, v8, s8, 0
	s_mul_hi_u32 s14, s6, s8
	s_mul_i32 s17, s7, s8
	s_mul_i32 s8, s6, s8
	s_delay_alu instid0(VALU_DEP_1) | instskip(SKIP_1) | instid1(SALU_CYCLE_1)
	v_mad_u64_u32 v[2:3], null, v8, s9, v[1:2]
	s_mul_i32 s9, s6, s9
	s_add_i32 s9, s14, s9
	s_delay_alu instid0(SALU_CYCLE_1) | instskip(NEXT) | instid1(SALU_CYCLE_1)
	s_add_i32 s9, s9, s17
	s_lshl_b64 s[8:9], s[8:9], 2
	s_delay_alu instid0(VALU_DEP_1) | instskip(SKIP_2) | instid1(VALU_DEP_1)
	v_mov_b32_e32 v1, v2
	s_add_u32 s4, s4, s8
	s_addc_u32 s5, s5, s9
	v_lshlrev_b64 v[0:1], 2, v[0:1]
	s_delay_alu instid0(VALU_DEP_1) | instskip(NEXT) | instid1(VALU_DEP_2)
	v_add_co_u32 v0, vcc_lo, s4, v0
	v_add_co_ci_u32_e32 v1, vcc_lo, s5, v1, vcc_lo
	flat_load_b32 v0, v[0:1]
	v_lshlrev_b32_e32 v1, 2, v8
	s_waitcnt vmcnt(0) lgkmcnt(0)
	ds_store_b32 v1, v0 offset:5120
.LBB130_23:
	s_or_b32 exec_lo, exec_lo, s11
	v_mad_u64_u32 v[0:1], null, v9, s12, 0
	s_add_u32 s4, s12, 1
	s_addc_u32 s5, s13, 0
	s_mul_i32 s7, s4, s7
	s_mul_hi_u32 s8, s4, s6
	s_mul_i32 s5, s5, s6
	s_add_i32 s7, s8, s7
	s_delay_alu instid0(VALU_DEP_1)
	v_mad_u64_u32 v[2:3], null, v9, s13, v[1:2]
	s_mul_i32 s4, s4, s6
	s_add_i32 s5, s7, s5
	v_lshlrev_b32_e32 v11, 2, v8
	s_lshl_b64 s[4:5], s[4:5], 2
	s_mul_i32 s11, s13, 12
	s_add_u32 s4, s18, s4
	s_delay_alu instid0(VALU_DEP_2) | instskip(SKIP_2) | instid1(VALU_DEP_1)
	v_mov_b32_e32 v1, v2
	s_addc_u32 s5, s19, s5
	s_mul_hi_u32 s14, s12, 12
                                        ; implicit-def: $sgpr6_sgpr7
                                        ; implicit-def: $sgpr8_sgpr9
	v_lshlrev_b64 v[0:1], 2, v[0:1]
	s_delay_alu instid0(VALU_DEP_1) | instskip(NEXT) | instid1(VALU_DEP_2)
	v_add_co_u32 v0, vcc_lo, s4, v0
	v_add_co_ci_u32_e32 v1, vcc_lo, s5, v1, vcc_lo
	s_mul_i32 s4, s12, 12
	s_delay_alu instid0(VALU_DEP_2) | instskip(NEXT) | instid1(VALU_DEP_2)
	v_add_co_u32 v0, vcc_lo, v0, v11
	v_add_co_ci_u32_e32 v1, vcc_lo, 0, v1, vcc_lo
	s_mov_b32 s5, exec_lo
	v_cmpx_lt_u32_e32 15, v8
	s_xor_b32 s17, exec_lo, s5
; %bb.24:
	s_lshl_b64 s[6:7], s[12:13], 2
	s_lshl_b64 s[8:9], s[12:13], 3
	s_add_i32 s5, s14, s11
; %bb.25:
	s_or_saveexec_b32 s17, s17
	v_mov_b32_e32 v2, s4
	v_mov_b32_e32 v4, s8
	v_dual_mov_b32 v6, s6 :: v_dual_mov_b32 v7, s7
	v_dual_mov_b32 v3, s5 :: v_dual_lshlrev_b32 v12, 5, v9
	v_mov_b32_e32 v5, s9
	s_xor_b32 exec_lo, exec_lo, s17
	s_cbranch_execz .LBB130_27
; %bb.26:
	flat_load_b32 v4, v[0:1]
	v_or_b32_e32 v2, v12, v8
	s_lshl_b64 s[6:7], s[12:13], 4
	s_add_i32 s5, s14, s11
	s_lshl_b64 s[8:9], s[12:13], 3
	s_delay_alu instid0(VALU_DEP_1)
	v_lshlrev_b32_e32 v13, 2, v2
	v_add_co_u32 v2, vcc_lo, v0, s6
	v_add_co_ci_u32_e32 v3, vcc_lo, s7, v1, vcc_lo
	s_waitcnt vmcnt(0) lgkmcnt(0)
	ds_store_b32 v13, v4
	flat_load_b32 v4, v[2:3]
	v_add_co_u32 v2, vcc_lo, v2, s6
	v_add_co_ci_u32_e32 v3, vcc_lo, s7, v3, vcc_lo
	s_waitcnt vmcnt(0) lgkmcnt(0)
	ds_store_b32 v13, v4 offset:512
	flat_load_b32 v4, v[2:3]
	v_add_co_u32 v2, vcc_lo, v2, s6
	v_add_co_ci_u32_e32 v3, vcc_lo, s7, v3, vcc_lo
	s_lshl_b64 s[6:7], s[12:13], 2
	s_delay_alu instid0(SALU_CYCLE_1)
	v_dual_mov_b32 v6, s6 :: v_dual_mov_b32 v7, s7
	s_waitcnt vmcnt(0) lgkmcnt(0)
	ds_store_b32 v13, v4 offset:1024
	flat_load_b32 v14, v[2:3]
	v_dual_mov_b32 v2, s4 :: v_dual_mov_b32 v3, s5
	v_dual_mov_b32 v4, s8 :: v_dual_mov_b32 v5, s9
	s_waitcnt vmcnt(0) lgkmcnt(0)
	ds_store_b32 v13, v14 offset:1536
.LBB130_27:
	s_or_b32 exec_lo, exec_lo, s17
	s_lshl_b64 s[4:5], s[12:13], 6
	v_lshlrev_b64 v[6:7], 2, v[6:7]
	v_add_co_u32 v13, vcc_lo, v0, s4
	v_add_co_ci_u32_e32 v14, vcc_lo, s5, v1, vcc_lo
	v_add_lshl_u32 v0, v12, v8, 2
	s_delay_alu instid0(VALU_DEP_3) | instskip(SKIP_4) | instid1(VALU_DEP_1)
	v_add_co_u32 v6, vcc_lo, v13, v6
	flat_load_b32 v1, v[13:14]
	v_add_co_ci_u32_e32 v7, vcc_lo, v14, v7, vcc_lo
	v_lshlrev_b64 v[4:5], 2, v[4:5]
	s_mov_b32 s4, exec_lo
	v_add_co_u32 v4, vcc_lo, v13, v4
	s_delay_alu instid0(VALU_DEP_2)
	v_add_co_ci_u32_e32 v5, vcc_lo, v14, v5, vcc_lo
	s_waitcnt vmcnt(0) lgkmcnt(0)
	ds_store_b32 v0, v1 offset:2048
	flat_load_b32 v1, v[6:7]
	s_waitcnt vmcnt(0) lgkmcnt(0)
	ds_store_b32 v0, v1 offset:2560
	flat_load_b32 v4, v[4:5]
	v_lshlrev_b64 v[1:2], 2, v[2:3]
	s_delay_alu instid0(VALU_DEP_1) | instskip(NEXT) | instid1(VALU_DEP_2)
	v_add_co_u32 v1, vcc_lo, v13, v1
	v_add_co_ci_u32_e32 v2, vcc_lo, v14, v2, vcc_lo
	s_waitcnt vmcnt(0) lgkmcnt(0)
	ds_store_b32 v0, v4 offset:3072
	flat_load_b32 v2, v[1:2]
	v_sub_nc_u32_e32 v1, v8, v9
	v_lshlrev_b32_e32 v4, 5, v8
	s_delay_alu instid0(VALU_DEP_2) | instskip(NEXT) | instid1(VALU_DEP_2)
	v_sub_nc_u32_e32 v3, 0, v1
	v_add_lshl_u32 v5, v9, v4, 2
	s_delay_alu instid0(VALU_DEP_2)
	v_max_i32_e32 v6, v1, v3
	v_add_nc_u32_e32 v1, 0x800, v0
	s_waitcnt vmcnt(0) lgkmcnt(0)
	ds_store_b32 v0, v2 offset:3584
	s_waitcnt lgkmcnt(0)
	s_waitcnt_vscnt null, 0x0
	s_barrier
	buffer_gl0_inv
	v_cmpx_lt_u32_e32 16, v6
	s_cbranch_execz .LBB130_29
; %bb.28:
	ds_load_b32 v2, v5 offset:64
	s_waitcnt lgkmcnt(0)
	ds_store_b32 v1, v2
.LBB130_29:
	s_or_b32 exec_lo, exec_lo, s4
	v_add_nc_u32_e32 v2, 0xa00, v0
	s_mov_b32 s4, exec_lo
	v_cmpx_lt_u32_e32 20, v6
	s_cbranch_execz .LBB130_31
; %bb.30:
	ds_load_b32 v3, v5 offset:80
	s_waitcnt lgkmcnt(0)
	ds_store_b32 v2, v3
.LBB130_31:
	s_or_b32 exec_lo, exec_lo, s4
	v_add_nc_u32_e32 v3, 0xc00, v0
	s_mov_b32 s4, exec_lo
	;; [unrolled: 10-line block ×4, first 2 shown]
	s_delay_alu instid0(VALU_DEP_1)
	v_lshlrev_b32_e32 v7, 2, v7
	v_cmpx_ge_u32_e64 v8, v9
	s_cbranch_execz .LBB130_37
; %bb.36:
	ds_load_b32 v13, v5
	s_waitcnt lgkmcnt(0)
	ds_store_b32 v7, v13
.LBB130_37:
	s_or_b32 exec_lo, exec_lo, s4
	s_delay_alu instid0(SALU_CYCLE_1)
	s_mov_b32 s4, exec_lo
	v_cmpx_lt_u32_e32 4, v6
	s_cbranch_execz .LBB130_39
; %bb.38:
	ds_load_b32 v13, v5 offset:16
	s_waitcnt lgkmcnt(0)
	ds_store_b32 v0, v13 offset:512
.LBB130_39:
	s_or_b32 exec_lo, exec_lo, s4
	s_delay_alu instid0(SALU_CYCLE_1)
	s_mov_b32 s4, exec_lo
	v_cmpx_lt_u32_e32 8, v6
	s_cbranch_execz .LBB130_41
; %bb.40:
	ds_load_b32 v13, v5 offset:32
	s_waitcnt lgkmcnt(0)
	ds_store_b32 v0, v13 offset:1024
.LBB130_41:
	s_or_b32 exec_lo, exec_lo, s4
	v_add3_u32 v12, v12, v8, 0x180
	v_cmp_lt_u32_e32 vcc_lo, 12, v6
	s_delay_alu instid0(VALU_DEP_2)
	v_lshlrev_b32_e32 v6, 2, v12
	s_and_saveexec_b32 s4, vcc_lo
	s_cbranch_execz .LBB130_43
; %bb.42:
	ds_load_b32 v5, v5 offset:48
	s_waitcnt lgkmcnt(0)
	ds_store_b32 v6, v5
.LBB130_43:
	s_or_b32 exec_lo, exec_lo, s4
	v_lshlrev_b32_e32 v5, 2, v9
	s_waitcnt lgkmcnt(0)
	s_barrier
	buffer_gl0_inv
	v_add_nc_u32_e32 v9, 0x1400, v5
	ds_load_2addr_b32 v[12:13], v9 offset1:4
	ds_load_b32 v18, v7
	ds_load_2addr_stride64_b32 v[14:15], v0 offset0:2 offset1:4
	ds_load_2addr_b32 v[16:17], v9 offset0:8 offset1:12
	ds_load_b32 v19, v6
	ds_load_2addr_b32 v[5:6], v9 offset0:16 offset1:20
	s_waitcnt lgkmcnt(4)
	v_fma_f32 v12, v18, v12, 0
	ds_load_b32 v18, v1
	ds_load_b32 v2, v2
	;; [unrolled: 1-line block ×3, first 2 shown]
	ds_load_2addr_b32 v[0:1], v9 offset0:24 offset1:28
	ds_load_b32 v4, v4
	s_waitcnt lgkmcnt(8)
	v_fmac_f32_e32 v12, v14, v13
	s_waitcnt lgkmcnt(7)
	s_delay_alu instid0(VALU_DEP_1) | instskip(SKIP_1) | instid1(VALU_DEP_1)
	v_fmac_f32_e32 v12, v15, v16
	s_waitcnt lgkmcnt(6)
	v_fmac_f32_e32 v12, v19, v17
	s_waitcnt lgkmcnt(4)
	s_delay_alu instid0(VALU_DEP_1) | instskip(SKIP_1) | instid1(VALU_DEP_1)
	v_fmac_f32_e32 v12, v18, v5
	;; [unrolled: 5-line block ×3, first 2 shown]
	s_waitcnt lgkmcnt(0)
	v_fmac_f32_e32 v12, v4, v1
	ds_store_b32 v7, v12 offset:4096
	s_waitcnt lgkmcnt(0)
	s_barrier
	buffer_gl0_inv
	s_and_saveexec_b32 s4, s0
	s_cbranch_execz .LBB130_45
; %bb.44:
	v_add_nc_u32_e32 v2, 0x1000, v11
	v_mad_u64_u32 v[4:5], null, v8, s2, 0
	v_cmp_neq_f32_e64 vcc_lo, s16, 0
	ds_load_2addr_b32 v[0:1], v2 offset1:32
	ds_load_2addr_b32 v[2:3], v2 offset0:64 offset1:96
	s_waitcnt lgkmcnt(1)
	v_add_f32_e32 v6, 0, v0
	s_delay_alu instid0(VALU_DEP_1) | instskip(NEXT) | instid1(VALU_DEP_1)
	v_dual_mov_b32 v0, v5 :: v_dual_add_f32 v1, v6, v1
	v_mad_u64_u32 v[5:6], null, v8, s3, v[0:1]
	s_waitcnt lgkmcnt(0)
	v_add_f32_e32 v0, v1, v2
	s_delay_alu instid0(VALU_DEP_1) | instskip(NEXT) | instid1(VALU_DEP_1)
	v_add_f32_e32 v0, v0, v3
	v_mul_f32_e32 v2, s15, v0
	v_fmac_f32_e32 v10, s15, v0
	v_lshlrev_b64 v[0:1], 2, v[4:5]
	s_delay_alu instid0(VALU_DEP_2) | instskip(NEXT) | instid1(VALU_DEP_2)
	v_cndmask_b32_e32 v2, v2, v10, vcc_lo
	v_add_co_u32 v0, vcc_lo, s1, v0
	s_delay_alu instid0(VALU_DEP_3)
	v_add_co_ci_u32_e32 v1, vcc_lo, s10, v1, vcc_lo
	global_store_b32 v[0:1], v2, off
.LBB130_45:
	s_nop 0
	s_sendmsg sendmsg(MSG_DEALLOC_VGPRS)
	s_endpgm
	.section	.rodata,"a",@progbits
	.p2align	6, 0x0
	.amdhsa_kernel _ZL50rocblas_symv_kernel_upper_double_buffered_diagonalILi32ELi4E24rocblas_internal_val_ptrIfEPKPKfPKPfEvbiT1_lT2_lllSA_lllS9_lT3_llli
		.amdhsa_group_segment_fixed_size 5248
		.amdhsa_private_segment_fixed_size 0
		.amdhsa_kernarg_size 140
		.amdhsa_user_sgpr_count 14
		.amdhsa_user_sgpr_dispatch_ptr 0
		.amdhsa_user_sgpr_queue_ptr 0
		.amdhsa_user_sgpr_kernarg_segment_ptr 1
		.amdhsa_user_sgpr_dispatch_id 0
		.amdhsa_user_sgpr_private_segment_size 0
		.amdhsa_wavefront_size32 1
		.amdhsa_uses_dynamic_stack 0
		.amdhsa_enable_private_segment 0
		.amdhsa_system_sgpr_workgroup_id_x 1
		.amdhsa_system_sgpr_workgroup_id_y 0
		.amdhsa_system_sgpr_workgroup_id_z 1
		.amdhsa_system_sgpr_workgroup_info 0
		.amdhsa_system_vgpr_workitem_id 1
		.amdhsa_next_free_vgpr 20
		.amdhsa_next_free_sgpr 23
		.amdhsa_reserve_vcc 1
		.amdhsa_float_round_mode_32 0
		.amdhsa_float_round_mode_16_64 0
		.amdhsa_float_denorm_mode_32 3
		.amdhsa_float_denorm_mode_16_64 3
		.amdhsa_dx10_clamp 1
		.amdhsa_ieee_mode 1
		.amdhsa_fp16_overflow 0
		.amdhsa_workgroup_processor_mode 1
		.amdhsa_memory_ordered 1
		.amdhsa_forward_progress 0
		.amdhsa_shared_vgpr_count 0
		.amdhsa_exception_fp_ieee_invalid_op 0
		.amdhsa_exception_fp_denorm_src 0
		.amdhsa_exception_fp_ieee_div_zero 0
		.amdhsa_exception_fp_ieee_overflow 0
		.amdhsa_exception_fp_ieee_underflow 0
		.amdhsa_exception_fp_ieee_inexact 0
		.amdhsa_exception_int_div_zero 0
	.end_amdhsa_kernel
	.section	.text._ZL50rocblas_symv_kernel_upper_double_buffered_diagonalILi32ELi4E24rocblas_internal_val_ptrIfEPKPKfPKPfEvbiT1_lT2_lllSA_lllS9_lT3_llli,"axG",@progbits,_ZL50rocblas_symv_kernel_upper_double_buffered_diagonalILi32ELi4E24rocblas_internal_val_ptrIfEPKPKfPKPfEvbiT1_lT2_lllSA_lllS9_lT3_llli,comdat
.Lfunc_end130:
	.size	_ZL50rocblas_symv_kernel_upper_double_buffered_diagonalILi32ELi4E24rocblas_internal_val_ptrIfEPKPKfPKPfEvbiT1_lT2_lllSA_lllS9_lT3_llli, .Lfunc_end130-_ZL50rocblas_symv_kernel_upper_double_buffered_diagonalILi32ELi4E24rocblas_internal_val_ptrIfEPKPKfPKPfEvbiT1_lT2_lllSA_lllS9_lT3_llli
                                        ; -- End function
	.section	.AMDGPU.csdata,"",@progbits
; Kernel info:
; codeLenInByte = 2228
; NumSgprs: 25
; NumVgprs: 20
; ScratchSize: 0
; MemoryBound: 0
; FloatMode: 240
; IeeeMode: 1
; LDSByteSize: 5248 bytes/workgroup (compile time only)
; SGPRBlocks: 3
; VGPRBlocks: 2
; NumSGPRsForWavesPerEU: 25
; NumVGPRsForWavesPerEU: 20
; Occupancy: 16
; WaveLimiterHint : 1
; COMPUTE_PGM_RSRC2:SCRATCH_EN: 0
; COMPUTE_PGM_RSRC2:USER_SGPR: 14
; COMPUTE_PGM_RSRC2:TRAP_HANDLER: 0
; COMPUTE_PGM_RSRC2:TGID_X_EN: 1
; COMPUTE_PGM_RSRC2:TGID_Y_EN: 0
; COMPUTE_PGM_RSRC2:TGID_Z_EN: 1
; COMPUTE_PGM_RSRC2:TIDIG_COMP_CNT: 1
	.section	.text._ZL54rocblas_symv_kernel_upper_double_buffered_non_diagonalILi32ELi4ELi4E24rocblas_internal_val_ptrIfEPKPKfPKPfEvbiT2_lT3_lllSA_lllT4_llli,"axG",@progbits,_ZL54rocblas_symv_kernel_upper_double_buffered_non_diagonalILi32ELi4ELi4E24rocblas_internal_val_ptrIfEPKPKfPKPfEvbiT2_lT3_lllSA_lllT4_llli,comdat
	.globl	_ZL54rocblas_symv_kernel_upper_double_buffered_non_diagonalILi32ELi4ELi4E24rocblas_internal_val_ptrIfEPKPKfPKPfEvbiT2_lT3_lllSA_lllT4_llli ; -- Begin function _ZL54rocblas_symv_kernel_upper_double_buffered_non_diagonalILi32ELi4ELi4E24rocblas_internal_val_ptrIfEPKPKfPKPfEvbiT2_lT3_lllSA_lllT4_llli
	.p2align	8
	.type	_ZL54rocblas_symv_kernel_upper_double_buffered_non_diagonalILi32ELi4ELi4E24rocblas_internal_val_ptrIfEPKPKfPKPfEvbiT2_lT3_lllSA_lllT4_llli,@function
_ZL54rocblas_symv_kernel_upper_double_buffered_non_diagonalILi32ELi4ELi4E24rocblas_internal_val_ptrIfEPKPKfPKPfEvbiT2_lT3_lllSA_lllT4_llli: ; @_ZL54rocblas_symv_kernel_upper_double_buffered_non_diagonalILi32ELi4ELi4E24rocblas_internal_val_ptrIfEPKPKfPKPfEvbiT2_lT3_lllSA_lllT4_llli
; %bb.0:
	s_clause 0x2
	s_load_b32 s3, s[0:1], 0x0
	s_load_b256 s[4:11], s[0:1], 0x8
	s_load_b64 s[16:17], s[0:1], 0x28
	s_mov_b32 s2, s15
	s_waitcnt lgkmcnt(0)
	s_bitcmp0_b32 s3, 0
	s_mov_b32 s3, 0
	s_cbranch_scc0 .LBB131_2
; %bb.1:
	s_mul_i32 s7, s2, s7
	s_mul_hi_u32 s12, s2, s6
	s_mul_i32 s6, s2, s6
	s_add_i32 s7, s12, s7
	s_delay_alu instid0(SALU_CYCLE_1) | instskip(NEXT) | instid1(SALU_CYCLE_1)
	s_lshl_b64 s[6:7], s[6:7], 2
	s_add_u32 s6, s4, s6
	s_addc_u32 s7, s5, s7
	s_load_b32 s12, s[6:7], 0x0
	s_and_not1_b32 vcc_lo, exec_lo, s3
	s_cbranch_vccz .LBB131_3
	s_branch .LBB131_4
.LBB131_2:
                                        ; implicit-def: $sgpr12
.LBB131_3:
	s_waitcnt lgkmcnt(0)
	s_mov_b32 s12, s4
.LBB131_4:
	s_waitcnt lgkmcnt(0)
	v_cmp_eq_f32_e64 s3, s12, 0
	s_delay_alu instid0(VALU_DEP_1)
	s_and_b32 vcc_lo, exec_lo, s3
	s_cbranch_vccnz .LBB131_24
; %bb.5:
	s_load_b32 s20, s[0:1], 0x84
	s_cmp_eq_u32 s13, 0
	s_waitcnt lgkmcnt(0)
	v_cvt_f32_u32_e32 v1, s20
	s_delay_alu instid0(VALU_DEP_1) | instskip(SKIP_2) | instid1(VALU_DEP_1)
	v_rcp_iflag_f32_e32 v1, v1
	s_waitcnt_depctr 0xfff
	v_mul_f32_e32 v1, 0x4f7ffffe, v1
	v_cvt_u32_f32_e32 v1, v1
	s_delay_alu instid0(VALU_DEP_1)
	v_readfirstlane_b32 s6, v1
	s_cbranch_scc1 .LBB131_24
; %bb.6:
	s_clause 0x1
	s_load_b128 s[24:27], s[0:1], 0x38
	s_load_b64 s[4:5], s[0:1], 0x48
	s_sub_i32 s3, 0, s20
	v_bfe_u32 v1, v0, 10, 10
	s_mul_i32 s7, s3, s6
	s_mov_b32 s3, 0
	s_mul_hi_u32 s7, s6, s7
	s_lshl_b64 s[2:3], s[2:3], 3
	s_add_i32 s28, s6, s7
	s_add_u32 s6, s8, s2
	s_addc_u32 s7, s9, s3
	v_and_b32_e32 v24, 0x3ff, v0
	v_cmp_eq_u32_e32 vcc_lo, 0, v1
	s_waitcnt lgkmcnt(0)
	s_add_u32 s8, s24, s2
	s_addc_u32 s9, s25, s3
	s_lshl_b64 s[22:23], s[26:27], 2
	s_load_b64 s[8:9], s[8:9], 0x0
	s_load_b64 s[18:19], s[0:1], 0x58
	s_waitcnt lgkmcnt(0)
	s_add_u32 s21, s8, s22
	s_addc_u32 s22, s9, s23
	s_add_u32 s8, s18, s2
	s_addc_u32 s9, s19, s3
	s_lshl_b32 s15, s13, 5
	s_mul_hi_u32 s3, s13, s28
	s_ashr_i32 s18, s15, 31
	s_and_saveexec_b32 s19, vcc_lo
	s_cbranch_execz .LBB131_8
; %bb.7:
	v_mad_u64_u32 v[2:3], null, v24, s4, 0
	s_mul_i32 s2, s15, s5
	s_mul_hi_u32 s23, s15, s4
	s_mul_i32 s25, s18, s4
	s_add_i32 s2, s23, s2
	s_mul_i32 s24, s15, s4
	s_add_i32 s25, s2, s25
	s_delay_alu instid0(VALU_DEP_1) | instskip(SKIP_1) | instid1(SALU_CYCLE_1)
	v_mov_b32_e32 v0, v3
	s_lshl_b64 s[24:25], s[24:25], 2
	s_add_u32 s2, s21, s24
	s_addc_u32 s23, s22, s25
	s_delay_alu instid0(VALU_DEP_1) | instskip(NEXT) | instid1(VALU_DEP_1)
	v_mad_u64_u32 v[3:4], null, v24, s5, v[0:1]
	v_lshlrev_b64 v[2:3], 2, v[2:3]
	s_delay_alu instid0(VALU_DEP_1) | instskip(NEXT) | instid1(VALU_DEP_1)
	v_add_co_u32 v2, s2, s2, v2
	v_add_co_ci_u32_e64 v3, s2, s23, v3, s2
	global_load_b32 v0, v[2:3], off
	v_lshlrev_b32_e32 v2, 2, v24
	s_waitcnt vmcnt(0)
	ds_store_b32 v2, v0 offset:3072
.LBB131_8:
	s_or_b32 exec_lo, exec_lo, s19
	s_mul_i32 s2, s3, s20
	s_add_i32 s19, s3, 1
	s_sub_i32 s2, s13, s2
	s_delay_alu instid0(SALU_CYCLE_1)
	s_sub_i32 s23, s2, s20
	s_cmp_ge_u32 s2, s20
	s_cselect_b32 s3, s19, s3
	s_cselect_b32 s2, s23, s2
	s_add_i32 s19, s3, 1
	s_cmp_ge_u32 s2, s20
	s_cselect_b32 s23, s19, s3
	s_add_i32 s2, s20, -1
	s_mov_b32 s19, s23
	s_cmp_lg_u32 s14, s2
	s_cbranch_scc1 .LBB131_10
; %bb.9:
	s_mul_i32 s2, s23, s20
	s_delay_alu instid0(SALU_CYCLE_1) | instskip(NEXT) | instid1(SALU_CYCLE_1)
	s_sub_i32 s2, s13, s2
	s_add_i32 s19, s2, s23
.LBB131_10:
	s_delay_alu instid0(SALU_CYCLE_1)
	s_cmp_eq_u32 s19, 0
	s_cbranch_scc1 .LBB131_24
; %bb.11:
	s_load_b128 s[0:3], s[0:1], 0x60
	s_load_b64 s[8:9], s[8:9], 0x0
	v_lshl_add_u32 v0, v1, 5, v24
	v_dual_mov_b32 v27, 0 :: v_dual_and_b32 v4, 15, v24
	v_dual_mov_b32 v28, 0 :: v_dual_mov_b32 v29, 0
	s_delay_alu instid0(VALU_DEP_2) | instskip(NEXT) | instid1(VALU_DEP_4)
	v_dual_mov_b32 v5, 0 :: v_dual_lshlrev_b32 v26, 2, v4
	v_lshrrev_b32_e32 v25, 4, v0
	s_mov_b32 s20, 0
	s_waitcnt lgkmcnt(0)
	s_barrier
	buffer_gl0_inv
	s_lshl_b64 s[24:25], s[0:1], 2
	s_delay_alu instid0(SALU_CYCLE_1)
	s_add_u32 s1, s8, s24
	s_addc_u32 s13, s9, s25
	s_cmp_lt_i32 s19, 1
	s_cbranch_scc1 .LBB131_21
; %bb.12:
	s_load_b64 s[6:7], s[6:7], 0x0
	v_dual_mov_b32 v5, 0 :: v_dual_lshlrev_b32 v6, 2, v25
	s_mul_i32 s14, s14, s23
	v_mad_u64_u32 v[8:9], null, v4, s4, 0
	s_lshl_b32 s24, s14, 5
	s_delay_alu instid0(VALU_DEP_2)
	v_mad_u64_u32 v[0:1], null, v6, s16, v[4:5]
	s_mul_i32 s0, s24, s3
	s_mul_hi_u32 s8, s24, s2
	s_ashr_i32 s25, s24, 31
	s_add_i32 s0, s8, s0
	s_mul_i32 s8, s25, s2
	v_lshl_add_u32 v32, v25, 4, 0xc00
	s_add_i32 s9, s0, s8
	s_mul_i32 s8, s24, s2
	v_mad_u64_u32 v[2:3], null, v6, s17, v[1:2]
	s_lshl_b64 s[8:9], s[8:9], 2
	v_lshl_add_u32 v33, v24, 2, 0x800
	s_add_u32 s8, s1, s8
	s_addc_u32 s9, s13, s9
	s_lshl_b64 s[10:11], s[10:11], 2
	v_mov_b32_e32 v28, v5
	s_waitcnt lgkmcnt(0)
	s_add_u32 s0, s6, s10
	s_mul_i32 s6, s15, s17
	s_mul_hi_u32 s10, s15, s16
	s_addc_u32 s11, s7, s11
	s_add_i32 s6, s10, s6
	s_mul_i32 s7, s18, s16
	v_dual_mov_b32 v1, v2 :: v_dual_mov_b32 v2, v9
	s_add_i32 s7, s6, s7
	s_mul_i32 s6, s15, s16
	s_delay_alu instid0(SALU_CYCLE_1) | instskip(NEXT) | instid1(VALU_DEP_1)
	s_lshl_b64 s[6:7], s[6:7], 2
	v_lshlrev_b64 v[6:7], 2, v[0:1]
	s_add_u32 s0, s0, s6
	s_addc_u32 s11, s11, s7
	s_lshl_b64 s[6:7], s[24:25], 2
	v_mad_u64_u32 v[9:10], null, v4, s5, v[2:3]
	s_add_u32 s10, s0, s6
	s_mul_i32 s0, s24, s5
	s_mul_hi_u32 s6, s24, s4
	s_addc_u32 s11, s11, s7
	s_add_i32 s0, s6, s0
	s_mul_i32 s6, s25, s4
	s_delay_alu instid0(VALU_DEP_1)
	v_lshlrev_b64 v[8:9], 2, v[8:9]
	s_add_i32 s7, s0, s6
	s_mul_i32 s6, s24, s4
	v_add_co_u32 v0, s0, s10, v6
	s_lshl_b64 s[6:7], s[6:7], 2
	v_add_co_ci_u32_e64 v1, s0, s11, v7, s0
	s_add_u32 s14, s21, s6
	s_addc_u32 s21, s22, s7
	s_lshl_b64 s[6:7], s[16:17], 2
	s_add_i32 s16, s19, -1
	v_add_co_u32 v2, s0, v0, s6
	s_delay_alu instid0(VALU_DEP_1) | instskip(NEXT) | instid1(VALU_DEP_2)
	v_add_co_ci_u32_e64 v3, s0, s7, v1, s0
	v_add_co_u32 v10, s0, v2, s6
	s_delay_alu instid0(VALU_DEP_1) | instskip(SKIP_1) | instid1(VALU_DEP_1)
	v_add_co_ci_u32_e64 v11, s0, s7, v3, s0
	v_add_co_u32 v12, s0, s14, v8
	v_add_co_ci_u32_e64 v13, s0, s21, v9, s0
	s_delay_alu instid0(VALU_DEP_4) | instskip(NEXT) | instid1(VALU_DEP_1)
	v_add_co_u32 v14, s0, v10, s6
	v_add_co_ci_u32_e64 v15, s0, s7, v11, s0
	global_load_b32 v31, v[12:13], off
	s_clause 0x1
	global_load_b32 v34, v[0:1], off
	global_load_b32 v35, v[2:3], off
	;; [unrolled: 1-line block ×4, first 2 shown]
	v_or_b32_e32 v12, 16, v4
	v_mad_u64_u32 v[2:3], null, v24, s2, 0
	v_mov_b32_e32 v29, v5
	v_mov_b32_e32 v27, v5
	s_delay_alu instid0(VALU_DEP_4) | instskip(NEXT) | instid1(VALU_DEP_1)
	v_mad_u64_u32 v[0:1], null, v12, s4, 0
	v_mad_u64_u32 v[10:11], null, v12, s5, v[1:2]
	;; [unrolled: 1-line block ×3, first 2 shown]
	v_lshl_or_b32 v3, v25, 7, v26
	s_lshl_b64 s[4:5], s[4:5], 7
	s_delay_alu instid0(VALU_DEP_1) | instskip(NEXT) | instid1(VALU_DEP_3)
	v_dual_mov_b32 v1, v10 :: v_dual_add_nc_u32 v30, 0x800, v3
	v_mov_b32_e32 v3, v11
	v_dual_mov_b32 v11, s9 :: v_dual_mov_b32 v10, s8
	s_delay_alu instid0(VALU_DEP_3) | instskip(SKIP_1) | instid1(VALU_DEP_3)
	v_lshlrev_b64 v[12:13], 2, v[0:1]
	s_lshl_b64 s[8:9], s[2:3], 7
	v_lshlrev_b64 v[14:15], 2, v[2:3]
	s_waitcnt vmcnt(3)
	v_dual_mov_b32 v41, v31 :: v_dual_mov_b32 v38, v34
	s_waitcnt vmcnt(1)
	v_dual_mov_b32 v39, v35 :: v_dual_mov_b32 v40, v36
	s_waitcnt vmcnt(0)
	v_mov_b32_e32 v42, v37
.LBB131_13:                             ; =>This Loop Header: Depth=1
                                        ;     Child Loop BB131_17 Depth 2
	v_add_co_u32 v16, s0, s10, v6
	s_delay_alu instid0(VALU_DEP_1) | instskip(NEXT) | instid1(VALU_DEP_2)
	v_add_co_ci_u32_e64 v17, s0, s11, v7, s0
	v_add_co_u32 v18, s0, v16, s6
	s_delay_alu instid0(VALU_DEP_1) | instskip(NEXT) | instid1(VALU_DEP_2)
	v_add_co_ci_u32_e64 v19, s0, s7, v17, s0
	v_add_co_u32 v20, s0, v18, s6
	s_delay_alu instid0(VALU_DEP_1) | instskip(SKIP_1) | instid1(VALU_DEP_1)
	v_add_co_ci_u32_e64 v21, s0, s7, v19, s0
	v_add_co_u32 v0, s0, s14, v12
	v_add_co_ci_u32_e64 v1, s0, s21, v13, s0
	s_delay_alu instid0(VALU_DEP_4) | instskip(NEXT) | instid1(VALU_DEP_1)
	v_add_co_u32 v22, s0, v20, s6
	v_add_co_ci_u32_e64 v23, s0, s7, v21, s0
	global_load_b32 v43, v[0:1], off
	s_clause 0x3
	global_load_b32 v47, v[16:17], off offset:64
	global_load_b32 v45, v[18:19], off offset:64
	;; [unrolled: 1-line block ×4, first 2 shown]
	ds_load_b128 v[0:3], v32
	s_add_u32 s14, s14, s4
	s_addc_u32 s21, s21, s5
	s_cmp_eq_u32 s20, s16
	s_cbranch_scc1 .LBB131_15
; %bb.14:                               ;   in Loop: Header=BB131_13 Depth=1
	v_add_co_u32 v48, s0, s14, v8
	s_delay_alu instid0(VALU_DEP_1)
	v_add_co_ci_u32_e64 v49, s0, s21, v9, s0
	s_clause 0x3
	global_load_b32 v38, v[16:17], off offset:128
	global_load_b32 v39, v[18:19], off offset:128
	;; [unrolled: 1-line block ×4, first 2 shown]
	global_load_b32 v41, v[48:49], off
.LBB131_15:                             ;   in Loop: Header=BB131_13 Depth=1
	s_waitcnt lgkmcnt(0)
	v_fma_f32 v16, v34, v0, 0
	s_waitcnt vmcnt(3)
	v_fma_f32 v0, v47, v0, 0
	s_waitcnt vmcnt(0)
	s_barrier
	buffer_gl0_inv
	v_fmac_f32_e32 v16, v35, v1
	v_fmac_f32_e32 v0, v45, v1
	s_delay_alu instid0(VALU_DEP_2) | instskip(NEXT) | instid1(VALU_DEP_2)
	v_fmac_f32_e32 v16, v36, v2
	v_fmac_f32_e32 v0, v44, v2
	s_delay_alu instid0(VALU_DEP_2) | instskip(NEXT) | instid1(VALU_DEP_2)
	v_fmac_f32_e32 v16, v37, v3
	v_fmac_f32_e32 v0, v46, v3
	ds_store_2addr_b32 v30, v16, v0 offset1:16
	s_waitcnt lgkmcnt(0)
	s_barrier
	buffer_gl0_inv
	s_and_saveexec_b32 s17, vcc_lo
	s_cbranch_execz .LBB131_19
; %bb.16:                               ;   in Loop: Header=BB131_13 Depth=1
	v_add_co_u32 v0, s0, v10, v14
	s_delay_alu instid0(VALU_DEP_1)
	v_add_co_ci_u32_e64 v1, s0, v11, v15, s0
	s_mov_b32 s22, 0
	global_load_b32 v3, v[0:1], off
	ds_load_2addr_b32 v[16:17], v33 offset1:32
	ds_load_2addr_b32 v[18:19], v33 offset0:64 offset1:96
	ds_load_2addr_b32 v[20:21], v33 offset0:128 offset1:160
	s_waitcnt lgkmcnt(2)
	v_add_f32_e32 v2, 0, v16
	s_delay_alu instid0(VALU_DEP_1) | instskip(SKIP_3) | instid1(VALU_DEP_1)
	v_add_f32_e32 v2, v2, v17
	ds_load_2addr_b32 v[16:17], v33 offset0:192 offset1:224
	s_waitcnt lgkmcnt(2)
	v_add_f32_e32 v2, v2, v18
	v_add_f32_e32 v2, v2, v19
	s_waitcnt lgkmcnt(1)
	s_delay_alu instid0(VALU_DEP_1) | instskip(NEXT) | instid1(VALU_DEP_1)
	v_add_f32_e32 v2, v2, v20
	v_add_f32_e32 v2, v2, v21
	s_waitcnt lgkmcnt(0)
	s_delay_alu instid0(VALU_DEP_1) | instskip(NEXT) | instid1(VALU_DEP_1)
	v_add_f32_e32 v2, v2, v16
	v_add_f32_e32 v2, v2, v17
	s_delay_alu instid0(VALU_DEP_1)
	v_mul_f32_e32 v16, s12, v2
.LBB131_17:                             ;   Parent Loop BB131_13 Depth=1
                                        ; =>  This Inner Loop Header: Depth=2
	s_waitcnt vmcnt(0)
	s_delay_alu instid0(VALU_DEP_1) | instskip(SKIP_4) | instid1(VALU_DEP_2)
	v_add_f32_e32 v2, v3, v16
	global_atomic_cmpswap_b32 v2, v[0:1], v[2:3], off glc
	s_waitcnt vmcnt(0)
	v_cmp_eq_u32_e64 s0, v2, v3
	v_mov_b32_e32 v3, v2
	s_or_b32 s22, s0, s22
	s_delay_alu instid0(SALU_CYCLE_1)
	s_and_not1_b32 exec_lo, exec_lo, s22
	s_cbranch_execnz .LBB131_17
; %bb.18:                               ;   in Loop: Header=BB131_13 Depth=1
	s_or_b32 exec_lo, exec_lo, s22
	v_add_co_u32 v10, s0, v10, s8
	s_delay_alu instid0(VALU_DEP_1)
	v_add_co_ci_u32_e64 v11, s0, s9, v11, s0
.LBB131_19:                             ;   in Loop: Header=BB131_13 Depth=1
	s_or_b32 exec_lo, exec_lo, s17
	v_fmac_f32_e32 v5, v31, v34
	v_fmac_f32_e32 v29, v31, v35
	v_fmac_f32_e32 v28, v31, v36
	v_fmac_f32_e32 v27, v31, v37
	s_add_u32 s10, s10, 0x80
	v_fmac_f32_e32 v5, v43, v47
	v_fmac_f32_e32 v29, v43, v45
	v_fmac_f32_e32 v28, v43, v44
	v_fmac_f32_e32 v27, v43, v46
	s_addc_u32 s11, s11, 0
	s_add_i32 s20, s20, 1
	s_delay_alu instid0(SALU_CYCLE_1)
	s_cmp_eq_u32 s20, s19
	s_cbranch_scc1 .LBB131_21
; %bb.20:                               ;   in Loop: Header=BB131_13 Depth=1
	v_dual_mov_b32 v31, v41 :: v_dual_mov_b32 v34, v38
	v_dual_mov_b32 v35, v39 :: v_dual_mov_b32 v36, v40
	v_mov_b32_e32 v37, v42
	s_branch .LBB131_13
.LBB131_21:
	v_lshl_or_b32 v0, v25, 8, v26
	ds_store_2addr_b32 v0, v5, v29 offset1:16
	ds_store_2addr_b32 v0, v28, v27 offset0:32 offset1:48
	s_waitcnt lgkmcnt(0)
	s_barrier
	buffer_gl0_inv
	s_and_saveexec_b32 s0, vcc_lo
	s_cbranch_execz .LBB131_24
; %bb.22:
	v_mad_u64_u32 v[0:1], null, v24, s2, 0
	s_mul_i32 s0, s15, s3
	s_mul_i32 s18, s18, s2
	v_add_nc_u32_e32 v5, 1, v24
	v_add_nc_u32_e32 v7, 3, v24
	;; [unrolled: 1-line block ×4, first 2 shown]
	v_mad_u64_u32 v[2:3], null, v24, s3, v[1:2]
	s_mul_hi_u32 s3, s15, s2
	s_mul_i32 s2, s15, s2
	s_add_i32 s0, s3, s0
	v_add_nc_u32_e32 v11, 6, v24
	s_add_i32 s3, s0, s18
	s_delay_alu instid0(VALU_DEP_2) | instskip(SKIP_2) | instid1(SALU_CYCLE_1)
	v_dual_mov_b32 v1, v2 :: v_dual_add_nc_u32 v12, 7, v24
	v_lshlrev_b32_e32 v2, 4, v24
	s_lshl_b64 s[2:3], s[2:3], 2
	s_add_u32 s0, s1, s2
	s_delay_alu instid0(VALU_DEP_2)
	v_lshlrev_b64 v[0:1], 2, v[0:1]
	s_addc_u32 s1, s13, s3
	v_or_b32_e32 v4, v4, v2
	v_and_or_b32 v5, v5, 15, v2
	v_and_or_b32 v7, v7, 15, v2
	;; [unrolled: 1-line block ×3, first 2 shown]
	v_add_co_u32 v0, vcc_lo, s0, v0
	v_add_co_ci_u32_e32 v1, vcc_lo, s1, v1, vcc_lo
	v_lshlrev_b32_e32 v8, 2, v4
	v_and_or_b32 v10, v10, 15, v2
	v_and_or_b32 v11, v11, 15, v2
	global_load_b32 v3, v[0:1], off
	v_and_or_b32 v12, v12, 15, v2
	ds_load_b32 v8, v8
	v_lshlrev_b32_e32 v5, 2, v5
	v_lshlrev_b32_e32 v7, 2, v7
	;; [unrolled: 1-line block ×5, first 2 shown]
	ds_load_b32 v5, v5
	v_add_nc_u32_e32 v6, 2, v24
	v_lshlrev_b32_e32 v12, 2, v12
	v_xor_b32_e32 v4, 8, v4
	s_mov_b32 s0, 0
	s_delay_alu instid0(VALU_DEP_3) | instskip(NEXT) | instid1(VALU_DEP_2)
	v_and_or_b32 v6, v6, 15, v2
	v_lshlrev_b32_e32 v4, 2, v4
	s_delay_alu instid0(VALU_DEP_2)
	v_lshlrev_b32_e32 v6, 2, v6
	ds_load_b32 v6, v6
	ds_load_b32 v7, v7
	;; [unrolled: 1-line block ×6, first 2 shown]
	s_waitcnt lgkmcnt(7)
	v_add_f32_e32 v8, 0, v8
	ds_load_b32 v4, v4
	s_waitcnt lgkmcnt(7)
	v_dual_add_f32 v5, v8, v5 :: v_dual_add_nc_u32 v8, 11, v24
	s_delay_alu instid0(VALU_DEP_1) | instskip(SKIP_1) | instid1(VALU_DEP_1)
	v_and_or_b32 v8, v8, 15, v2
	s_waitcnt lgkmcnt(6)
	v_dual_add_f32 v5, v5, v6 :: v_dual_lshlrev_b32 v8, 2, v8
	s_waitcnt lgkmcnt(5)
	s_delay_alu instid0(VALU_DEP_1) | instskip(SKIP_1) | instid1(VALU_DEP_2)
	v_dual_add_f32 v5, v5, v7 :: v_dual_add_nc_u32 v6, 9, v24
	v_add_nc_u32_e32 v7, 10, v24
	v_and_or_b32 v6, v6, 15, v2
	s_waitcnt lgkmcnt(4)
	s_delay_alu instid0(VALU_DEP_3) | instskip(NEXT) | instid1(VALU_DEP_3)
	v_add_f32_e32 v5, v5, v9
	v_and_or_b32 v7, v7, 15, v2
	v_add_nc_u32_e32 v9, 12, v24
	v_lshlrev_b32_e32 v6, 2, v6
	s_waitcnt lgkmcnt(3)
	v_add_f32_e32 v5, v5, v10
	v_lshlrev_b32_e32 v7, 2, v7
	v_add_nc_u32_e32 v10, 13, v24
	v_and_or_b32 v9, v9, 15, v2
	ds_load_b32 v6, v6
	s_waitcnt lgkmcnt(3)
	v_add_f32_e32 v5, v5, v11
	ds_load_b32 v7, v7
	v_add_nc_u32_e32 v11, 14, v24
	v_and_or_b32 v10, v10, 15, v2
	v_lshlrev_b32_e32 v9, 2, v9
	s_waitcnt lgkmcnt(3)
	v_add_f32_e32 v5, v5, v12
	v_add_nc_u32_e32 v12, -1, v24
	v_and_or_b32 v11, v11, 15, v2
	v_lshlrev_b32_e32 v10, 2, v10
	s_waitcnt lgkmcnt(2)
	v_add_f32_e32 v4, v5, v4
	v_and_or_b32 v2, v12, 15, v2
	v_lshlrev_b32_e32 v11, 2, v11
	s_delay_alu instid0(VALU_DEP_2)
	v_lshlrev_b32_e32 v2, 2, v2
	ds_load_b32 v8, v8
	ds_load_b32 v9, v9
	;; [unrolled: 1-line block ×5, first 2 shown]
	s_waitcnt lgkmcnt(6)
	v_add_f32_e32 v4, v4, v6
	s_waitcnt lgkmcnt(5)
	s_delay_alu instid0(VALU_DEP_1) | instskip(SKIP_1) | instid1(VALU_DEP_1)
	v_add_f32_e32 v4, v4, v7
	s_waitcnt lgkmcnt(4)
	v_add_f32_e32 v4, v4, v8
	s_waitcnt lgkmcnt(3)
	s_delay_alu instid0(VALU_DEP_1) | instskip(SKIP_1) | instid1(VALU_DEP_1)
	v_add_f32_e32 v4, v4, v9
	;; [unrolled: 5-line block ×3, first 2 shown]
	s_waitcnt lgkmcnt(0)
	v_add_f32_e32 v2, v4, v2
	s_delay_alu instid0(VALU_DEP_1)
	v_mul_f32_e32 v4, s12, v2
.LBB131_23:                             ; =>This Inner Loop Header: Depth=1
	s_waitcnt vmcnt(0)
	s_delay_alu instid0(VALU_DEP_1)
	v_add_f32_e32 v2, v3, v4
	global_atomic_cmpswap_b32 v2, v[0:1], v[2:3], off glc
	s_waitcnt vmcnt(0)
	v_cmp_eq_u32_e32 vcc_lo, v2, v3
	v_mov_b32_e32 v3, v2
	s_or_b32 s0, vcc_lo, s0
	s_delay_alu instid0(SALU_CYCLE_1)
	s_and_not1_b32 exec_lo, exec_lo, s0
	s_cbranch_execnz .LBB131_23
.LBB131_24:
	s_endpgm
	.section	.rodata,"a",@progbits
	.p2align	6, 0x0
	.amdhsa_kernel _ZL54rocblas_symv_kernel_upper_double_buffered_non_diagonalILi32ELi4ELi4E24rocblas_internal_val_ptrIfEPKPKfPKPfEvbiT2_lT3_lllSA_lllT4_llli
		.amdhsa_group_segment_fixed_size 3200
		.amdhsa_private_segment_fixed_size 0
		.amdhsa_kernarg_size 384
		.amdhsa_user_sgpr_count 13
		.amdhsa_user_sgpr_dispatch_ptr 0
		.amdhsa_user_sgpr_queue_ptr 0
		.amdhsa_user_sgpr_kernarg_segment_ptr 1
		.amdhsa_user_sgpr_dispatch_id 0
		.amdhsa_user_sgpr_private_segment_size 0
		.amdhsa_wavefront_size32 1
		.amdhsa_uses_dynamic_stack 0
		.amdhsa_enable_private_segment 0
		.amdhsa_system_sgpr_workgroup_id_x 1
		.amdhsa_system_sgpr_workgroup_id_y 1
		.amdhsa_system_sgpr_workgroup_id_z 1
		.amdhsa_system_sgpr_workgroup_info 0
		.amdhsa_system_vgpr_workitem_id 1
		.amdhsa_next_free_vgpr 50
		.amdhsa_next_free_sgpr 29
		.amdhsa_reserve_vcc 1
		.amdhsa_float_round_mode_32 0
		.amdhsa_float_round_mode_16_64 0
		.amdhsa_float_denorm_mode_32 3
		.amdhsa_float_denorm_mode_16_64 3
		.amdhsa_dx10_clamp 1
		.amdhsa_ieee_mode 1
		.amdhsa_fp16_overflow 0
		.amdhsa_workgroup_processor_mode 1
		.amdhsa_memory_ordered 1
		.amdhsa_forward_progress 0
		.amdhsa_shared_vgpr_count 0
		.amdhsa_exception_fp_ieee_invalid_op 0
		.amdhsa_exception_fp_denorm_src 0
		.amdhsa_exception_fp_ieee_div_zero 0
		.amdhsa_exception_fp_ieee_overflow 0
		.amdhsa_exception_fp_ieee_underflow 0
		.amdhsa_exception_fp_ieee_inexact 0
		.amdhsa_exception_int_div_zero 0
	.end_amdhsa_kernel
	.section	.text._ZL54rocblas_symv_kernel_upper_double_buffered_non_diagonalILi32ELi4ELi4E24rocblas_internal_val_ptrIfEPKPKfPKPfEvbiT2_lT3_lllSA_lllT4_llli,"axG",@progbits,_ZL54rocblas_symv_kernel_upper_double_buffered_non_diagonalILi32ELi4ELi4E24rocblas_internal_val_ptrIfEPKPKfPKPfEvbiT2_lT3_lllSA_lllT4_llli,comdat
.Lfunc_end131:
	.size	_ZL54rocblas_symv_kernel_upper_double_buffered_non_diagonalILi32ELi4ELi4E24rocblas_internal_val_ptrIfEPKPKfPKPfEvbiT2_lT3_lllSA_lllT4_llli, .Lfunc_end131-_ZL54rocblas_symv_kernel_upper_double_buffered_non_diagonalILi32ELi4ELi4E24rocblas_internal_val_ptrIfEPKPKfPKPfEvbiT2_lT3_lllSA_lllT4_llli
                                        ; -- End function
	.section	.AMDGPU.csdata,"",@progbits
; Kernel info:
; codeLenInByte = 2556
; NumSgprs: 31
; NumVgprs: 50
; ScratchSize: 0
; MemoryBound: 0
; FloatMode: 240
; IeeeMode: 1
; LDSByteSize: 3200 bytes/workgroup (compile time only)
; SGPRBlocks: 3
; VGPRBlocks: 6
; NumSGPRsForWavesPerEU: 31
; NumVGPRsForWavesPerEU: 50
; Occupancy: 16
; WaveLimiterHint : 1
; COMPUTE_PGM_RSRC2:SCRATCH_EN: 0
; COMPUTE_PGM_RSRC2:USER_SGPR: 13
; COMPUTE_PGM_RSRC2:TRAP_HANDLER: 0
; COMPUTE_PGM_RSRC2:TGID_X_EN: 1
; COMPUTE_PGM_RSRC2:TGID_Y_EN: 1
; COMPUTE_PGM_RSRC2:TGID_Z_EN: 1
; COMPUTE_PGM_RSRC2:TIDIG_COMP_CNT: 1
	.section	.text._ZL58rocblas_symv_kernel_upper_double_buffered_diagonal_genericILi32ELi8E24rocblas_internal_val_ptrIfEPKPKfPKPfEvbiT1_lT2_lllSA_lllS9_lT3_lllii,"axG",@progbits,_ZL58rocblas_symv_kernel_upper_double_buffered_diagonal_genericILi32ELi8E24rocblas_internal_val_ptrIfEPKPKfPKPfEvbiT1_lT2_lllSA_lllS9_lT3_lllii,comdat
	.globl	_ZL58rocblas_symv_kernel_upper_double_buffered_diagonal_genericILi32ELi8E24rocblas_internal_val_ptrIfEPKPKfPKPfEvbiT1_lT2_lllSA_lllS9_lT3_lllii ; -- Begin function _ZL58rocblas_symv_kernel_upper_double_buffered_diagonal_genericILi32ELi8E24rocblas_internal_val_ptrIfEPKPKfPKPfEvbiT1_lT2_lllSA_lllS9_lT3_lllii
	.p2align	8
	.type	_ZL58rocblas_symv_kernel_upper_double_buffered_diagonal_genericILi32ELi8E24rocblas_internal_val_ptrIfEPKPKfPKPfEvbiT1_lT2_lllSA_lllS9_lT3_lllii,@function
_ZL58rocblas_symv_kernel_upper_double_buffered_diagonal_genericILi32ELi8E24rocblas_internal_val_ptrIfEPKPKfPKPfEvbiT1_lT2_lllSA_lllS9_lT3_lllii: ; @_ZL58rocblas_symv_kernel_upper_double_buffered_diagonal_genericILi32ELi8E24rocblas_internal_val_ptrIfEPKPKfPKPfEvbiT1_lT2_lllSA_lllS9_lT3_lllii
; %bb.0:
	s_clause 0x2
	s_load_b32 s3, s[0:1], 0x0
	s_load_b256 s[4:11], s[0:1], 0x8
	s_load_b64 s[12:13], s[0:1], 0x28
	s_mov_b32 s2, s15
	s_mov_b32 s20, -1
                                        ; implicit-def: $sgpr15
	s_waitcnt lgkmcnt(0)
	s_bitcmp1_b32 s3, 0
	s_cselect_b32 s3, -1, 0
	s_delay_alu instid0(SALU_CYCLE_1) | instskip(NEXT) | instid1(SALU_CYCLE_1)
	s_xor_b32 s3, s3, -1
	s_and_b32 vcc_lo, exec_lo, s3
	s_cbranch_vccnz .LBB132_7
; %bb.1:
	s_load_b128 s[16:19], s[0:1], 0x58
	s_and_not1_b32 vcc_lo, exec_lo, s20
	s_cbranch_vccz .LBB132_8
.LBB132_2:
	s_and_not1_b32 vcc_lo, exec_lo, s3
	s_cbranch_vccnz .LBB132_4
.LBB132_3:
	s_waitcnt lgkmcnt(0)
	s_mul_i32 s3, s2, s19
	s_mul_hi_u32 s4, s2, s18
	s_delay_alu instid0(SALU_CYCLE_1) | instskip(SKIP_1) | instid1(SALU_CYCLE_1)
	s_add_i32 s5, s4, s3
	s_mul_i32 s4, s2, s18
	s_lshl_b64 s[4:5], s[4:5], 2
	s_delay_alu instid0(SALU_CYCLE_1)
	s_add_u32 s4, s16, s4
	s_addc_u32 s5, s17, s5
	s_load_b32 s16, s[4:5], 0x0
.LBB132_4:
	s_waitcnt lgkmcnt(0)
	v_cmp_eq_f32_e64 s22, s15, 0
	v_cmp_eq_f32_e64 s3, s16, 1.0
	s_delay_alu instid0(VALU_DEP_1) | instskip(NEXT) | instid1(SALU_CYCLE_1)
	s_and_b32 s3, s22, s3
	s_and_b32 vcc_lo, exec_lo, s3
	s_cbranch_vccnz .LBB132_59
; %bb.5:
	v_cmp_neq_f32_e64 s17, s15, 0
	s_delay_alu instid0(VALU_DEP_1)
	s_and_b32 vcc_lo, exec_lo, s17
	s_cbranch_vccnz .LBB132_9
; %bb.6:
	s_mov_b32 s3, 0
	s_mov_b64 s[18:19], 0
	s_load_b64 s[20:21], s[0:1], 0x68
	s_cbranch_execz .LBB132_10
	s_branch .LBB132_11
.LBB132_7:
	s_mul_i32 s7, s2, s7
	s_mul_hi_u32 s15, s2, s6
	s_mul_i32 s6, s2, s6
	s_add_i32 s7, s15, s7
	s_delay_alu instid0(SALU_CYCLE_1) | instskip(NEXT) | instid1(SALU_CYCLE_1)
	s_lshl_b64 s[6:7], s[6:7], 2
	s_add_u32 s6, s4, s6
	s_addc_u32 s7, s5, s7
	s_load_b32 s15, s[6:7], 0x0
	s_load_b128 s[16:19], s[0:1], 0x58
	s_cbranch_execnz .LBB132_2
.LBB132_8:
	s_waitcnt lgkmcnt(0)
	s_mov_b32 s15, s4
	s_and_not1_b32 vcc_lo, exec_lo, s3
	s_cbranch_vccz .LBB132_3
	s_branch .LBB132_4
.LBB132_9:
	s_mov_b32 s3, -1
                                        ; implicit-def: $sgpr18_sgpr19
	s_load_b64 s[20:21], s[0:1], 0x68
.LBB132_10:
	s_mov_b32 s3, 0
	s_delay_alu instid0(SALU_CYCLE_1) | instskip(NEXT) | instid1(SALU_CYCLE_1)
	s_lshl_b64 s[4:5], s[2:3], 3
	s_add_u32 s4, s8, s4
	s_addc_u32 s5, s9, s5
	s_lshl_b64 s[6:7], s[10:11], 2
	s_load_b64 s[4:5], s[4:5], 0x0
	s_waitcnt lgkmcnt(0)
	s_add_u32 s18, s4, s6
	s_addc_u32 s19, s5, s7
.LBB132_11:
	s_clause 0x1
	s_load_b128 s[4:7], s[0:1], 0x38
	s_load_b64 s[8:9], s[0:1], 0x48
	s_and_not1_b32 vcc_lo, exec_lo, s17
	s_cbranch_vccnz .LBB132_13
; %bb.12:
	s_lshl_b64 s[10:11], s[2:3], 3
	s_waitcnt lgkmcnt(0)
	s_add_u32 s4, s4, s10
	s_addc_u32 s5, s5, s11
	s_lshl_b64 s[6:7], s[6:7], 2
	s_load_b64 s[4:5], s[4:5], 0x0
	s_waitcnt lgkmcnt(0)
	s_add_u32 s10, s4, s6
	s_addc_u32 s11, s5, s7
	s_branch .LBB132_14
.LBB132_13:
	s_mov_b64 s[10:11], 0
.LBB132_14:
	s_lshl_b64 s[2:3], s[2:3], 3
	v_bfe_u32 v9, v0, 10, 10
	s_waitcnt lgkmcnt(0)
	s_add_u32 s2, s20, s2
	s_addc_u32 s3, s21, s3
	s_load_b128 s[4:7], s[0:1], 0x70
	s_load_b64 s[2:3], s[2:3], 0x0
	s_load_b32 s21, s[0:1], 0x88
	v_and_b32_e32 v8, 0x3ff, v0
	s_waitcnt lgkmcnt(0)
	s_lshl_b64 s[4:5], s[4:5], 2
	s_delay_alu instid0(SALU_CYCLE_1) | instskip(SKIP_2) | instid1(SALU_CYCLE_1)
	s_add_u32 s17, s2, s4
	s_addc_u32 s20, s3, s5
	s_lshl_b32 s4, s14, 5
	s_mul_i32 s2, s4, s7
	s_mul_hi_u32 s3, s4, s6
	s_ashr_i32 s5, s4, 31
	s_add_i32 s3, s3, s2
	s_mul_i32 s23, s5, s6
	s_mul_i32 s2, s4, s6
	s_add_i32 s3, s3, s23
	s_delay_alu instid0(SALU_CYCLE_1)
	s_lshl_b64 s[24:25], s[2:3], 2
	v_cmp_eq_u32_e64 s2, 0, v9
	s_add_u32 s17, s17, s24
	s_addc_u32 s20, s20, s25
	s_and_not1_b32 vcc_lo, exec_lo, s22
	s_mov_b32 s3, -1
	s_cbranch_vccnz .LBB132_21
; %bb.15:
	s_mov_b32 s3, 0
	s_and_saveexec_b32 s22, s2
	s_cbranch_execz .LBB132_20
; %bb.16:
	v_cmp_gt_i32_e64 s2, s21, v8
	s_mov_b32 s23, exec_lo
	v_cmpx_le_i32_e64 s21, v8
	s_cbranch_execz .LBB132_18
; %bb.17:
	s_load_b32 s24, s[0:1], 0x90
	s_waitcnt lgkmcnt(0)
	s_add_i32 s24, s24, -1
	s_delay_alu instid0(SALU_CYCLE_1) | instskip(SKIP_3) | instid1(SALU_CYCLE_1)
	s_cmp_lt_u32 s14, s24
	s_cselect_b32 s24, -1, 0
	s_and_not1_b32 s2, s2, exec_lo
	s_and_b32 s24, s24, exec_lo
	s_or_b32 s2, s2, s24
.LBB132_18:
	s_or_b32 exec_lo, exec_lo, s23
	s_delay_alu instid0(SALU_CYCLE_1)
	s_and_b32 exec_lo, exec_lo, s2
	s_cbranch_execz .LBB132_20
; %bb.19:
	v_mad_u64_u32 v[0:1], null, v8, s6, 0
	s_delay_alu instid0(VALU_DEP_1) | instskip(NEXT) | instid1(VALU_DEP_1)
	v_mad_u64_u32 v[2:3], null, v8, s7, v[1:2]
	v_mov_b32_e32 v1, v2
	s_delay_alu instid0(VALU_DEP_1) | instskip(NEXT) | instid1(VALU_DEP_1)
	v_lshlrev_b64 v[0:1], 2, v[0:1]
	v_add_co_u32 v0, vcc_lo, s17, v0
	s_delay_alu instid0(VALU_DEP_2)
	v_add_co_ci_u32_e32 v1, vcc_lo, s20, v1, vcc_lo
	global_load_b32 v2, v[0:1], off
	s_waitcnt vmcnt(0)
	v_mul_f32_e32 v2, s16, v2
	global_store_b32 v[0:1], v2, off
.LBB132_20:
	s_or_b32 exec_lo, exec_lo, s22
.LBB132_21:
	s_delay_alu instid0(SALU_CYCLE_1)
	s_and_not1_b32 vcc_lo, exec_lo, s3
	s_cbranch_vccnz .LBB132_59
; %bb.22:
	v_mov_b32_e32 v10, 0
	v_cmp_ne_u32_e64 s3, 0, v9
	v_cmp_eq_u32_e64 s2, 0, v9
	s_mov_b32 s22, 0
	s_delay_alu instid0(VALU_DEP_1)
	s_and_saveexec_b32 s23, s2
	s_cbranch_execz .LBB132_29
; %bb.23:
	v_cmp_gt_i32_e64 s25, s21, v8
	s_mov_b32 s24, exec_lo
                                        ; implicit-def: $sgpr26
	v_cmpx_le_i32_e64 s21, v8
	s_cbranch_execz .LBB132_25
; %bb.24:
	s_load_b32 s26, s[0:1], 0x90
	s_waitcnt lgkmcnt(0)
	s_add_i32 s26, s26, -1
	s_delay_alu instid0(SALU_CYCLE_1)
	s_cmp_lt_u32 s14, s26
	s_cselect_b32 s26, -1, 0
	s_and_not1_b32 s25, s25, exec_lo
	s_and_b32 s27, s26, exec_lo
	s_mov_b32 s26, 0
	s_or_b32 s25, s25, s27
.LBB132_25:
	s_or_b32 exec_lo, exec_lo, s24
	v_mov_b32_e32 v10, s26
	s_and_saveexec_b32 s24, s25
	s_cbranch_execz .LBB132_28
; %bb.26:
	v_mad_u64_u32 v[0:1], null, v8, s8, 0
	s_mul_hi_u32 s25, s4, s8
	s_mul_i32 s26, s5, s8
	s_mul_i32 s8, s4, s8
	v_mov_b32_e32 v10, 0
	s_delay_alu instid0(VALU_DEP_2) | instskip(SKIP_1) | instid1(SALU_CYCLE_1)
	v_mad_u64_u32 v[2:3], null, v8, s9, v[1:2]
	s_mul_i32 s9, s4, s9
	s_add_i32 s9, s25, s9
	s_delay_alu instid0(SALU_CYCLE_1) | instskip(NEXT) | instid1(VALU_DEP_1)
	s_add_i32 s9, s9, s26
	v_mov_b32_e32 v1, v2
	s_lshl_b64 s[8:9], s[8:9], 2
	s_delay_alu instid0(SALU_CYCLE_1) | instskip(SKIP_1) | instid1(VALU_DEP_1)
	s_add_u32 s8, s10, s8
	s_addc_u32 s9, s11, s9
	v_lshlrev_b64 v[0:1], 2, v[0:1]
	s_delay_alu instid0(VALU_DEP_1) | instskip(NEXT) | instid1(VALU_DEP_2)
	v_add_co_u32 v0, vcc_lo, s8, v0
	v_add_co_ci_u32_e32 v1, vcc_lo, s9, v1, vcc_lo
	v_cmp_eq_f32_e64 s8, s16, 0
	flat_load_b32 v0, v[0:1]
	v_lshlrev_b32_e32 v1, 2, v8
	s_and_b32 vcc_lo, exec_lo, s8
	s_waitcnt vmcnt(0) lgkmcnt(0)
	ds_store_b32 v1, v0 offset:6144
	s_cbranch_vccnz .LBB132_28
; %bb.27:
	v_mad_u64_u32 v[0:1], null, v8, s6, 0
	s_delay_alu instid0(VALU_DEP_1) | instskip(NEXT) | instid1(VALU_DEP_1)
	v_mad_u64_u32 v[2:3], null, v8, s7, v[1:2]
	v_mov_b32_e32 v1, v2
	s_delay_alu instid0(VALU_DEP_1) | instskip(NEXT) | instid1(VALU_DEP_1)
	v_lshlrev_b64 v[0:1], 2, v[0:1]
	v_add_co_u32 v0, vcc_lo, s17, v0
	s_delay_alu instid0(VALU_DEP_2)
	v_add_co_ci_u32_e32 v1, vcc_lo, s20, v1, vcc_lo
	global_load_b32 v0, v[0:1], off
	s_waitcnt vmcnt(0)
	v_mul_f32_e32 v10, s16, v0
.LBB132_28:
	s_or_b32 exec_lo, exec_lo, s24
.LBB132_29:
	s_delay_alu instid0(SALU_CYCLE_1)
	s_or_b32 exec_lo, exec_lo, s23
	v_mad_u64_u32 v[0:1], null, v9, s12, 0
	s_add_u32 s8, s12, 1
	s_load_b32 s9, s[0:1], 0x90
	v_lshl_add_u32 v14, v9, 5, v8
	s_addc_u32 s0, s13, 0
	s_mul_i32 s1, s8, s5
	s_mul_hi_u32 s5, s8, s4
	s_delay_alu instid0(VALU_DEP_2)
	v_mad_u64_u32 v[2:3], null, v9, s13, v[1:2]
	s_mul_i32 s10, s0, s4
	s_add_i32 s1, s5, s1
	s_mul_i32 s0, s8, s4
	s_add_i32 s1, s1, s10
	v_lshlrev_b32_e32 v11, 2, v8
	s_lshl_b64 s[0:1], s[0:1], 2
	s_delay_alu instid0(VALU_DEP_2) | instskip(SKIP_3) | instid1(VALU_DEP_2)
	v_dual_mov_b32 v1, v2 :: v_dual_lshlrev_b32 v12, 2, v14
	s_add_u32 s4, s18, s0
	s_addc_u32 s5, s19, s1
	v_add_nc_u32_e32 v13, 16, v9
	v_lshlrev_b64 v[0:1], 2, v[0:1]
	s_waitcnt lgkmcnt(0)
	s_add_i32 s8, s9, -1
	s_delay_alu instid0(SALU_CYCLE_1) | instskip(NEXT) | instid1(VALU_DEP_1)
	s_cmp_eq_u32 s14, s8
	v_add_co_u32 v15, vcc_lo, s4, v0
	s_delay_alu instid0(VALU_DEP_2) | instskip(SKIP_1) | instid1(VALU_DEP_2)
	v_add_co_ci_u32_e32 v16, vcc_lo, s5, v1, vcc_lo
	s_mov_b32 s4, -1
	v_add_co_u32 v0, vcc_lo, v15, v11
	s_delay_alu instid0(VALU_DEP_2)
	v_add_co_ci_u32_e32 v1, vcc_lo, 0, v16, vcc_lo
	s_cbranch_scc1 .LBB132_32
; %bb.30:
	flat_load_b32 v4, v[0:1]
	s_lshl_b64 s[4:5], s[12:13], 5
	v_lshlrev_b32_e32 v5, 2, v14
	v_add_co_u32 v2, vcc_lo, v0, s4
	v_add_co_ci_u32_e32 v3, vcc_lo, s5, v1, vcc_lo
	s_mov_b32 s22, -1
	s_waitcnt vmcnt(0) lgkmcnt(0)
	ds_store_b32 v5, v4
	flat_load_b32 v4, v[2:3]
	v_add_co_u32 v2, vcc_lo, v2, s4
	v_add_co_ci_u32_e32 v3, vcc_lo, s5, v3, vcc_lo
	s_waitcnt vmcnt(0) lgkmcnt(0)
	ds_store_b32 v5, v4 offset:1024
	flat_load_b32 v17, v[2:3]
	v_mad_u64_u32 v[2:3], null, 0x60, s12, v[0:1]
	v_add_nc_u32_e32 v5, 16, v9
	s_delay_alu instid0(VALU_DEP_2) | instskip(NEXT) | instid1(VALU_DEP_2)
	v_mad_u64_u32 v[6:7], null, 0x60, s13, v[3:4]
	v_lshlrev_b32_e32 v3, 5, v5
	v_add_nc_u32_e32 v4, 0x300, v14
	s_delay_alu instid0(VALU_DEP_2) | instskip(NEXT) | instid1(VALU_DEP_4)
	v_add_lshl_u32 v7, v3, v8, 2
	v_mov_b32_e32 v3, v6
	s_waitcnt vmcnt(0) lgkmcnt(0)
	ds_store_b32 v7, v17
	s_cbranch_execz .LBB132_33
.LBB132_31:
                                        ; implicit-def: $vgpr13
	s_and_saveexec_b32 s0, s22
	s_cbranch_execnz .LBB132_47
	s_branch .LBB132_48
.LBB132_32:
                                        ; implicit-def: $vgpr5
                                        ; implicit-def: $vgpr2_vgpr3
                                        ; implicit-def: $vgpr4
	s_and_not1_b32 vcc_lo, exec_lo, s4
	s_cbranch_vccnz .LBB132_31
.LBB132_33:
	v_dual_mov_b32 v2, 0 :: v_dual_lshlrev_b32 v3, 5, v13
	v_cmp_gt_i32_e32 vcc_lo, s21, v8
	s_delay_alu instid0(VALU_DEP_2)
	v_add_lshl_u32 v3, v3, v8, 2
	ds_store_2addr_stride64_b32 v12, v2, v2 offset1:4
	s_or_b32 s3, s3, vcc_lo
	ds_store_b32 v3, v2
	ds_store_b32 v12, v2 offset:3072
	s_xor_b32 s4, s3, -1
	s_delay_alu instid0(SALU_CYCLE_1)
	s_and_saveexec_b32 s3, s4
	s_cbranch_execz .LBB132_35
; %bb.34:
	ds_store_b32 v11, v2 offset:6144
.LBB132_35:
	s_or_b32 exec_lo, exec_lo, s3
                                        ; implicit-def: $vgpr5
                                        ; implicit-def: $vgpr2_vgpr3
                                        ; implicit-def: $vgpr4
	s_and_saveexec_b32 s3, vcc_lo
	s_cbranch_execz .LBB132_46
; %bb.36:
	s_cmp_lt_u32 s21, 8
	s_mov_b32 s9, 0
	s_cbranch_scc1 .LBB132_43
; %bb.37:
	s_lshr_b32 s9, s21, 3
	s_mov_b32 s10, 0
	s_add_i32 s4, s9, -1
	s_delay_alu instid0(SALU_CYCLE_1)
	s_cmp_lt_u32 s4, 3
	s_cbranch_scc1 .LBB132_40
; %bb.38:
	v_lshlrev_b32_e32 v2, 2, v9
	s_and_b32 s10, s9, 0x1ffffffc
	s_add_u32 s4, s18, s0
	s_addc_u32 s5, s19, s1
	s_mov_b32 s11, 0
	v_add_nc_u32_e32 v19, 0x60, v2
	v_add_nc_u32_e32 v20, 64, v2
	v_add_nc_u32_e32 v21, 32, v2
	s_delay_alu instid0(VALU_DEP_3) | instskip(NEXT) | instid1(VALU_DEP_3)
	v_mad_u64_u32 v[2:3], null, s12, v19, s[4:5]
	v_mad_u64_u32 v[4:5], null, s12, v20, s[4:5]
	s_delay_alu instid0(VALU_DEP_3) | instskip(SKIP_1) | instid1(VALU_DEP_2)
	v_mad_u64_u32 v[6:7], null, s12, v21, s[4:5]
	s_lshl_b64 s[4:5], s[12:13], 7
	v_mad_u64_u32 v[17:18], null, s13, v19, v[3:4]
	s_delay_alu instid0(VALU_DEP_2) | instskip(NEXT) | instid1(VALU_DEP_3)
	v_mad_u64_u32 v[18:19], null, s13, v20, v[5:6]
	v_mad_u64_u32 v[19:20], null, s13, v21, v[7:8]
	s_delay_alu instid0(VALU_DEP_3) | instskip(SKIP_1) | instid1(VALU_DEP_4)
	v_mov_b32_e32 v3, v17
	v_mov_b32_e32 v17, v12
	;; [unrolled: 1-line block ×3, first 2 shown]
	s_delay_alu instid0(VALU_DEP_4)
	v_mov_b32_e32 v7, v19
	s_set_inst_prefetch_distance 0x1
	.p2align	6
.LBB132_39:                             ; =>This Inner Loop Header: Depth=1
	v_add_co_u32 v18, vcc_lo, v15, v11
	v_add_co_ci_u32_e32 v19, vcc_lo, 0, v16, vcc_lo
	s_add_i32 s11, s11, 4
	s_delay_alu instid0(SALU_CYCLE_1)
	s_cmp_lg_u32 s10, s11
	flat_load_b32 v20, v[18:19]
	v_add_co_u32 v18, vcc_lo, v6, v11
	v_add_co_ci_u32_e32 v19, vcc_lo, 0, v7, vcc_lo
	s_waitcnt vmcnt(0) lgkmcnt(0)
	ds_store_b32 v17, v20
	flat_load_b32 v20, v[18:19]
	v_add_co_u32 v18, vcc_lo, v4, v11
	v_add_co_ci_u32_e32 v19, vcc_lo, 0, v5, vcc_lo
	s_waitcnt vmcnt(0) lgkmcnt(0)
	ds_store_b32 v17, v20 offset:1024
	flat_load_b32 v20, v[18:19]
	v_add_co_u32 v18, vcc_lo, v2, v11
	v_add_co_ci_u32_e32 v19, vcc_lo, 0, v3, vcc_lo
	v_add_co_u32 v2, vcc_lo, v2, s4
	v_add_co_ci_u32_e32 v3, vcc_lo, s5, v3, vcc_lo
	;; [unrolled: 2-line block ×5, first 2 shown]
	s_waitcnt vmcnt(0) lgkmcnt(0)
	ds_store_b32 v17, v20 offset:2048
	flat_load_b32 v18, v[18:19]
	s_waitcnt vmcnt(0) lgkmcnt(0)
	ds_store_b32 v17, v18 offset:3072
	v_add_nc_u32_e32 v17, 0x1000, v17
	s_cbranch_scc1 .LBB132_39
.LBB132_40:
	s_set_inst_prefetch_distance 0x2
	s_bfe_u32 s11, s21, 0x20003
	s_mov_b32 s5, 0
	s_cmp_eq_u32 s11, 0
	s_cbranch_scc1 .LBB132_43
; %bb.41:
	v_lshlrev_b32_e32 v2, 2, v9
	s_lshl_b32 s4, s10, 3
	s_delay_alu instid0(SALU_CYCLE_1)
	s_lshl_b64 s[4:5], s[4:5], 2
	s_delay_alu instid0(VALU_DEP_1) | instid1(SALU_CYCLE_1)
	v_add_co_u32 v4, s4, v2, s4
	s_delay_alu instid0(VALU_DEP_1) | instskip(NEXT) | instid1(VALU_DEP_2)
	v_add_co_ci_u32_e64 v2, null, 0, s5, s4
	v_mul_lo_u32 v6, s13, v4
	s_delay_alu instid0(VALU_DEP_2)
	v_mul_lo_u32 v5, s12, v2
	v_mad_u64_u32 v[2:3], null, s12, v4, s[0:1]
	v_lshlrev_b32_e32 v4, 7, v9
	s_lshl_b32 s0, s10, 10
	s_delay_alu instid0(VALU_DEP_1) | instid1(SALU_CYCLE_1)
	v_add3_u32 v4, s0, v4, v11
	s_delay_alu instid0(VALU_DEP_3) | instskip(NEXT) | instid1(VALU_DEP_4)
	v_add3_u32 v3, v6, v3, v5
	v_add_co_u32 v2, vcc_lo, v2, v11
	s_lshl_b64 s[0:1], s[12:13], 5
	s_delay_alu instid0(VALU_DEP_2) | instskip(NEXT) | instid1(VALU_DEP_2)
	v_add_co_ci_u32_e32 v3, vcc_lo, 0, v3, vcc_lo
	v_add_co_u32 v2, vcc_lo, s18, v2
	s_delay_alu instid0(VALU_DEP_2)
	v_add_co_ci_u32_e32 v3, vcc_lo, s19, v3, vcc_lo
.LBB132_42:                             ; =>This Inner Loop Header: Depth=1
	flat_load_b32 v5, v[2:3]
	v_add_co_u32 v2, vcc_lo, v2, s0
	v_add_co_ci_u32_e32 v3, vcc_lo, s1, v3, vcc_lo
	s_add_i32 s11, s11, -1
	s_delay_alu instid0(SALU_CYCLE_1)
	s_cmp_lg_u32 s11, 0
	s_waitcnt vmcnt(0) lgkmcnt(0)
	ds_store_b32 v4, v5
	v_add_nc_u32_e32 v4, 0x400, v4
	s_cbranch_scc1 .LBB132_42
.LBB132_43:
	s_and_b32 s0, s21, 7
                                        ; implicit-def: $vgpr2_vgpr3
                                        ; implicit-def: $vgpr4
	s_delay_alu instid0(SALU_CYCLE_1)
	v_cmp_gt_u32_e32 vcc_lo, s0, v9
	s_mov_b32 s0, s22
	s_and_saveexec_b32 s1, vcc_lo
; %bb.44:
	s_lshl_b32 s0, s9, 3
	v_lshl_add_u32 v4, s9, 8, v14
	s_mul_i32 s5, s0, s13
	s_mul_hi_u32 s10, s0, s12
	s_mul_i32 s4, s0, s12
	s_add_i32 s5, s10, s5
	s_or_b32 s0, s22, exec_lo
	s_lshl_b64 s[4:5], s[4:5], 2
	s_delay_alu instid0(SALU_CYCLE_1)
	v_add_co_u32 v2, vcc_lo, v0, s4
	v_add_co_ci_u32_e32 v3, vcc_lo, s5, v1, vcc_lo
; %bb.45:
	s_or_b32 exec_lo, exec_lo, s1
	v_mov_b32_e32 v5, v13
	s_and_not1_b32 s1, s22, exec_lo
	s_and_b32 s0, s0, exec_lo
	s_delay_alu instid0(SALU_CYCLE_1)
	s_or_b32 s22, s1, s0
.LBB132_46:
	s_or_b32 exec_lo, exec_lo, s3
	s_and_saveexec_b32 s0, s22
	s_cbranch_execz .LBB132_48
.LBB132_47:
	flat_load_b32 v0, v[2:3]
	v_lshlrev_b32_e32 v1, 2, v4
	v_mov_b32_e32 v13, v5
	s_waitcnt vmcnt(0) lgkmcnt(0)
	ds_store_b32 v1, v0
.LBB132_48:
	s_or_b32 exec_lo, exec_lo, s0
	v_sub_nc_u32_e32 v0, v8, v9
	v_lshlrev_b32_e32 v1, 5, v8
	s_mov_b32 s0, exec_lo
	s_waitcnt lgkmcnt(0)
	s_waitcnt_vscnt null, 0x0
	s_barrier
	v_sub_nc_u32_e32 v2, 0, v0
	v_add_nc_u32_e32 v3, v13, v1
	buffer_gl0_inv
	v_max_i32_e32 v2, v0, v2
	v_lshlrev_b32_e32 v0, 5, v13
	v_lshlrev_b32_e32 v3, 2, v3
	s_delay_alu instid0(VALU_DEP_3)
	v_cmpx_lt_u32_e32 16, v2
	s_cbranch_execz .LBB132_50
; %bb.49:
	ds_load_b32 v4, v3
	v_add_lshl_u32 v5, v0, v8, 2
	s_waitcnt lgkmcnt(0)
	ds_store_b32 v5, v4
.LBB132_50:
	s_or_b32 exec_lo, exec_lo, s0
	s_delay_alu instid0(SALU_CYCLE_1)
	s_mov_b32 s0, exec_lo
	v_cmpx_lt_u32_e32 24, v2
	s_cbranch_execz .LBB132_52
; %bb.51:
	ds_load_b32 v3, v3 offset:32
	s_waitcnt lgkmcnt(0)
	ds_store_b32 v12, v3 offset:3072
.LBB132_52:
	s_or_b32 exec_lo, exec_lo, s0
	s_delay_alu instid0(SALU_CYCLE_1)
	s_mov_b32 s0, exec_lo
	v_cmpx_ge_u32_e64 v8, v9
	s_cbranch_execz .LBB132_54
; %bb.53:
	v_add_lshl_u32 v3, v1, v9, 2
	ds_load_b32 v3, v3
	s_waitcnt lgkmcnt(0)
	ds_store_b32 v12, v3
.LBB132_54:
	s_or_b32 exec_lo, exec_lo, s0
	v_lshlrev_b32_e32 v3, 5, v9
	v_cmp_lt_u32_e32 vcc_lo, 8, v2
	s_delay_alu instid0(VALU_DEP_2) | instskip(NEXT) | instid1(VALU_DEP_1)
	v_add3_u32 v4, v3, v8, 0x100
	v_lshlrev_b32_e32 v2, 2, v4
	s_and_saveexec_b32 s0, vcc_lo
	s_cbranch_execz .LBB132_56
; %bb.55:
	v_add_lshl_u32 v1, v9, v1, 2
	ds_load_b32 v1, v1 offset:32
	s_waitcnt lgkmcnt(0)
	ds_store_b32 v2, v1
.LBB132_56:
	s_or_b32 exec_lo, exec_lo, s0
	v_lshlrev_b32_e32 v1, 2, v9
	s_waitcnt lgkmcnt(0)
	s_barrier
	buffer_gl0_inv
	v_add_lshl_u32 v0, v0, v8, 2
	v_add_nc_u32_e32 v4, 0x1800, v1
	v_lshlrev_b32_e32 v7, 2, v13
	v_add_lshl_u32 v3, v3, v8, 2
	ds_load_2addr_b32 v[4:5], v4 offset1:8
	ds_load_b32 v6, v12
	ds_load_b32 v2, v2
	;; [unrolled: 1-line block ×3, first 2 shown]
	ds_load_b32 v7, v7 offset:6144
	ds_load_b32 v3, v3 offset:3072
	;; [unrolled: 1-line block ×3, first 2 shown]
	s_waitcnt lgkmcnt(5)
	v_fma_f32 v4, v6, v4, 0
	s_waitcnt lgkmcnt(4)
	s_delay_alu instid0(VALU_DEP_1) | instskip(SKIP_1) | instid1(VALU_DEP_1)
	v_fmac_f32_e32 v4, v2, v5
	s_waitcnt lgkmcnt(2)
	v_fmac_f32_e32 v4, v0, v7
	s_waitcnt lgkmcnt(0)
	s_delay_alu instid0(VALU_DEP_1)
	v_fmac_f32_e32 v4, v3, v1
	ds_store_b32 v12, v4 offset:4096
	s_waitcnt lgkmcnt(0)
	s_barrier
	buffer_gl0_inv
	s_and_saveexec_b32 s0, s2
	s_cbranch_execz .LBB132_59
; %bb.57:
	v_cmp_gt_i32_e32 vcc_lo, s21, v8
	s_cmp_lt_u32 s14, s8
	s_cselect_b32 s0, -1, 0
	s_delay_alu instid0(SALU_CYCLE_1) | instskip(NEXT) | instid1(SALU_CYCLE_1)
	s_or_b32 s0, vcc_lo, s0
	s_and_b32 exec_lo, exec_lo, s0
	s_cbranch_execz .LBB132_59
; %bb.58:
	v_add_nc_u32_e32 v6, 0x1000, v11
	v_cmp_neq_f32_e64 vcc_lo, s16, 0
	ds_load_2addr_b32 v[0:1], v6 offset1:32
	ds_load_2addr_b32 v[2:3], v6 offset0:64 offset1:96
	ds_load_2addr_b32 v[4:5], v6 offset0:128 offset1:160
	s_waitcnt lgkmcnt(2)
	v_add_f32_e32 v0, 0, v0
	s_delay_alu instid0(VALU_DEP_1) | instskip(SKIP_1) | instid1(VALU_DEP_1)
	v_add_f32_e32 v0, v0, v1
	s_waitcnt lgkmcnt(1)
	v_add_f32_e32 v2, v0, v2
	ds_load_2addr_b32 v[0:1], v6 offset0:192 offset1:224
	v_add_f32_e32 v6, v2, v3
	v_mad_u64_u32 v[2:3], null, v8, s6, 0
	s_waitcnt lgkmcnt(1)
	s_delay_alu instid0(VALU_DEP_2) | instskip(NEXT) | instid1(VALU_DEP_1)
	v_add_f32_e32 v4, v6, v4
	v_add_f32_e32 v6, v4, v5
	s_delay_alu instid0(VALU_DEP_3) | instskip(SKIP_1) | instid1(VALU_DEP_1)
	v_mad_u64_u32 v[4:5], null, v8, s7, v[3:4]
	s_waitcnt lgkmcnt(0)
	v_dual_add_f32 v0, v6, v0 :: v_dual_mov_b32 v3, v4
	s_delay_alu instid0(VALU_DEP_1) | instskip(NEXT) | instid1(VALU_DEP_1)
	v_add_f32_e32 v0, v0, v1
	v_mul_f32_e32 v4, s15, v0
	v_fmac_f32_e32 v10, s15, v0
	s_delay_alu instid0(VALU_DEP_4) | instskip(NEXT) | instid1(VALU_DEP_2)
	v_lshlrev_b64 v[0:1], 2, v[2:3]
	v_cndmask_b32_e32 v2, v4, v10, vcc_lo
	s_delay_alu instid0(VALU_DEP_2) | instskip(NEXT) | instid1(VALU_DEP_3)
	v_add_co_u32 v0, vcc_lo, s17, v0
	v_add_co_ci_u32_e32 v1, vcc_lo, s20, v1, vcc_lo
	global_store_b32 v[0:1], v2, off
.LBB132_59:
	s_nop 0
	s_sendmsg sendmsg(MSG_DEALLOC_VGPRS)
	s_endpgm
	.section	.rodata,"a",@progbits
	.p2align	6, 0x0
	.amdhsa_kernel _ZL58rocblas_symv_kernel_upper_double_buffered_diagonal_genericILi32ELi8E24rocblas_internal_val_ptrIfEPKPKfPKPfEvbiT1_lT2_lllSA_lllS9_lT3_lllii
		.amdhsa_group_segment_fixed_size 6272
		.amdhsa_private_segment_fixed_size 0
		.amdhsa_kernarg_size 400
		.amdhsa_user_sgpr_count 14
		.amdhsa_user_sgpr_dispatch_ptr 0
		.amdhsa_user_sgpr_queue_ptr 0
		.amdhsa_user_sgpr_kernarg_segment_ptr 1
		.amdhsa_user_sgpr_dispatch_id 0
		.amdhsa_user_sgpr_private_segment_size 0
		.amdhsa_wavefront_size32 1
		.amdhsa_uses_dynamic_stack 0
		.amdhsa_enable_private_segment 0
		.amdhsa_system_sgpr_workgroup_id_x 1
		.amdhsa_system_sgpr_workgroup_id_y 0
		.amdhsa_system_sgpr_workgroup_id_z 1
		.amdhsa_system_sgpr_workgroup_info 0
		.amdhsa_system_vgpr_workitem_id 1
		.amdhsa_next_free_vgpr 22
		.amdhsa_next_free_sgpr 28
		.amdhsa_reserve_vcc 1
		.amdhsa_float_round_mode_32 0
		.amdhsa_float_round_mode_16_64 0
		.amdhsa_float_denorm_mode_32 3
		.amdhsa_float_denorm_mode_16_64 3
		.amdhsa_dx10_clamp 1
		.amdhsa_ieee_mode 1
		.amdhsa_fp16_overflow 0
		.amdhsa_workgroup_processor_mode 1
		.amdhsa_memory_ordered 1
		.amdhsa_forward_progress 0
		.amdhsa_shared_vgpr_count 0
		.amdhsa_exception_fp_ieee_invalid_op 0
		.amdhsa_exception_fp_denorm_src 0
		.amdhsa_exception_fp_ieee_div_zero 0
		.amdhsa_exception_fp_ieee_overflow 0
		.amdhsa_exception_fp_ieee_underflow 0
		.amdhsa_exception_fp_ieee_inexact 0
		.amdhsa_exception_int_div_zero 0
	.end_amdhsa_kernel
	.section	.text._ZL58rocblas_symv_kernel_upper_double_buffered_diagonal_genericILi32ELi8E24rocblas_internal_val_ptrIfEPKPKfPKPfEvbiT1_lT2_lllSA_lllS9_lT3_lllii,"axG",@progbits,_ZL58rocblas_symv_kernel_upper_double_buffered_diagonal_genericILi32ELi8E24rocblas_internal_val_ptrIfEPKPKfPKPfEvbiT1_lT2_lllSA_lllS9_lT3_lllii,comdat
.Lfunc_end132:
	.size	_ZL58rocblas_symv_kernel_upper_double_buffered_diagonal_genericILi32ELi8E24rocblas_internal_val_ptrIfEPKPKfPKPfEvbiT1_lT2_lllSA_lllS9_lT3_lllii, .Lfunc_end132-_ZL58rocblas_symv_kernel_upper_double_buffered_diagonal_genericILi32ELi8E24rocblas_internal_val_ptrIfEPKPKfPKPfEvbiT1_lT2_lllSA_lllS9_lT3_lllii
                                        ; -- End function
	.section	.AMDGPU.csdata,"",@progbits
; Kernel info:
; codeLenInByte = 2896
; NumSgprs: 30
; NumVgprs: 22
; ScratchSize: 0
; MemoryBound: 0
; FloatMode: 240
; IeeeMode: 1
; LDSByteSize: 6272 bytes/workgroup (compile time only)
; SGPRBlocks: 3
; VGPRBlocks: 2
; NumSGPRsForWavesPerEU: 30
; NumVGPRsForWavesPerEU: 22
; Occupancy: 16
; WaveLimiterHint : 1
; COMPUTE_PGM_RSRC2:SCRATCH_EN: 0
; COMPUTE_PGM_RSRC2:USER_SGPR: 14
; COMPUTE_PGM_RSRC2:TRAP_HANDLER: 0
; COMPUTE_PGM_RSRC2:TGID_X_EN: 1
; COMPUTE_PGM_RSRC2:TGID_Y_EN: 0
; COMPUTE_PGM_RSRC2:TGID_Z_EN: 1
; COMPUTE_PGM_RSRC2:TIDIG_COMP_CNT: 1
	.section	.text._ZL62rocblas_symv_kernel_upper_double_buffered_non_diagonal_genericILi32ELi8ELi2ELi0E24rocblas_internal_val_ptrIfEPKPKfPKPfEvbiT3_lT4_lllSA_lllT5_lllii,"axG",@progbits,_ZL62rocblas_symv_kernel_upper_double_buffered_non_diagonal_genericILi32ELi8ELi2ELi0E24rocblas_internal_val_ptrIfEPKPKfPKPfEvbiT3_lT4_lllSA_lllT5_lllii,comdat
	.globl	_ZL62rocblas_symv_kernel_upper_double_buffered_non_diagonal_genericILi32ELi8ELi2ELi0E24rocblas_internal_val_ptrIfEPKPKfPKPfEvbiT3_lT4_lllSA_lllT5_lllii ; -- Begin function _ZL62rocblas_symv_kernel_upper_double_buffered_non_diagonal_genericILi32ELi8ELi2ELi0E24rocblas_internal_val_ptrIfEPKPKfPKPfEvbiT3_lT4_lllSA_lllT5_lllii
	.p2align	8
	.type	_ZL62rocblas_symv_kernel_upper_double_buffered_non_diagonal_genericILi32ELi8ELi2ELi0E24rocblas_internal_val_ptrIfEPKPKfPKPfEvbiT3_lT4_lllSA_lllT5_lllii,@function
_ZL62rocblas_symv_kernel_upper_double_buffered_non_diagonal_genericILi32ELi8ELi2ELi0E24rocblas_internal_val_ptrIfEPKPKfPKPfEvbiT3_lT4_lllSA_lllT5_lllii: ; @_ZL62rocblas_symv_kernel_upper_double_buffered_non_diagonal_genericILi32ELi8ELi2ELi0E24rocblas_internal_val_ptrIfEPKPKfPKPfEvbiT3_lT4_lllSA_lllT5_lllii
; %bb.0:
	s_clause 0x2
	s_load_b32 s2, s[0:1], 0x0
	s_load_b256 s[4:11], s[0:1], 0x8
	s_load_b64 s[16:17], s[0:1], 0x28
	s_mov_b32 s18, s15
	s_waitcnt lgkmcnt(0)
	s_bitcmp0_b32 s2, 0
	s_mov_b32 s2, 0
	s_cbranch_scc0 .LBB133_2
; %bb.1:
	s_mul_i32 s3, s18, s7
	s_mul_hi_u32 s7, s18, s6
	s_mul_i32 s6, s18, s6
	s_add_i32 s7, s7, s3
	s_delay_alu instid0(SALU_CYCLE_1) | instskip(NEXT) | instid1(SALU_CYCLE_1)
	s_lshl_b64 s[6:7], s[6:7], 2
	s_add_u32 s6, s4, s6
	s_addc_u32 s7, s5, s7
	s_load_b32 s12, s[6:7], 0x0
	s_and_not1_b32 vcc_lo, exec_lo, s2
	s_cbranch_vccz .LBB133_3
	s_branch .LBB133_4
.LBB133_2:
                                        ; implicit-def: $sgpr12
.LBB133_3:
	s_waitcnt lgkmcnt(0)
	s_mov_b32 s12, s4
.LBB133_4:
	s_waitcnt lgkmcnt(0)
	v_cmp_eq_f32_e64 s2, s12, 0
	s_delay_alu instid0(VALU_DEP_1)
	s_and_b32 vcc_lo, exec_lo, s2
	s_cbranch_vccnz .LBB133_42
; %bb.5:
	s_load_b32 s15, s[0:1], 0x84
	s_add_u32 s2, s0, 0x80
	s_addc_u32 s3, s1, 0
	s_cmp_eq_u32 s13, 0
	s_waitcnt lgkmcnt(0)
	v_cvt_f32_u32_e32 v1, s15
	s_delay_alu instid0(VALU_DEP_1) | instskip(SKIP_2) | instid1(VALU_DEP_1)
	v_rcp_iflag_f32_e32 v1, v1
	s_waitcnt_depctr 0xfff
	v_mul_f32_e32 v1, 0x4f7ffffe, v1
	v_cvt_u32_f32_e32 v1, v1
	s_delay_alu instid0(VALU_DEP_1)
	v_readfirstlane_b32 s20, v1
	s_cbranch_scc1 .LBB133_42
; %bb.6:
	s_clause 0x1
	s_load_b128 s[4:7], s[0:1], 0x38
	s_load_b64 s[22:23], s[0:1], 0x58
	s_sub_i32 s19, 0, s15
	s_delay_alu instid0(SALU_CYCLE_1)
	s_mul_i32 s21, s19, s20
	s_mov_b32 s19, 0
	s_mul_hi_u32 s21, s20, s21
	s_lshl_b64 s[24:25], s[18:19], 3
	s_add_i32 s20, s20, s21
	s_add_u32 s18, s8, s24
	s_mul_hi_u32 s8, s13, s20
	s_addc_u32 s19, s9, s25
	s_mul_i32 s9, s8, s15
	s_waitcnt lgkmcnt(0)
	s_add_u32 s4, s4, s24
	s_addc_u32 s5, s5, s25
	s_add_u32 s20, s22, s24
	s_addc_u32 s21, s23, s25
	s_sub_i32 s9, s13, s9
	s_add_i32 s22, s8, 1
	s_sub_i32 s23, s9, s15
	s_cmp_ge_u32 s9, s15
	s_cselect_b32 s8, s22, s8
	s_cselect_b32 s9, s23, s9
	s_add_i32 s22, s8, 1
	s_cmp_ge_u32 s9, s15
	s_cselect_b32 s23, s22, s8
	s_add_i32 s8, s15, -1
	s_mov_b32 s22, s23
	s_cmp_lg_u32 s14, s8
	s_cbranch_scc1 .LBB133_8
; %bb.7:
	s_mul_i32 s8, s23, s15
	s_delay_alu instid0(SALU_CYCLE_1) | instskip(NEXT) | instid1(SALU_CYCLE_1)
	s_sub_i32 s8, s13, s8
	s_add_i32 s22, s8, s23
.LBB133_8:
	s_delay_alu instid0(SALU_CYCLE_1)
	s_cmp_eq_u32 s22, 0
	s_cbranch_scc1 .LBB133_42
; %bb.9:
	s_load_b64 s[24:25], s[4:5], 0x0
	s_load_b64 s[8:9], s[0:1], 0x48
	;; [unrolled: 1-line block ×4, first 2 shown]
	s_load_b32 s21, s[2:3], 0x0
	s_lshl_b64 s[2:3], s[6:7], 2
	s_load_b32 s20, s[0:1], 0x78
	v_and_b32_e32 v21, 0x3ff, v0
	v_bfe_u32 v1, v0, 10, 10
	s_delay_alu instid0(VALU_DEP_2) | instskip(NEXT) | instid1(VALU_DEP_2)
	v_and_b32_e32 v0, 15, v21
	v_lshl_add_u32 v2, v1, 5, v21
	s_delay_alu instid0(VALU_DEP_1) | instskip(SKIP_4) | instid1(SALU_CYCLE_1)
	v_lshrrev_b32_e32 v5, 4, v2
	s_waitcnt lgkmcnt(0)
	s_add_u32 s26, s24, s2
	s_addc_u32 s27, s25, s3
	s_lshl_b32 s3, s13, 5
	s_mul_i32 s2, s3, s9
	s_mul_hi_u32 s6, s3, s8
	s_ashr_i32 s15, s3, 31
	s_add_i32 s2, s6, s2
	s_mul_i32 s7, s15, s8
	s_mul_i32 s6, s3, s8
	s_add_i32 s7, s2, s7
	v_cmp_eq_u32_e64 s2, 0, v1
	s_lshl_b64 s[24:25], s[6:7], 2
	s_delay_alu instid0(SALU_CYCLE_1)
	s_add_u32 s7, s26, s24
	s_addc_u32 s24, s27, s25
	s_add_i32 s21, s21, -1
	s_mov_b32 s25, -1
	s_cmp_lg_u32 s13, s21
	s_cselect_b32 s6, -1, 0
	s_delay_alu instid0(SALU_CYCLE_1)
	s_and_b32 vcc_lo, exec_lo, s6
	s_cbranch_vccnz .LBB133_15
; %bb.10:
	s_and_saveexec_b32 s25, s2
	s_cbranch_execz .LBB133_14
; %bb.11:
	v_mov_b32_e32 v1, 0
	s_mov_b32 s28, exec_lo
	v_cmpx_gt_i32_e64 s20, v21
	s_cbranch_execz .LBB133_13
; %bb.12:
	v_mad_u64_u32 v[1:2], null, v21, s8, 0
	s_delay_alu instid0(VALU_DEP_1) | instskip(NEXT) | instid1(VALU_DEP_1)
	v_mad_u64_u32 v[3:4], null, v21, s9, v[2:3]
	v_mov_b32_e32 v2, v3
	s_delay_alu instid0(VALU_DEP_1) | instskip(NEXT) | instid1(VALU_DEP_1)
	v_lshlrev_b64 v[1:2], 2, v[1:2]
	v_add_co_u32 v1, vcc_lo, s7, v1
	s_delay_alu instid0(VALU_DEP_2)
	v_add_co_ci_u32_e32 v2, vcc_lo, s24, v2, vcc_lo
	global_load_b32 v1, v[1:2], off
.LBB133_13:
	s_or_b32 exec_lo, exec_lo, s28
	v_lshlrev_b32_e32 v2, 2, v21
	s_waitcnt vmcnt(0)
	ds_store_b32 v2, v1 offset:4096
.LBB133_14:
	s_or_b32 exec_lo, exec_lo, s25
	v_dual_mov_b32 v2, 0 :: v_dual_lshlrev_b32 v1, 2, v0
	s_mov_b32 s25, 0
	s_delay_alu instid0(VALU_DEP_1) | instskip(NEXT) | instid1(VALU_DEP_1)
	v_lshl_or_b32 v1, v5, 7, v1
	v_add_nc_u32_e32 v3, 0x800, v1
	ds_store_2addr_b32 v1, v2, v2 offset1:16
	ds_store_2addr_b32 v3, v2, v2 offset1:16
.LBB133_15:
	s_and_b32 vcc_lo, exec_lo, s25
	s_cbranch_vccz .LBB133_19
; %bb.16:
	s_and_saveexec_b32 s25, s2
	s_cbranch_execz .LBB133_18
; %bb.17:
	v_mad_u64_u32 v[1:2], null, v21, s8, 0
	s_delay_alu instid0(VALU_DEP_1) | instskip(NEXT) | instid1(VALU_DEP_1)
	v_mad_u64_u32 v[3:4], null, v21, s9, v[2:3]
	v_mov_b32_e32 v2, v3
	s_delay_alu instid0(VALU_DEP_1) | instskip(NEXT) | instid1(VALU_DEP_1)
	v_lshlrev_b64 v[1:2], 2, v[1:2]
	v_add_co_u32 v1, vcc_lo, s7, v1
	s_delay_alu instid0(VALU_DEP_2)
	v_add_co_ci_u32_e32 v2, vcc_lo, s24, v2, vcc_lo
	global_load_b32 v1, v[1:2], off
	v_lshlrev_b32_e32 v2, 2, v21
	s_waitcnt vmcnt(0)
	ds_store_b32 v2, v1 offset:4096
.LBB133_18:
	s_or_b32 exec_lo, exec_lo, s25
.LBB133_19:
	s_lshr_b32 s7, s20, 31
	s_lshl_b64 s[10:11], s[10:11], 2
	s_add_i32 s7, s20, s7
	s_mul_i32 s14, s14, s23
	s_ashr_i32 s7, s7, 1
	s_add_u32 s10, s4, s10
	s_addc_u32 s11, s5, s11
	s_mul_i32 s4, s3, s17
	s_mul_hi_u32 s5, s3, s16
	v_lshlrev_b32_e32 v9, 1, v5
	s_add_i32 s4, s5, s4
	s_mul_i32 s5, s15, s16
	v_cmp_gt_i32_e32 vcc_lo, s7, v5
	s_add_i32 s5, s4, s5
	s_mul_i32 s4, s3, s16
	s_waitcnt lgkmcnt(0)
	s_lshl_b64 s[4:5], s[4:5], 2
	s_barrier
	s_add_u32 s24, s10, s4
	s_addc_u32 s25, s11, s5
	s_lshl_b32 s10, s14, 5
	buffer_gl0_inv
	s_ashr_i32 s11, s10, 31
	s_delay_alu instid0(SALU_CYCLE_1) | instskip(NEXT) | instid1(SALU_CYCLE_1)
	s_lshl_b64 s[4:5], s[10:11], 2
	s_add_u32 s23, s24, s4
	s_mov_b32 s4, 0
	s_addc_u32 s24, s25, s5
	s_mov_b32 s5, s4
	v_mov_b32_e32 v1, 0
	s_or_b32 s25, s6, vcc_lo
	s_delay_alu instid0(VALU_DEP_1) | instskip(NEXT) | instid1(VALU_DEP_1)
	v_mad_u64_u32 v[7:8], null, v9, s16, v[0:1]
	v_mov_b32_e32 v1, v8
	s_delay_alu instid0(VALU_DEP_1) | instskip(SKIP_1) | instid1(VALU_DEP_2)
	v_mad_u64_u32 v[2:3], null, v9, s17, v[1:2]
	v_dual_mov_b32 v3, s4 :: v_dual_mov_b32 v4, s5
	v_mov_b32_e32 v8, v2
	s_delay_alu instid0(VALU_DEP_1)
	v_lshlrev_b64 v[1:2], 2, v[7:8]
	s_and_saveexec_b32 s4, s25
; %bb.20:
	s_delay_alu instid0(VALU_DEP_1) | instskip(NEXT) | instid1(VALU_DEP_2)
	v_add_co_u32 v3, vcc_lo, s23, v1
	v_add_co_ci_u32_e32 v4, vcc_lo, s24, v2, vcc_lo
	s_lshl_b64 s[6:7], s[16:17], 2
	s_delay_alu instid0(VALU_DEP_2) | instid1(SALU_CYCLE_1)
	v_add_co_u32 v10, vcc_lo, v3, s6
	s_delay_alu instid0(VALU_DEP_2)
	v_add_co_ci_u32_e32 v11, vcc_lo, s7, v4, vcc_lo
	s_clause 0x1
	global_load_b32 v3, v[3:4], off
	global_load_b32 v4, v[10:11], off
; %bb.21:
	s_or_b32 exec_lo, exec_lo, s4
	s_load_b128 s[4:7], s[0:1], 0x60
	v_lshl_or_b32 v22, v5, 5, v0
	s_waitcnt lgkmcnt(0)
	s_lshl_b64 s[0:1], s[4:5], 2
	s_delay_alu instid0(SALU_CYCLE_1)
	s_add_u32 s14, s18, s0
	s_addc_u32 s18, s19, s1
	s_cmp_gt_i32 s22, 0
	s_cbranch_scc1 .LBB133_23
; %bb.22:
	v_lshl_or_b32 v5, v5, 5, v0
	s_mov_b32 s1, 0
	s_delay_alu instid0(VALU_DEP_1)
	v_or_b32_e32 v23, 16, v5
	v_mov_b32_e32 v27, s1
	v_mov_b32_e32 v25, s1
	s_cbranch_execz .LBB133_24
	s_branch .LBB133_38
.LBB133_23:
                                        ; implicit-def: $sgpr1
                                        ; implicit-def: $vgpr5
                                        ; implicit-def: $vgpr23
	v_mov_b32_e32 v27, s1
	v_mov_b32_e32 v25, s1
.LBB133_24:
	v_mad_u64_u32 v[5:6], null, v0, s8, 0
	s_mul_i32 s0, s10, s9
	s_mul_hi_u32 s1, s10, s8
	s_mul_i32 s4, s11, s8
	s_add_i32 s1, s1, s0
	s_mul_i32 s0, s10, s8
	s_add_i32 s1, s1, s4
	s_delay_alu instid0(VALU_DEP_1)
	v_mad_u64_u32 v[10:11], null, v0, s9, v[6:7]
	s_lshl_b64 s[0:1], s[0:1], 2
	v_or_b32_e32 v12, 16, v0
	s_add_u32 s19, s26, s0
	s_addc_u32 s26, s27, s1
	v_mad_u64_u32 v[13:14], null, v21, s6, 0
	s_delay_alu instid0(VALU_DEP_3)
	v_mov_b32_e32 v6, v10
	s_mul_i32 s0, s10, s7
	s_mul_hi_u32 s1, s10, s6
	v_lshl_add_u32 v28, v9, 2, 0x1000
	s_add_i32 s0, s1, s0
	v_lshlrev_b64 v[5:6], 2, v[5:6]
	s_mul_i32 s1, s11, s6
	v_or_b32_e32 v23, 16, v22
	s_add_i32 s1, s0, s1
	s_mul_i32 s0, s10, s6
	v_dual_mov_b32 v27, 0 :: v_dual_mov_b32 v32, 0
	v_add_co_u32 v10, vcc_lo, s19, v5
	v_add_co_ci_u32_e32 v11, vcc_lo, s26, v6, vcc_lo
	s_lshl_b64 s[0:1], s[0:1], 2
	v_mov_b32_e32 v31, 0
	s_add_u32 s4, s14, s0
	global_load_b32 v24, v[10:11], off
	v_mad_u64_u32 v[10:11], null, v12, s8, 0
	s_addc_u32 s5, s18, s1
	s_lshl_b64 s[0:1], s[8:9], 7
	s_add_i32 s10, s22, -1
	s_mov_b32 s11, 0
	v_lshlrev_b32_e32 v26, 2, v22
	v_lshlrev_b32_e32 v29, 2, v21
	s_delay_alu instid0(VALU_DEP_3) | instskip(SKIP_1) | instid1(VALU_DEP_3)
	v_mad_u64_u32 v[15:16], null, v12, s9, v[11:12]
	v_mov_b32_e32 v11, v14
	v_dual_mov_b32 v25, 0 :: v_dual_add_nc_u32 v30, 0x400, v29
	s_lshl_b64 s[8:9], s[16:17], 2
	s_delay_alu instid0(VALU_DEP_2) | instskip(NEXT) | instid1(VALU_DEP_4)
	v_mad_u64_u32 v[16:17], null, v21, s7, v[11:12]
	v_mov_b32_e32 v11, v15
	v_add_co_u32 v15, vcc_lo, v7, s16
	s_delay_alu instid0(VALU_DEP_2) | instskip(NEXT) | instid1(VALU_DEP_4)
	v_lshlrev_b64 v[9:10], 2, v[10:11]
	v_mov_b32_e32 v14, v16
	v_add_co_ci_u32_e32 v16, vcc_lo, s17, v8, vcc_lo
	v_dual_mov_b32 v8, s5 :: v_dual_mov_b32 v7, s4
	s_delay_alu instid0(VALU_DEP_3) | instskip(NEXT) | instid1(VALU_DEP_3)
	v_lshlrev_b64 v[13:14], 2, v[13:14]
	v_lshlrev_b64 v[11:12], 2, v[15:16]
	s_lshl_b64 s[4:5], s[6:7], 7
.LBB133_25:                             ; =>This Loop Header: Depth=1
                                        ;     Child Loop BB133_33 Depth 2
	v_add_co_u32 v15, vcc_lo, s19, v9
	v_add_co_ci_u32_e32 v16, vcc_lo, s26, v10, vcc_lo
	global_load_b32 v33, v[15:16], off
	s_and_saveexec_b32 s16, s25
; %bb.26:                               ;   in Loop: Header=BB133_25 Depth=1
	v_add_co_u32 v15, vcc_lo, s23, v1
	v_add_co_ci_u32_e32 v16, vcc_lo, s24, v2, vcc_lo
	v_add_co_u32 v17, vcc_lo, s23, v11
	v_add_co_ci_u32_e32 v18, vcc_lo, s24, v12, vcc_lo
	s_clause 0x1
	global_load_b32 v31, v[15:16], off offset:64
	global_load_b32 v32, v[17:18], off offset:64
; %bb.27:                               ;   in Loop: Header=BB133_25 Depth=1
	s_or_b32 exec_lo, exec_lo, s16
	ds_load_b64 v[17:18], v28
	s_waitcnt vmcnt(2)
	v_mov_b32_e32 v16, v4
	s_waitcnt vmcnt(1)
	v_dual_mov_b32 v34, v24 :: v_dual_mov_b32 v15, v3
	s_add_u32 s19, s19, s0
	s_addc_u32 s26, s26, s1
	s_cmp_eq_u32 s11, s10
	s_cbranch_scc1 .LBB133_31
; %bb.28:                               ;   in Loop: Header=BB133_25 Depth=1
	v_dual_mov_b32 v16, v4 :: v_dual_mov_b32 v15, v3
	s_and_saveexec_b32 s16, s25
; %bb.29:                               ;   in Loop: Header=BB133_25 Depth=1
	v_add_co_u32 v15, vcc_lo, s23, v1
	v_add_co_ci_u32_e32 v16, vcc_lo, s24, v2, vcc_lo
	s_delay_alu instid0(VALU_DEP_2) | instskip(NEXT) | instid1(VALU_DEP_2)
	v_add_co_u32 v19, vcc_lo, v15, s8
	v_add_co_ci_u32_e32 v20, vcc_lo, s9, v16, vcc_lo
	s_clause 0x1
	global_load_b32 v15, v[15:16], off offset:128
	global_load_b32 v16, v[19:20], off offset:128
; %bb.30:                               ;   in Loop: Header=BB133_25 Depth=1
	s_or_b32 exec_lo, exec_lo, s16
	v_add_co_u32 v19, vcc_lo, s19, v5
	v_add_co_ci_u32_e32 v20, vcc_lo, s26, v6, vcc_lo
	global_load_b32 v34, v[19:20], off
.LBB133_31:                             ;   in Loop: Header=BB133_25 Depth=1
	s_waitcnt lgkmcnt(0)
	v_fma_f32 v19, v3, v17, 0
	v_fma_f32 v17, v31, v17, 0
	s_waitcnt vmcnt(0)
	s_barrier
	buffer_gl0_inv
	v_fmac_f32_e32 v19, v4, v18
	v_fmac_f32_e32 v17, v32, v18
	ds_store_2addr_b32 v26, v19, v17 offset1:16
	s_waitcnt lgkmcnt(0)
	s_barrier
	buffer_gl0_inv
	s_and_saveexec_b32 s16, s2
	s_cbranch_execz .LBB133_35
; %bb.32:                               ;   in Loop: Header=BB133_25 Depth=1
	v_add_co_u32 v17, vcc_lo, v7, v13
	v_add_co_ci_u32_e32 v18, vcc_lo, v8, v14, vcc_lo
	s_mov_b32 s17, 0
	global_load_b32 v20, v[17:18], off
	ds_load_2addr_b32 v[35:36], v29 offset1:32
	ds_load_2addr_b32 v[37:38], v29 offset0:64 offset1:96
	ds_load_2addr_b32 v[39:40], v29 offset0:128 offset1:160
	s_waitcnt lgkmcnt(2)
	v_add_f32_e32 v19, 0, v35
	s_delay_alu instid0(VALU_DEP_1) | instskip(SKIP_3) | instid1(VALU_DEP_1)
	v_add_f32_e32 v19, v19, v36
	ds_load_2addr_b32 v[35:36], v29 offset0:192 offset1:224
	s_waitcnt lgkmcnt(2)
	v_add_f32_e32 v19, v19, v37
	v_add_f32_e32 v19, v19, v38
	ds_load_2addr_b32 v[37:38], v30 offset1:32
	s_waitcnt lgkmcnt(2)
	v_add_f32_e32 v19, v19, v39
	s_delay_alu instid0(VALU_DEP_1) | instskip(SKIP_3) | instid1(VALU_DEP_1)
	v_add_f32_e32 v19, v19, v40
	ds_load_2addr_b32 v[39:40], v30 offset0:64 offset1:96
	s_waitcnt lgkmcnt(2)
	v_add_f32_e32 v19, v19, v35
	v_add_f32_e32 v19, v19, v36
	ds_load_2addr_b32 v[35:36], v30 offset0:128 offset1:160
	s_waitcnt lgkmcnt(2)
	v_add_f32_e32 v19, v19, v37
	s_delay_alu instid0(VALU_DEP_1) | instskip(SKIP_3) | instid1(VALU_DEP_1)
	v_add_f32_e32 v19, v19, v38
	ds_load_2addr_b32 v[37:38], v30 offset0:192 offset1:224
	s_waitcnt lgkmcnt(2)
	v_add_f32_e32 v19, v19, v39
	v_add_f32_e32 v19, v19, v40
	s_waitcnt lgkmcnt(1)
	s_delay_alu instid0(VALU_DEP_1) | instskip(NEXT) | instid1(VALU_DEP_1)
	v_add_f32_e32 v19, v19, v35
	v_add_f32_e32 v19, v19, v36
	s_waitcnt lgkmcnt(0)
	s_delay_alu instid0(VALU_DEP_1) | instskip(NEXT) | instid1(VALU_DEP_1)
	v_add_f32_e32 v19, v19, v37
	v_add_f32_e32 v19, v19, v38
	s_delay_alu instid0(VALU_DEP_1)
	v_mul_f32_e32 v35, s12, v19
.LBB133_33:                             ;   Parent Loop BB133_25 Depth=1
                                        ; =>  This Inner Loop Header: Depth=2
	s_waitcnt vmcnt(0)
	s_delay_alu instid0(VALU_DEP_1)
	v_add_f32_e32 v19, v20, v35
	global_atomic_cmpswap_b32 v19, v[17:18], v[19:20], off glc
	s_waitcnt vmcnt(0)
	v_cmp_eq_u32_e32 vcc_lo, v19, v20
	v_mov_b32_e32 v20, v19
	s_or_b32 s17, vcc_lo, s17
	s_delay_alu instid0(SALU_CYCLE_1)
	s_and_not1_b32 exec_lo, exec_lo, s17
	s_cbranch_execnz .LBB133_33
; %bb.34:                               ;   in Loop: Header=BB133_25 Depth=1
	s_or_b32 exec_lo, exec_lo, s17
	v_add_co_u32 v7, vcc_lo, v7, s4
	v_add_co_ci_u32_e32 v8, vcc_lo, s5, v8, vcc_lo
.LBB133_35:                             ;   in Loop: Header=BB133_25 Depth=1
	s_or_b32 exec_lo, exec_lo, s16
	v_fmac_f32_e32 v25, v24, v3
	v_fmac_f32_e32 v27, v24, v4
	s_add_u32 s23, s23, 0x80
	s_addc_u32 s24, s24, 0
	s_add_i32 s11, s11, 1
	v_fmac_f32_e32 v25, v33, v31
	v_fmac_f32_e32 v27, v33, v32
	s_cmp_eq_u32 s11, s22
	s_cbranch_scc1 .LBB133_37
; %bb.36:                               ;   in Loop: Header=BB133_25 Depth=1
	v_dual_mov_b32 v24, v34 :: v_dual_mov_b32 v3, v15
	v_mov_b32_e32 v4, v16
	s_branch .LBB133_25
.LBB133_37:
	v_mov_b32_e32 v5, v22
.LBB133_38:
	s_delay_alu instid0(VALU_DEP_1)
	v_lshlrev_b32_e32 v1, 2, v5
	v_lshlrev_b32_e32 v2, 2, v23
	ds_store_b32 v1, v25 offset:2048
	ds_store_b32 v2, v27 offset:2048
	s_waitcnt vmcnt(0) lgkmcnt(0)
	s_barrier
	buffer_gl0_inv
	s_and_saveexec_b32 s0, s2
	s_cbranch_execz .LBB133_42
; %bb.39:
	v_cmp_gt_i32_e32 vcc_lo, s20, v21
	s_cmp_lt_u32 s13, s21
	s_cselect_b32 s0, -1, 0
	s_delay_alu instid0(SALU_CYCLE_1) | instskip(NEXT) | instid1(SALU_CYCLE_1)
	s_or_b32 s0, vcc_lo, s0
	s_and_b32 exec_lo, exec_lo, s0
	s_cbranch_execz .LBB133_42
; %bb.40:
	v_mad_u64_u32 v[1:2], null, v21, s6, 0
	s_mul_i32 s0, s3, s7
	s_mul_hi_u32 s1, s3, s6
	s_mul_i32 s2, s15, s6
	s_add_i32 s1, s1, s0
	s_mul_i32 s0, s3, s6
	s_add_i32 s1, s1, s2
	s_delay_alu instid0(VALU_DEP_1)
	v_mad_u64_u32 v[3:4], null, v21, s7, v[2:3]
	s_lshl_b64 s[0:1], s[0:1], 2
	v_add_nc_u32_e32 v6, 2, v21
	s_add_u32 s0, s14, s0
	s_addc_u32 s1, s18, s1
	v_add_nc_u32_e32 v7, 3, v21
	s_delay_alu instid0(VALU_DEP_3)
	v_dual_mov_b32 v2, v3 :: v_dual_add_nc_u32 v9, 4, v21
	v_lshlrev_b32_e32 v3, 4, v21
	v_add_nc_u32_e32 v10, 5, v21
	v_add_nc_u32_e32 v11, 6, v21
	;; [unrolled: 1-line block ×3, first 2 shown]
	v_lshlrev_b64 v[1:2], 2, v[1:2]
	v_or_b32_e32 v0, v0, v3
	v_and_or_b32 v6, v6, 15, v3
	v_and_or_b32 v7, v7, 15, v3
	;; [unrolled: 1-line block ×4, first 2 shown]
	v_add_co_u32 v1, vcc_lo, s0, v1
	v_add_co_ci_u32_e32 v2, vcc_lo, s1, v2, vcc_lo
	v_lshlrev_b32_e32 v8, 2, v0
	v_and_or_b32 v11, v11, 15, v3
	v_and_or_b32 v12, v12, 15, v3
	global_load_b32 v4, v[1:2], off
	v_lshlrev_b32_e32 v7, 2, v7
	ds_load_b32 v8, v8 offset:2048
	v_add_nc_u32_e32 v5, 1, v21
	v_lshlrev_b32_e32 v9, 2, v9
	v_lshlrev_b32_e32 v10, 2, v10
	;; [unrolled: 1-line block ×4, first 2 shown]
	v_and_or_b32 v5, v5, 15, v3
	v_xor_b32_e32 v0, 8, v0
	s_mov_b32 s0, 0
	s_delay_alu instid0(VALU_DEP_2) | instskip(NEXT) | instid1(VALU_DEP_2)
	v_lshlrev_b32_e32 v5, 2, v5
	v_lshlrev_b32_e32 v0, 2, v0
	ds_load_b32 v5, v5 offset:2048
	v_lshlrev_b32_e32 v6, 2, v6
	ds_load_b32 v6, v6 offset:2048
	ds_load_b32 v7, v7 offset:2048
	;; [unrolled: 1-line block ×6, first 2 shown]
	s_waitcnt lgkmcnt(7)
	v_add_f32_e32 v8, 0, v8
	ds_load_b32 v0, v0 offset:2048
	s_waitcnt lgkmcnt(7)
	v_add_f32_e32 v5, v8, v5
	s_waitcnt lgkmcnt(6)
	s_delay_alu instid0(VALU_DEP_1) | instskip(NEXT) | instid1(VALU_DEP_1)
	v_dual_add_f32 v5, v5, v6 :: v_dual_add_nc_u32 v8, 11, v21
	v_and_or_b32 v8, v8, 15, v3
	s_waitcnt lgkmcnt(5)
	s_delay_alu instid0(VALU_DEP_2) | instskip(SKIP_2) | instid1(VALU_DEP_2)
	v_add_f32_e32 v5, v5, v7
	v_add_nc_u32_e32 v7, 10, v21
	s_waitcnt lgkmcnt(4)
	v_dual_add_f32 v5, v5, v9 :: v_dual_lshlrev_b32 v8, 2, v8
	s_delay_alu instid0(VALU_DEP_2) | instskip(SKIP_2) | instid1(VALU_DEP_3)
	v_and_or_b32 v7, v7, 15, v3
	v_add_nc_u32_e32 v9, 12, v21
	s_waitcnt lgkmcnt(3)
	v_add_f32_e32 v5, v5, v10
	s_delay_alu instid0(VALU_DEP_3)
	v_lshlrev_b32_e32 v7, 2, v7
	v_add_nc_u32_e32 v10, 13, v21
	v_and_or_b32 v9, v9, 15, v3
	s_waitcnt lgkmcnt(2)
	v_dual_add_f32 v5, v5, v11 :: v_dual_add_nc_u32 v6, 9, v21
	v_add_nc_u32_e32 v11, 14, v21
	v_and_or_b32 v10, v10, 15, v3
	v_lshlrev_b32_e32 v9, 2, v9
	s_waitcnt lgkmcnt(1)
	v_add_f32_e32 v5, v5, v12
	v_and_or_b32 v6, v6, 15, v3
	v_add_nc_u32_e32 v12, -1, v21
	ds_load_b32 v7, v7 offset:2048
	v_and_or_b32 v11, v11, 15, v3
	v_lshlrev_b32_e32 v10, 2, v10
	v_lshlrev_b32_e32 v6, 2, v6
	v_and_or_b32 v3, v12, 15, v3
	s_delay_alu instid0(VALU_DEP_4)
	v_lshlrev_b32_e32 v11, 2, v11
	ds_load_b32 v6, v6 offset:2048
	v_lshlrev_b32_e32 v3, 2, v3
	ds_load_b32 v8, v8 offset:2048
	ds_load_b32 v9, v9 offset:2048
	ds_load_b32 v10, v10 offset:2048
	ds_load_b32 v11, v11 offset:2048
	ds_load_b32 v3, v3 offset:2048
	s_waitcnt lgkmcnt(7)
	v_add_f32_e32 v0, v5, v0
	s_waitcnt lgkmcnt(5)
	s_delay_alu instid0(VALU_DEP_1) | instskip(NEXT) | instid1(VALU_DEP_1)
	v_add_f32_e32 v0, v0, v6
	v_add_f32_e32 v0, v0, v7
	s_waitcnt lgkmcnt(4)
	s_delay_alu instid0(VALU_DEP_1) | instskip(SKIP_1) | instid1(VALU_DEP_1)
	v_add_f32_e32 v0, v0, v8
	s_waitcnt lgkmcnt(3)
	v_add_f32_e32 v0, v0, v9
	s_waitcnt lgkmcnt(2)
	s_delay_alu instid0(VALU_DEP_1) | instskip(SKIP_1) | instid1(VALU_DEP_1)
	v_add_f32_e32 v0, v0, v10
	s_waitcnt lgkmcnt(1)
	v_add_f32_e32 v0, v0, v11
	s_waitcnt lgkmcnt(0)
	s_delay_alu instid0(VALU_DEP_1) | instskip(NEXT) | instid1(VALU_DEP_1)
	v_add_f32_e32 v0, v0, v3
	v_mul_f32_e32 v0, s12, v0
.LBB133_41:                             ; =>This Inner Loop Header: Depth=1
	s_waitcnt vmcnt(0)
	s_delay_alu instid0(VALU_DEP_1)
	v_add_f32_e32 v3, v4, v0
	global_atomic_cmpswap_b32 v3, v[1:2], v[3:4], off glc
	s_waitcnt vmcnt(0)
	v_cmp_eq_u32_e32 vcc_lo, v3, v4
	v_mov_b32_e32 v4, v3
	s_or_b32 s0, vcc_lo, s0
	s_delay_alu instid0(SALU_CYCLE_1)
	s_and_not1_b32 exec_lo, exec_lo, s0
	s_cbranch_execnz .LBB133_41
.LBB133_42:
	s_endpgm
	.section	.rodata,"a",@progbits
	.p2align	6, 0x0
	.amdhsa_kernel _ZL62rocblas_symv_kernel_upper_double_buffered_non_diagonal_genericILi32ELi8ELi2ELi0E24rocblas_internal_val_ptrIfEPKPKfPKPfEvbiT3_lT4_lllSA_lllT5_lllii
		.amdhsa_group_segment_fixed_size 4224
		.amdhsa_private_segment_fixed_size 0
		.amdhsa_kernarg_size 384
		.amdhsa_user_sgpr_count 13
		.amdhsa_user_sgpr_dispatch_ptr 0
		.amdhsa_user_sgpr_queue_ptr 0
		.amdhsa_user_sgpr_kernarg_segment_ptr 1
		.amdhsa_user_sgpr_dispatch_id 0
		.amdhsa_user_sgpr_private_segment_size 0
		.amdhsa_wavefront_size32 1
		.amdhsa_uses_dynamic_stack 0
		.amdhsa_enable_private_segment 0
		.amdhsa_system_sgpr_workgroup_id_x 1
		.amdhsa_system_sgpr_workgroup_id_y 1
		.amdhsa_system_sgpr_workgroup_id_z 1
		.amdhsa_system_sgpr_workgroup_info 0
		.amdhsa_system_vgpr_workitem_id 1
		.amdhsa_next_free_vgpr 41
		.amdhsa_next_free_sgpr 29
		.amdhsa_reserve_vcc 1
		.amdhsa_float_round_mode_32 0
		.amdhsa_float_round_mode_16_64 0
		.amdhsa_float_denorm_mode_32 3
		.amdhsa_float_denorm_mode_16_64 3
		.amdhsa_dx10_clamp 1
		.amdhsa_ieee_mode 1
		.amdhsa_fp16_overflow 0
		.amdhsa_workgroup_processor_mode 1
		.amdhsa_memory_ordered 1
		.amdhsa_forward_progress 0
		.amdhsa_shared_vgpr_count 0
		.amdhsa_exception_fp_ieee_invalid_op 0
		.amdhsa_exception_fp_denorm_src 0
		.amdhsa_exception_fp_ieee_div_zero 0
		.amdhsa_exception_fp_ieee_overflow 0
		.amdhsa_exception_fp_ieee_underflow 0
		.amdhsa_exception_fp_ieee_inexact 0
		.amdhsa_exception_int_div_zero 0
	.end_amdhsa_kernel
	.section	.text._ZL62rocblas_symv_kernel_upper_double_buffered_non_diagonal_genericILi32ELi8ELi2ELi0E24rocblas_internal_val_ptrIfEPKPKfPKPfEvbiT3_lT4_lllSA_lllT5_lllii,"axG",@progbits,_ZL62rocblas_symv_kernel_upper_double_buffered_non_diagonal_genericILi32ELi8ELi2ELi0E24rocblas_internal_val_ptrIfEPKPKfPKPfEvbiT3_lT4_lllSA_lllT5_lllii,comdat
.Lfunc_end133:
	.size	_ZL62rocblas_symv_kernel_upper_double_buffered_non_diagonal_genericILi32ELi8ELi2ELi0E24rocblas_internal_val_ptrIfEPKPKfPKPfEvbiT3_lT4_lllSA_lllT5_lllii, .Lfunc_end133-_ZL62rocblas_symv_kernel_upper_double_buffered_non_diagonal_genericILi32ELi8ELi2ELi0E24rocblas_internal_val_ptrIfEPKPKfPKPfEvbiT3_lT4_lllSA_lllT5_lllii
                                        ; -- End function
	.section	.AMDGPU.csdata,"",@progbits
; Kernel info:
; codeLenInByte = 2832
; NumSgprs: 31
; NumVgprs: 41
; ScratchSize: 0
; MemoryBound: 0
; FloatMode: 240
; IeeeMode: 1
; LDSByteSize: 4224 bytes/workgroup (compile time only)
; SGPRBlocks: 3
; VGPRBlocks: 5
; NumSGPRsForWavesPerEU: 31
; NumVGPRsForWavesPerEU: 41
; Occupancy: 16
; WaveLimiterHint : 1
; COMPUTE_PGM_RSRC2:SCRATCH_EN: 0
; COMPUTE_PGM_RSRC2:USER_SGPR: 13
; COMPUTE_PGM_RSRC2:TRAP_HANDLER: 0
; COMPUTE_PGM_RSRC2:TGID_X_EN: 1
; COMPUTE_PGM_RSRC2:TGID_Y_EN: 1
; COMPUTE_PGM_RSRC2:TGID_Z_EN: 1
; COMPUTE_PGM_RSRC2:TIDIG_COMP_CNT: 1
	.section	.text._ZL62rocblas_symv_kernel_upper_double_buffered_non_diagonal_genericILi32ELi8ELi2ELi1E24rocblas_internal_val_ptrIfEPKPKfPKPfEvbiT3_lT4_lllSA_lllT5_lllii,"axG",@progbits,_ZL62rocblas_symv_kernel_upper_double_buffered_non_diagonal_genericILi32ELi8ELi2ELi1E24rocblas_internal_val_ptrIfEPKPKfPKPfEvbiT3_lT4_lllSA_lllT5_lllii,comdat
	.globl	_ZL62rocblas_symv_kernel_upper_double_buffered_non_diagonal_genericILi32ELi8ELi2ELi1E24rocblas_internal_val_ptrIfEPKPKfPKPfEvbiT3_lT4_lllSA_lllT5_lllii ; -- Begin function _ZL62rocblas_symv_kernel_upper_double_buffered_non_diagonal_genericILi32ELi8ELi2ELi1E24rocblas_internal_val_ptrIfEPKPKfPKPfEvbiT3_lT4_lllSA_lllT5_lllii
	.p2align	8
	.type	_ZL62rocblas_symv_kernel_upper_double_buffered_non_diagonal_genericILi32ELi8ELi2ELi1E24rocblas_internal_val_ptrIfEPKPKfPKPfEvbiT3_lT4_lllSA_lllT5_lllii,@function
_ZL62rocblas_symv_kernel_upper_double_buffered_non_diagonal_genericILi32ELi8ELi2ELi1E24rocblas_internal_val_ptrIfEPKPKfPKPfEvbiT3_lT4_lllSA_lllT5_lllii: ; @_ZL62rocblas_symv_kernel_upper_double_buffered_non_diagonal_genericILi32ELi8ELi2ELi1E24rocblas_internal_val_ptrIfEPKPKfPKPfEvbiT3_lT4_lllSA_lllT5_lllii
; %bb.0:
	s_clause 0x2
	s_load_b32 s2, s[0:1], 0x0
	s_load_b256 s[4:11], s[0:1], 0x8
	s_load_b64 s[16:17], s[0:1], 0x28
	s_mov_b32 s18, s15
	s_waitcnt lgkmcnt(0)
	s_bitcmp0_b32 s2, 0
	s_mov_b32 s2, 0
	s_cbranch_scc0 .LBB134_2
; %bb.1:
	s_mul_i32 s3, s18, s7
	s_mul_hi_u32 s7, s18, s6
	s_mul_i32 s6, s18, s6
	s_add_i32 s7, s7, s3
	s_delay_alu instid0(SALU_CYCLE_1) | instskip(NEXT) | instid1(SALU_CYCLE_1)
	s_lshl_b64 s[6:7], s[6:7], 2
	s_add_u32 s6, s4, s6
	s_addc_u32 s7, s5, s7
	s_load_b32 s12, s[6:7], 0x0
	s_and_not1_b32 vcc_lo, exec_lo, s2
	s_cbranch_vccz .LBB134_3
	s_branch .LBB134_4
.LBB134_2:
                                        ; implicit-def: $sgpr12
.LBB134_3:
	s_waitcnt lgkmcnt(0)
	s_mov_b32 s12, s4
.LBB134_4:
	s_waitcnt lgkmcnt(0)
	v_cmp_eq_f32_e64 s2, s12, 0
	s_delay_alu instid0(VALU_DEP_1)
	s_and_b32 vcc_lo, exec_lo, s2
	s_cbranch_vccnz .LBB134_66
; %bb.5:
	s_load_b32 s15, s[0:1], 0x84
	s_add_u32 s2, s0, 0x80
	s_addc_u32 s3, s1, 0
	s_cmp_eq_u32 s13, 0
	s_waitcnt lgkmcnt(0)
	v_cvt_f32_u32_e32 v1, s15
	s_delay_alu instid0(VALU_DEP_1) | instskip(SKIP_2) | instid1(VALU_DEP_1)
	v_rcp_iflag_f32_e32 v1, v1
	s_waitcnt_depctr 0xfff
	v_mul_f32_e32 v1, 0x4f7ffffe, v1
	v_cvt_u32_f32_e32 v1, v1
	s_delay_alu instid0(VALU_DEP_1)
	v_readfirstlane_b32 s20, v1
	s_cbranch_scc1 .LBB134_66
; %bb.6:
	s_clause 0x1
	s_load_b128 s[4:7], s[0:1], 0x38
	s_load_b64 s[22:23], s[0:1], 0x58
	s_sub_i32 s19, 0, s15
	s_delay_alu instid0(SALU_CYCLE_1)
	s_mul_i32 s21, s19, s20
	s_mov_b32 s19, 0
	s_mul_hi_u32 s21, s20, s21
	s_lshl_b64 s[24:25], s[18:19], 3
	s_add_i32 s20, s20, s21
	s_add_u32 s18, s8, s24
	s_mul_hi_u32 s8, s13, s20
	s_addc_u32 s19, s9, s25
	s_mul_i32 s9, s8, s15
	s_waitcnt lgkmcnt(0)
	s_add_u32 s4, s4, s24
	s_addc_u32 s5, s5, s25
	s_add_u32 s20, s22, s24
	s_addc_u32 s21, s23, s25
	s_sub_i32 s9, s13, s9
	s_add_i32 s22, s8, 1
	s_sub_i32 s23, s9, s15
	s_cmp_ge_u32 s9, s15
	s_cselect_b32 s8, s22, s8
	s_cselect_b32 s9, s23, s9
	s_add_i32 s22, s8, 1
	s_cmp_ge_u32 s9, s15
	s_cselect_b32 s24, s22, s8
	s_add_i32 s8, s15, -1
	s_mov_b32 s22, s24
	s_cmp_lg_u32 s14, s8
	s_cbranch_scc1 .LBB134_8
; %bb.7:
	s_mul_i32 s8, s24, s15
	s_delay_alu instid0(SALU_CYCLE_1) | instskip(NEXT) | instid1(SALU_CYCLE_1)
	s_sub_i32 s8, s13, s8
	s_add_i32 s22, s8, s24
.LBB134_8:
	s_delay_alu instid0(SALU_CYCLE_1)
	s_cmp_eq_u32 s22, 0
	s_cbranch_scc1 .LBB134_66
; %bb.9:
	s_load_b64 s[26:27], s[4:5], 0x0
	s_load_b64 s[8:9], s[0:1], 0x48
	s_load_b32 s23, s[2:3], 0x0
	s_lshl_b64 s[2:3], s[6:7], 2
	s_load_b64 s[4:5], s[18:19], 0x0
	s_load_b64 s[18:19], s[20:21], 0x0
	v_and_b32_e32 v19, 0x3ff, v0
	v_bfe_u32 v0, v0, 10, 10
	s_mov_b32 s25, -1
	s_delay_alu instid0(VALU_DEP_1) | instskip(SKIP_4) | instid1(SALU_CYCLE_1)
	v_lshl_add_u32 v1, v0, 5, v19
	s_waitcnt lgkmcnt(0)
	s_add_u32 s26, s26, s2
	s_addc_u32 s27, s27, s3
	s_lshl_b32 s15, s13, 5
	s_mul_i32 s2, s15, s9
	s_mul_hi_u32 s3, s15, s8
	s_ashr_i32 s20, s15, 31
	s_add_i32 s3, s3, s2
	s_mul_i32 s6, s20, s8
	s_mul_i32 s2, s15, s8
	s_add_i32 s3, s3, s6
	s_delay_alu instid0(SALU_CYCLE_1) | instskip(NEXT) | instid1(SALU_CYCLE_1)
	s_lshl_b64 s[2:3], s[2:3], 2
	s_add_u32 s6, s26, s2
	s_addc_u32 s7, s27, s3
	s_add_i32 s21, s23, -1
	v_cmp_eq_u32_e64 s2, 0, v0
	s_cmp_lg_u32 s13, s21
	s_cselect_b32 s3, -1, 0
	s_delay_alu instid0(SALU_CYCLE_1)
	s_and_b32 vcc_lo, exec_lo, s3
	s_cbranch_vccz .LBB134_13
; %bb.10:
	s_and_saveexec_b32 s23, s2
	s_cbranch_execz .LBB134_12
; %bb.11:
	v_mad_u64_u32 v[2:3], null, v19, s8, 0
	s_delay_alu instid0(VALU_DEP_1) | instskip(NEXT) | instid1(VALU_DEP_1)
	v_mov_b32_e32 v0, v3
	v_mad_u64_u32 v[3:4], null, v19, s9, v[0:1]
	s_delay_alu instid0(VALU_DEP_1) | instskip(NEXT) | instid1(VALU_DEP_1)
	v_lshlrev_b64 v[2:3], 2, v[2:3]
	v_add_co_u32 v2, vcc_lo, s6, v2
	s_delay_alu instid0(VALU_DEP_2)
	v_add_co_ci_u32_e32 v3, vcc_lo, s7, v3, vcc_lo
	global_load_b32 v0, v[2:3], off
	v_lshlrev_b32_e32 v2, 2, v19
	s_waitcnt vmcnt(0)
	ds_store_b32 v2, v0 offset:4096
.LBB134_12:
	s_or_b32 exec_lo, exec_lo, s23
	s_mov_b32 s25, 0
.LBB134_13:
	s_load_b32 s23, s[0:1], 0x78
	v_and_b32_e32 v0, 15, v19
	v_lshrrev_b32_e32 v7, 4, v1
	s_and_not1_b32 vcc_lo, exec_lo, s25
	s_cbranch_vccnz .LBB134_19
; %bb.14:
	s_and_saveexec_b32 s25, s2
	s_cbranch_execz .LBB134_18
; %bb.15:
	v_mov_b32_e32 v1, 0
	s_mov_b32 s28, exec_lo
	s_waitcnt lgkmcnt(0)
	v_cmpx_gt_i32_e64 s23, v19
	s_cbranch_execz .LBB134_17
; %bb.16:
	v_mad_u64_u32 v[1:2], null, v19, s8, 0
	s_delay_alu instid0(VALU_DEP_1) | instskip(NEXT) | instid1(VALU_DEP_1)
	v_mad_u64_u32 v[3:4], null, v19, s9, v[2:3]
	v_mov_b32_e32 v2, v3
	s_delay_alu instid0(VALU_DEP_1) | instskip(NEXT) | instid1(VALU_DEP_1)
	v_lshlrev_b64 v[1:2], 2, v[1:2]
	v_add_co_u32 v1, vcc_lo, s6, v1
	s_delay_alu instid0(VALU_DEP_2)
	v_add_co_ci_u32_e32 v2, vcc_lo, s7, v2, vcc_lo
	global_load_b32 v1, v[1:2], off
.LBB134_17:
	s_or_b32 exec_lo, exec_lo, s28
	v_lshlrev_b32_e32 v2, 2, v19
	s_waitcnt vmcnt(0)
	ds_store_b32 v2, v1 offset:4096
.LBB134_18:
	s_or_b32 exec_lo, exec_lo, s25
	v_dual_mov_b32 v2, 0 :: v_dual_lshlrev_b32 v1, 2, v0
	s_delay_alu instid0(VALU_DEP_1) | instskip(NEXT) | instid1(VALU_DEP_1)
	v_lshl_or_b32 v1, v7, 7, v1
	v_add_nc_u32_e32 v3, 0x800, v1
	ds_store_2addr_b32 v1, v2, v2 offset1:16
	ds_store_2addr_b32 v3, v2, v2 offset1:16
.LBB134_19:
	s_delay_alu instid0(VALU_DEP_1)
	v_dual_mov_b32 v1, 0 :: v_dual_lshlrev_b32 v8, 1, v7
	s_waitcnt lgkmcnt(0)
	s_lshr_b32 s6, s23, 31
	s_mul_i32 s14, s14, s24
	s_add_i32 s25, s23, s6
	s_lshl_b64 s[6:7], s[10:11], 2
	v_mad_u64_u32 v[2:3], null, v8, s16, v[0:1]
	s_ashr_i32 s28, s25, 1
	s_add_u32 s6, s4, s6
	s_mul_i32 s4, s15, s17
	s_mul_hi_u32 s10, s15, s16
	s_addc_u32 s7, s5, s7
	s_add_i32 s4, s10, s4
	s_delay_alu instid0(VALU_DEP_1)
	v_mov_b32_e32 v1, v3
	s_mul_i32 s5, s20, s16
	v_cndmask_b32_e64 v20, 0, 1, s3
	s_add_i32 s5, s4, s5
	s_mul_i32 s4, s15, s16
	v_mad_u64_u32 v[3:4], null, v8, s17, v[1:2]
	s_lshl_b64 s[4:5], s[4:5], 2
	s_delay_alu instid0(SALU_CYCLE_1) | instskip(SKIP_4) | instid1(VALU_DEP_1)
	s_add_u32 s6, s6, s4
	s_addc_u32 s7, s7, s5
	s_lshl_b32 s10, s14, 5
	s_barrier
	s_ashr_i32 s11, s10, 31
	v_lshlrev_b64 v[1:2], 2, v[2:3]
	s_lshl_b64 s[4:5], s[10:11], 2
	buffer_gl0_inv
	s_add_u32 s24, s6, s4
	s_addc_u32 s25, s7, s5
	s_and_not1_b32 vcc_lo, exec_lo, s3
	s_cbranch_vccnz .LBB134_21
; %bb.20:
	v_add_co_u32 v3, vcc_lo, s24, v1
	v_add_co_ci_u32_e32 v4, vcc_lo, s25, v2, vcc_lo
	s_lshl_b64 s[4:5], s[16:17], 2
	s_delay_alu instid0(VALU_DEP_2) | instid1(SALU_CYCLE_1)
	v_add_co_u32 v5, vcc_lo, v3, s4
	s_delay_alu instid0(VALU_DEP_2)
	v_add_co_ci_u32_e32 v6, vcc_lo, s5, v4, vcc_lo
	s_clause 0x1
	global_load_b32 v3, v[3:4], off
	global_load_b32 v4, v[5:6], off
	v_cmp_le_i32_e64 s3, s28, v7
	s_cbranch_execz .LBB134_22
	s_branch .LBB134_29
.LBB134_21:
                                        ; implicit-def: $vgpr3_vgpr4
	v_cmp_le_i32_e64 s3, s28, v7
.LBB134_22:
                                        ; implicit-def: $vgpr3_vgpr4
	s_delay_alu instid0(VALU_DEP_1) | instskip(NEXT) | instid1(SALU_CYCLE_1)
	s_and_saveexec_b32 s4, s3
	s_xor_b32 s3, exec_lo, s4
	s_cbranch_execz .LBB134_26
; %bb.23:
	s_mov_b32 s4, 0
	s_delay_alu instid0(SALU_CYCLE_1)
	s_mov_b32 s5, s4
	s_waitcnt vmcnt(0)
	v_dual_mov_b32 v3, s4 :: v_dual_mov_b32 v4, s5
	s_mov_b32 s4, exec_lo
	v_cmpx_eq_u32_e64 s28, v7
	s_cbranch_execz .LBB134_25
; %bb.24:
	v_add_co_u32 v3, vcc_lo, s24, v1
	v_add_co_ci_u32_e32 v4, vcc_lo, s25, v2, vcc_lo
	global_load_b32 v3, v[3:4], off
	v_mov_b32_e32 v4, 0
.LBB134_25:
	s_or_b32 exec_lo, exec_lo, s4
.LBB134_26:
	s_and_not1_saveexec_b32 s3, s3
	s_cbranch_execz .LBB134_28
; %bb.27:
	s_waitcnt vmcnt(0)
	v_add_co_u32 v3, vcc_lo, s24, v1
	v_add_co_ci_u32_e32 v4, vcc_lo, s25, v2, vcc_lo
	s_lshl_b64 s[4:5], s[16:17], 2
	s_delay_alu instid0(VALU_DEP_2) | instid1(SALU_CYCLE_1)
	v_add_co_u32 v5, vcc_lo, v3, s4
	s_delay_alu instid0(VALU_DEP_2)
	v_add_co_ci_u32_e32 v6, vcc_lo, s5, v4, vcc_lo
	s_clause 0x1
	global_load_b32 v3, v[3:4], off
	global_load_b32 v4, v[5:6], off
.LBB134_28:
	s_or_b32 exec_lo, exec_lo, s3
.LBB134_29:
	s_load_b128 s[4:7], s[0:1], 0x60
	v_lshl_or_b32 v21, v7, 5, v0
	s_waitcnt lgkmcnt(0)
	s_lshl_b64 s[0:1], s[4:5], 2
	s_delay_alu instid0(SALU_CYCLE_1)
	s_add_u32 s3, s18, s0
	s_addc_u32 s14, s19, s1
	s_cmp_gt_i32 s22, 0
	s_mov_b32 s0, 0
	s_cbranch_scc1 .LBB134_31
; %bb.30:
	v_lshl_or_b32 v5, v7, 5, v0
	s_mov_b32 s1, 0
	s_delay_alu instid0(VALU_DEP_1)
	v_or_b32_e32 v22, 16, v5
	v_dual_mov_b32 v25, s1 :: v_dual_mov_b32 v24, s1
	s_and_not1_b32 vcc_lo, exec_lo, s0
	s_cbranch_vccz .LBB134_32
	s_branch .LBB134_62
.LBB134_31:
                                        ; implicit-def: $sgpr1
                                        ; implicit-def: $vgpr5
                                        ; implicit-def: $vgpr22
	v_dual_mov_b32 v25, s1 :: v_dual_mov_b32 v24, s1
.LBB134_32:
	s_mul_i32 s0, s10, s9
	s_mul_hi_u32 s1, s10, s8
	v_mad_u64_u32 v[5:6], null, v0, s8, 0
	s_mul_i32 s4, s11, s8
	s_add_i32 s1, s1, s0
	s_mul_i32 s0, s10, s8
	s_add_i32 s1, s1, s4
	v_lshl_add_u32 v27, v8, 2, 0x1000
	s_lshl_b64 s[0:1], s[0:1], 2
	s_delay_alu instid0(VALU_DEP_2)
	v_mad_u64_u32 v[9:10], null, v0, s9, v[6:7]
	s_add_u32 s18, s26, s0
	s_addc_u32 s19, s27, s1
	s_mul_i32 s0, s10, s7
	s_mul_hi_u32 s1, s10, s6
	v_or_b32_e32 v15, 16, v0
	s_add_i32 s0, s1, s0
	s_mul_i32 s1, s11, s6
	v_mad_u64_u32 v[11:12], null, v19, s6, 0
	s_add_i32 s1, s0, s1
	s_mul_i32 s0, s10, s6
	v_lshlrev_b32_e32 v26, 2, v21
	s_lshl_b64 s[0:1], s[0:1], 2
	v_or_b32_e32 v22, 16, v21
	s_add_u32 s10, s3, s0
	s_addc_u32 s11, s14, s1
	v_mov_b32_e32 v6, v9
	v_cmp_le_i32_e64 s0, s28, v7
	v_cmp_eq_u32_e64 s1, s28, v7
	v_dual_mov_b32 v7, s10 :: v_dual_lshlrev_b32 v28, 2, v19
	s_delay_alu instid0(VALU_DEP_4)
	v_lshlrev_b64 v[5:6], 2, v[5:6]
	v_mov_b32_e32 v8, s11
	v_mov_b32_e32 v24, 0
	s_lshl_b64 s[4:5], s[8:9], 7
	s_add_i32 s26, s22, -1
	s_mov_b32 s27, 0
	v_add_co_u32 v9, vcc_lo, s18, v5
	v_add_co_ci_u32_e32 v10, vcc_lo, s19, v6, vcc_lo
	s_lshl_b64 s[10:11], s[16:17], 2
	v_mov_b32_e32 v25, 0
	global_load_b32 v23, v[9:10], off
	v_mad_u64_u32 v[9:10], null, v15, s8, 0
	s_delay_alu instid0(VALU_DEP_1) | instskip(SKIP_2) | instid1(VALU_DEP_1)
	v_mad_u64_u32 v[13:14], null, v15, s9, v[10:11]
	v_mov_b32_e32 v10, v12
	s_lshl_b64 s[8:9], s[6:7], 7
	v_mad_u64_u32 v[14:15], null, v19, s7, v[10:11]
	s_delay_alu instid0(VALU_DEP_3) | instskip(NEXT) | instid1(VALU_DEP_1)
	v_dual_mov_b32 v10, v13 :: v_dual_mov_b32 v13, 0
	v_lshlrev_b64 v[9:10], 2, v[9:10]
	s_delay_alu instid0(VALU_DEP_3) | instskip(SKIP_1) | instid1(VALU_DEP_2)
	v_mov_b32_e32 v12, v14
	v_mov_b32_e32 v14, 0
	v_lshlrev_b64 v[11:12], 2, v[11:12]
.LBB134_33:                             ; =>This Loop Header: Depth=1
                                        ;     Child Loop BB134_57 Depth 2
	s_delay_alu instid0(VALU_DEP_4)
	v_add_co_u32 v15, vcc_lo, s18, v9
	v_add_co_ci_u32_e32 v16, vcc_lo, s19, v10, vcc_lo
	v_cmp_ne_u32_e32 vcc_lo, 1, v20
	global_load_b32 v29, v[15:16], off
	s_cbranch_vccnz .LBB134_35
; %bb.34:                               ;   in Loop: Header=BB134_33 Depth=1
	v_add_co_u32 v15, vcc_lo, s24, v1
	v_add_co_ci_u32_e32 v16, vcc_lo, s25, v2, vcc_lo
	s_delay_alu instid0(VALU_DEP_2) | instskip(NEXT) | instid1(VALU_DEP_2)
	v_add_co_u32 v17, vcc_lo, v15, s10
	v_add_co_ci_u32_e32 v18, vcc_lo, s11, v16, vcc_lo
	s_clause 0x1
	global_load_b32 v30, v[15:16], off offset:64
	global_load_b32 v31, v[17:18], off offset:64
	s_cbranch_execz .LBB134_36
	s_branch .LBB134_43
.LBB134_35:                             ;   in Loop: Header=BB134_33 Depth=1
                                        ; implicit-def: $vgpr31
                                        ; implicit-def: $vgpr30
.LBB134_36:                             ;   in Loop: Header=BB134_33 Depth=1
	s_and_saveexec_b32 s16, s0
	s_delay_alu instid0(SALU_CYCLE_1)
	s_xor_b32 s16, exec_lo, s16
	s_cbranch_execz .LBB134_40
; %bb.37:                               ;   in Loop: Header=BB134_33 Depth=1
	s_and_saveexec_b32 s17, s1
	s_cbranch_execz .LBB134_39
; %bb.38:                               ;   in Loop: Header=BB134_33 Depth=1
	v_add_co_u32 v14, vcc_lo, s24, v1
	v_add_co_ci_u32_e32 v15, vcc_lo, s25, v2, vcc_lo
	global_load_b32 v14, v[14:15], off offset:64
.LBB134_39:                             ;   in Loop: Header=BB134_33 Depth=1
	s_or_b32 exec_lo, exec_lo, s17
.LBB134_40:                             ;   in Loop: Header=BB134_33 Depth=1
	s_and_not1_saveexec_b32 s16, s16
	s_cbranch_execz .LBB134_42
; %bb.41:                               ;   in Loop: Header=BB134_33 Depth=1
	v_add_co_u32 v13, vcc_lo, s24, v1
	s_waitcnt vmcnt(0)
	v_add_co_ci_u32_e32 v14, vcc_lo, s25, v2, vcc_lo
	s_delay_alu instid0(VALU_DEP_2) | instskip(NEXT) | instid1(VALU_DEP_2)
	v_add_co_u32 v15, vcc_lo, v13, s10
	v_add_co_ci_u32_e32 v16, vcc_lo, s11, v14, vcc_lo
	s_clause 0x1
	global_load_b32 v14, v[13:14], off offset:64
	global_load_b32 v13, v[15:16], off offset:64
.LBB134_42:                             ;   in Loop: Header=BB134_33 Depth=1
	s_or_b32 exec_lo, exec_lo, s16
	s_waitcnt vmcnt(0)
	v_dual_mov_b32 v30, v14 :: v_dual_mov_b32 v31, v13
.LBB134_43:                             ;   in Loop: Header=BB134_33 Depth=1
	ds_load_b64 v[15:16], v27
	s_waitcnt vmcnt(1)
	v_mov_b32_e32 v32, v23
	v_dual_mov_b32 v14, v4 :: v_dual_mov_b32 v13, v3
	s_add_u32 s18, s18, s4
	s_addc_u32 s19, s19, s5
	s_cmp_eq_u32 s27, s26
	s_cbranch_scc1 .LBB134_55
; %bb.44:                               ;   in Loop: Header=BB134_33 Depth=1
	v_cmp_ne_u32_e32 vcc_lo, 1, v20
	s_cbranch_vccnz .LBB134_46
; %bb.45:                               ;   in Loop: Header=BB134_33 Depth=1
	v_add_co_u32 v13, vcc_lo, s24, v1
	v_add_co_ci_u32_e32 v14, vcc_lo, s25, v2, vcc_lo
	s_delay_alu instid0(VALU_DEP_2) | instskip(NEXT) | instid1(VALU_DEP_2)
	v_add_co_u32 v17, vcc_lo, v13, s10
	v_add_co_ci_u32_e32 v18, vcc_lo, s11, v14, vcc_lo
	s_clause 0x1
	global_load_b32 v13, v[13:14], off offset:128
	global_load_b32 v14, v[17:18], off offset:128
	s_cbranch_execz .LBB134_47
	s_branch .LBB134_54
.LBB134_46:                             ;   in Loop: Header=BB134_33 Depth=1
                                        ; implicit-def: $vgpr13_vgpr14
.LBB134_47:                             ;   in Loop: Header=BB134_33 Depth=1
                                        ; implicit-def: $vgpr13_vgpr14
	s_and_saveexec_b32 s16, s0
	s_delay_alu instid0(SALU_CYCLE_1)
	s_xor_b32 s16, exec_lo, s16
	s_cbranch_execz .LBB134_51
; %bb.48:                               ;   in Loop: Header=BB134_33 Depth=1
	s_waitcnt vmcnt(0)
	v_dual_mov_b32 v14, v4 :: v_dual_mov_b32 v13, v3
	s_and_saveexec_b32 s17, s1
	s_cbranch_execz .LBB134_50
; %bb.49:                               ;   in Loop: Header=BB134_33 Depth=1
	v_add_co_u32 v13, vcc_lo, s24, v1
	v_add_co_ci_u32_e32 v14, vcc_lo, s25, v2, vcc_lo
	global_load_b32 v13, v[13:14], off offset:128
	v_mov_b32_e32 v14, v4
.LBB134_50:                             ;   in Loop: Header=BB134_33 Depth=1
	s_or_b32 exec_lo, exec_lo, s17
.LBB134_51:                             ;   in Loop: Header=BB134_33 Depth=1
	s_and_not1_saveexec_b32 s16, s16
	s_cbranch_execz .LBB134_53
; %bb.52:                               ;   in Loop: Header=BB134_33 Depth=1
	s_waitcnt vmcnt(0)
	v_add_co_u32 v13, vcc_lo, s24, v1
	v_add_co_ci_u32_e32 v14, vcc_lo, s25, v2, vcc_lo
	s_delay_alu instid0(VALU_DEP_2) | instskip(NEXT) | instid1(VALU_DEP_2)
	v_add_co_u32 v17, vcc_lo, v13, s10
	v_add_co_ci_u32_e32 v18, vcc_lo, s11, v14, vcc_lo
	s_clause 0x1
	global_load_b32 v13, v[13:14], off offset:128
	global_load_b32 v14, v[17:18], off offset:128
.LBB134_53:                             ;   in Loop: Header=BB134_33 Depth=1
	s_or_b32 exec_lo, exec_lo, s16
.LBB134_54:                             ;   in Loop: Header=BB134_33 Depth=1
	v_add_co_u32 v17, vcc_lo, s18, v5
	v_add_co_ci_u32_e32 v18, vcc_lo, s19, v6, vcc_lo
	global_load_b32 v32, v[17:18], off
.LBB134_55:                             ;   in Loop: Header=BB134_33 Depth=1
	s_waitcnt lgkmcnt(0)
	v_fma_f32 v17, v3, v15, 0
	v_fma_f32 v15, v30, v15, 0
	s_waitcnt vmcnt(0)
	s_barrier
	buffer_gl0_inv
	v_fmac_f32_e32 v17, v4, v16
	v_fmac_f32_e32 v15, v31, v16
	ds_store_2addr_b32 v26, v17, v15 offset1:16
	s_waitcnt lgkmcnt(0)
	s_barrier
	buffer_gl0_inv
	s_and_saveexec_b32 s16, s2
	s_cbranch_execz .LBB134_59
; %bb.56:                               ;   in Loop: Header=BB134_33 Depth=1
	v_add_co_u32 v15, vcc_lo, v7, v11
	v_add_co_ci_u32_e32 v16, vcc_lo, v8, v12, vcc_lo
	v_add_nc_u32_e32 v39, 0x400, v28
	s_mov_b32 s17, 0
	global_load_b32 v18, v[15:16], off
	ds_load_2addr_b32 v[33:34], v28 offset1:32
	ds_load_2addr_b32 v[35:36], v28 offset0:64 offset1:96
	ds_load_2addr_b32 v[37:38], v28 offset0:128 offset1:160
	s_waitcnt lgkmcnt(2)
	v_add_f32_e32 v17, 0, v33
	s_delay_alu instid0(VALU_DEP_1) | instskip(SKIP_3) | instid1(VALU_DEP_1)
	v_add_f32_e32 v17, v17, v34
	ds_load_2addr_b32 v[33:34], v28 offset0:192 offset1:224
	s_waitcnt lgkmcnt(2)
	v_add_f32_e32 v17, v17, v35
	v_add_f32_e32 v17, v17, v36
	ds_load_2addr_b32 v[35:36], v39 offset1:32
	s_waitcnt lgkmcnt(2)
	v_add_f32_e32 v17, v17, v37
	s_delay_alu instid0(VALU_DEP_1) | instskip(SKIP_3) | instid1(VALU_DEP_1)
	v_add_f32_e32 v17, v17, v38
	ds_load_2addr_b32 v[37:38], v39 offset0:64 offset1:96
	s_waitcnt lgkmcnt(2)
	v_add_f32_e32 v17, v17, v33
	v_add_f32_e32 v17, v17, v34
	ds_load_2addr_b32 v[33:34], v39 offset0:128 offset1:160
	s_waitcnt lgkmcnt(2)
	v_add_f32_e32 v17, v17, v35
	s_delay_alu instid0(VALU_DEP_1) | instskip(SKIP_3) | instid1(VALU_DEP_1)
	v_add_f32_e32 v17, v17, v36
	ds_load_2addr_b32 v[35:36], v39 offset0:192 offset1:224
	s_waitcnt lgkmcnt(2)
	v_add_f32_e32 v17, v17, v37
	v_add_f32_e32 v17, v17, v38
	s_waitcnt lgkmcnt(1)
	s_delay_alu instid0(VALU_DEP_1) | instskip(NEXT) | instid1(VALU_DEP_1)
	v_add_f32_e32 v17, v17, v33
	v_add_f32_e32 v17, v17, v34
	s_waitcnt lgkmcnt(0)
	s_delay_alu instid0(VALU_DEP_1) | instskip(NEXT) | instid1(VALU_DEP_1)
	v_add_f32_e32 v17, v17, v35
	v_add_f32_e32 v17, v17, v36
	s_delay_alu instid0(VALU_DEP_1)
	v_mul_f32_e32 v33, s12, v17
.LBB134_57:                             ;   Parent Loop BB134_33 Depth=1
                                        ; =>  This Inner Loop Header: Depth=2
	s_waitcnt vmcnt(0)
	s_delay_alu instid0(VALU_DEP_1)
	v_add_f32_e32 v17, v18, v33
	global_atomic_cmpswap_b32 v17, v[15:16], v[17:18], off glc
	s_waitcnt vmcnt(0)
	v_cmp_eq_u32_e32 vcc_lo, v17, v18
	v_mov_b32_e32 v18, v17
	s_or_b32 s17, vcc_lo, s17
	s_delay_alu instid0(SALU_CYCLE_1)
	s_and_not1_b32 exec_lo, exec_lo, s17
	s_cbranch_execnz .LBB134_57
; %bb.58:                               ;   in Loop: Header=BB134_33 Depth=1
	s_or_b32 exec_lo, exec_lo, s17
	v_add_co_u32 v7, vcc_lo, v7, s8
	v_add_co_ci_u32_e32 v8, vcc_lo, s9, v8, vcc_lo
.LBB134_59:                             ;   in Loop: Header=BB134_33 Depth=1
	s_or_b32 exec_lo, exec_lo, s16
	v_fmac_f32_e32 v24, v23, v3
	v_fmac_f32_e32 v25, v23, v4
	s_add_u32 s24, s24, 0x80
	s_addc_u32 s25, s25, 0
	s_add_i32 s27, s27, 1
	v_fmac_f32_e32 v24, v29, v30
	v_fmac_f32_e32 v25, v29, v31
	s_cmp_eq_u32 s27, s22
	s_cbranch_scc1 .LBB134_61
; %bb.60:                               ;   in Loop: Header=BB134_33 Depth=1
	v_mov_b32_e32 v3, v13
	v_dual_mov_b32 v23, v32 :: v_dual_mov_b32 v4, v14
	v_dual_mov_b32 v14, v30 :: v_dual_mov_b32 v13, v31
	s_branch .LBB134_33
.LBB134_61:
	v_mov_b32_e32 v5, v21
.LBB134_62:
	s_delay_alu instid0(VALU_DEP_1)
	v_lshlrev_b32_e32 v1, 2, v5
	v_lshlrev_b32_e32 v2, 2, v22
	ds_store_b32 v1, v24 offset:2048
	ds_store_b32 v2, v25 offset:2048
	s_waitcnt vmcnt(0) lgkmcnt(0)
	s_barrier
	buffer_gl0_inv
	s_and_saveexec_b32 s0, s2
	s_cbranch_execz .LBB134_66
; %bb.63:
	v_cmp_gt_i32_e32 vcc_lo, s23, v19
	s_cmp_lt_u32 s13, s21
	s_cselect_b32 s0, -1, 0
	s_delay_alu instid0(SALU_CYCLE_1) | instskip(NEXT) | instid1(SALU_CYCLE_1)
	s_or_b32 s0, vcc_lo, s0
	s_and_b32 exec_lo, exec_lo, s0
	s_cbranch_execz .LBB134_66
; %bb.64:
	v_mad_u64_u32 v[1:2], null, v19, s6, 0
	s_mul_i32 s0, s15, s7
	s_mul_hi_u32 s1, s15, s6
	s_mul_i32 s2, s20, s6
	s_add_i32 s1, s1, s0
	s_mul_i32 s0, s15, s6
	s_add_i32 s1, s1, s2
	s_delay_alu instid0(VALU_DEP_1)
	v_mad_u64_u32 v[3:4], null, v19, s7, v[2:3]
	s_lshl_b64 s[0:1], s[0:1], 2
	v_add_nc_u32_e32 v7, 3, v19
	s_add_u32 s0, s3, s0
	s_addc_u32 s1, s14, s1
	v_add_nc_u32_e32 v9, 4, v19
	v_add_nc_u32_e32 v10, 5, v19
	s_delay_alu instid0(VALU_DEP_4) | instskip(SKIP_2) | instid1(VALU_DEP_3)
	v_dual_mov_b32 v2, v3 :: v_dual_lshlrev_b32 v3, 4, v19
	v_add_nc_u32_e32 v11, 6, v19
	v_add_nc_u32_e32 v12, 7, v19
	v_lshlrev_b64 v[1:2], 2, v[1:2]
	s_delay_alu instid0(VALU_DEP_4)
	v_or_b32_e32 v0, v0, v3
	v_and_or_b32 v7, v7, 15, v3
	v_and_or_b32 v9, v9, 15, v3
	;; [unrolled: 1-line block ×4, first 2 shown]
	v_add_co_u32 v1, vcc_lo, s0, v1
	v_add_co_ci_u32_e32 v2, vcc_lo, s1, v2, vcc_lo
	v_lshlrev_b32_e32 v8, 2, v0
	v_and_or_b32 v12, v12, 15, v3
	v_lshlrev_b32_e32 v7, 2, v7
	global_load_b32 v4, v[1:2], off
	v_lshlrev_b32_e32 v9, 2, v9
	ds_load_b32 v8, v8 offset:2048
	v_add_nc_u32_e32 v5, 1, v19
	v_lshlrev_b32_e32 v10, 2, v10
	v_lshlrev_b32_e32 v11, 2, v11
	;; [unrolled: 1-line block ×3, first 2 shown]
	v_xor_b32_e32 v0, 8, v0
	v_and_or_b32 v5, v5, 15, v3
	s_mov_b32 s0, 0
	s_delay_alu instid0(VALU_DEP_2) | instskip(NEXT) | instid1(VALU_DEP_2)
	v_lshlrev_b32_e32 v0, 2, v0
	v_lshlrev_b32_e32 v5, 2, v5
	ds_load_b32 v5, v5 offset:2048
	v_add_nc_u32_e32 v6, 2, v19
	s_delay_alu instid0(VALU_DEP_1) | instskip(NEXT) | instid1(VALU_DEP_1)
	v_and_or_b32 v6, v6, 15, v3
	v_lshlrev_b32_e32 v6, 2, v6
	ds_load_b32 v6, v6 offset:2048
	ds_load_b32 v7, v7 offset:2048
	;; [unrolled: 1-line block ×6, first 2 shown]
	s_waitcnt lgkmcnt(7)
	v_add_f32_e32 v8, 0, v8
	ds_load_b32 v0, v0 offset:2048
	s_waitcnt lgkmcnt(7)
	v_dual_add_f32 v5, v8, v5 :: v_dual_add_nc_u32 v8, 11, v19
	s_delay_alu instid0(VALU_DEP_1) | instskip(SKIP_1) | instid1(VALU_DEP_1)
	v_and_or_b32 v8, v8, 15, v3
	s_waitcnt lgkmcnt(6)
	v_dual_add_f32 v5, v5, v6 :: v_dual_lshlrev_b32 v8, 2, v8
	s_waitcnt lgkmcnt(5)
	s_delay_alu instid0(VALU_DEP_1) | instskip(SKIP_2) | instid1(VALU_DEP_2)
	v_add_f32_e32 v5, v5, v7
	v_add_nc_u32_e32 v7, 10, v19
	s_waitcnt lgkmcnt(4)
	v_add_f32_e32 v5, v5, v9
	s_delay_alu instid0(VALU_DEP_2) | instskip(SKIP_2) | instid1(VALU_DEP_3)
	v_and_or_b32 v7, v7, 15, v3
	v_add_nc_u32_e32 v9, 12, v19
	s_waitcnt lgkmcnt(3)
	v_add_f32_e32 v5, v5, v10
	s_delay_alu instid0(VALU_DEP_3)
	v_lshlrev_b32_e32 v7, 2, v7
	v_add_nc_u32_e32 v10, 13, v19
	v_and_or_b32 v9, v9, 15, v3
	s_waitcnt lgkmcnt(2)
	v_add_f32_e32 v5, v5, v11
	v_add_nc_u32_e32 v6, 9, v19
	v_add_nc_u32_e32 v11, 14, v19
	v_and_or_b32 v10, v10, 15, v3
	v_lshlrev_b32_e32 v9, 2, v9
	s_waitcnt lgkmcnt(1)
	v_add_f32_e32 v5, v5, v12
	v_and_or_b32 v6, v6, 15, v3
	v_add_nc_u32_e32 v12, -1, v19
	ds_load_b32 v7, v7 offset:2048
	v_and_or_b32 v11, v11, 15, v3
	v_lshlrev_b32_e32 v10, 2, v10
	v_lshlrev_b32_e32 v6, 2, v6
	v_and_or_b32 v3, v12, 15, v3
	s_delay_alu instid0(VALU_DEP_4)
	v_lshlrev_b32_e32 v11, 2, v11
	ds_load_b32 v6, v6 offset:2048
	v_lshlrev_b32_e32 v3, 2, v3
	ds_load_b32 v8, v8 offset:2048
	ds_load_b32 v9, v9 offset:2048
	ds_load_b32 v10, v10 offset:2048
	ds_load_b32 v11, v11 offset:2048
	ds_load_b32 v3, v3 offset:2048
	s_waitcnt lgkmcnt(7)
	v_add_f32_e32 v0, v5, v0
	s_waitcnt lgkmcnt(5)
	s_delay_alu instid0(VALU_DEP_1) | instskip(NEXT) | instid1(VALU_DEP_1)
	v_add_f32_e32 v0, v0, v6
	v_add_f32_e32 v0, v0, v7
	s_waitcnt lgkmcnt(4)
	s_delay_alu instid0(VALU_DEP_1) | instskip(SKIP_1) | instid1(VALU_DEP_1)
	v_add_f32_e32 v0, v0, v8
	s_waitcnt lgkmcnt(3)
	v_add_f32_e32 v0, v0, v9
	s_waitcnt lgkmcnt(2)
	s_delay_alu instid0(VALU_DEP_1) | instskip(SKIP_1) | instid1(VALU_DEP_1)
	v_add_f32_e32 v0, v0, v10
	s_waitcnt lgkmcnt(1)
	v_add_f32_e32 v0, v0, v11
	s_waitcnt lgkmcnt(0)
	s_delay_alu instid0(VALU_DEP_1) | instskip(NEXT) | instid1(VALU_DEP_1)
	v_add_f32_e32 v0, v0, v3
	v_mul_f32_e32 v0, s12, v0
.LBB134_65:                             ; =>This Inner Loop Header: Depth=1
	s_waitcnt vmcnt(0)
	s_delay_alu instid0(VALU_DEP_1)
	v_add_f32_e32 v3, v4, v0
	global_atomic_cmpswap_b32 v3, v[1:2], v[3:4], off glc
	s_waitcnt vmcnt(0)
	v_cmp_eq_u32_e32 vcc_lo, v3, v4
	v_mov_b32_e32 v4, v3
	s_or_b32 s0, vcc_lo, s0
	s_delay_alu instid0(SALU_CYCLE_1)
	s_and_not1_b32 exec_lo, exec_lo, s0
	s_cbranch_execnz .LBB134_65
.LBB134_66:
	s_endpgm
	.section	.rodata,"a",@progbits
	.p2align	6, 0x0
	.amdhsa_kernel _ZL62rocblas_symv_kernel_upper_double_buffered_non_diagonal_genericILi32ELi8ELi2ELi1E24rocblas_internal_val_ptrIfEPKPKfPKPfEvbiT3_lT4_lllSA_lllT5_lllii
		.amdhsa_group_segment_fixed_size 4224
		.amdhsa_private_segment_fixed_size 0
		.amdhsa_kernarg_size 384
		.amdhsa_user_sgpr_count 13
		.amdhsa_user_sgpr_dispatch_ptr 0
		.amdhsa_user_sgpr_queue_ptr 0
		.amdhsa_user_sgpr_kernarg_segment_ptr 1
		.amdhsa_user_sgpr_dispatch_id 0
		.amdhsa_user_sgpr_private_segment_size 0
		.amdhsa_wavefront_size32 1
		.amdhsa_uses_dynamic_stack 0
		.amdhsa_enable_private_segment 0
		.amdhsa_system_sgpr_workgroup_id_x 1
		.amdhsa_system_sgpr_workgroup_id_y 1
		.amdhsa_system_sgpr_workgroup_id_z 1
		.amdhsa_system_sgpr_workgroup_info 0
		.amdhsa_system_vgpr_workitem_id 1
		.amdhsa_next_free_vgpr 40
		.amdhsa_next_free_sgpr 29
		.amdhsa_reserve_vcc 1
		.amdhsa_float_round_mode_32 0
		.amdhsa_float_round_mode_16_64 0
		.amdhsa_float_denorm_mode_32 3
		.amdhsa_float_denorm_mode_16_64 3
		.amdhsa_dx10_clamp 1
		.amdhsa_ieee_mode 1
		.amdhsa_fp16_overflow 0
		.amdhsa_workgroup_processor_mode 1
		.amdhsa_memory_ordered 1
		.amdhsa_forward_progress 0
		.amdhsa_shared_vgpr_count 0
		.amdhsa_exception_fp_ieee_invalid_op 0
		.amdhsa_exception_fp_denorm_src 0
		.amdhsa_exception_fp_ieee_div_zero 0
		.amdhsa_exception_fp_ieee_overflow 0
		.amdhsa_exception_fp_ieee_underflow 0
		.amdhsa_exception_fp_ieee_inexact 0
		.amdhsa_exception_int_div_zero 0
	.end_amdhsa_kernel
	.section	.text._ZL62rocblas_symv_kernel_upper_double_buffered_non_diagonal_genericILi32ELi8ELi2ELi1E24rocblas_internal_val_ptrIfEPKPKfPKPfEvbiT3_lT4_lllSA_lllT5_lllii,"axG",@progbits,_ZL62rocblas_symv_kernel_upper_double_buffered_non_diagonal_genericILi32ELi8ELi2ELi1E24rocblas_internal_val_ptrIfEPKPKfPKPfEvbiT3_lT4_lllSA_lllT5_lllii,comdat
.Lfunc_end134:
	.size	_ZL62rocblas_symv_kernel_upper_double_buffered_non_diagonal_genericILi32ELi8ELi2ELi1E24rocblas_internal_val_ptrIfEPKPKfPKPfEvbiT3_lT4_lllSA_lllT5_lllii, .Lfunc_end134-_ZL62rocblas_symv_kernel_upper_double_buffered_non_diagonal_genericILi32ELi8ELi2ELi1E24rocblas_internal_val_ptrIfEPKPKfPKPfEvbiT3_lT4_lllSA_lllT5_lllii
                                        ; -- End function
	.section	.AMDGPU.csdata,"",@progbits
; Kernel info:
; codeLenInByte = 3264
; NumSgprs: 31
; NumVgprs: 40
; ScratchSize: 0
; MemoryBound: 0
; FloatMode: 240
; IeeeMode: 1
; LDSByteSize: 4224 bytes/workgroup (compile time only)
; SGPRBlocks: 3
; VGPRBlocks: 4
; NumSGPRsForWavesPerEU: 31
; NumVGPRsForWavesPerEU: 40
; Occupancy: 16
; WaveLimiterHint : 1
; COMPUTE_PGM_RSRC2:SCRATCH_EN: 0
; COMPUTE_PGM_RSRC2:USER_SGPR: 13
; COMPUTE_PGM_RSRC2:TRAP_HANDLER: 0
; COMPUTE_PGM_RSRC2:TGID_X_EN: 1
; COMPUTE_PGM_RSRC2:TGID_Y_EN: 1
; COMPUTE_PGM_RSRC2:TGID_Z_EN: 1
; COMPUTE_PGM_RSRC2:TIDIG_COMP_CNT: 1
	.section	.text._ZL26rocblas_hemvn_kernel_upperILb0ELi64ELi4ELi33ELi32ELi16ElPKfPKS1_PfEviT6_lT7_lT5_lS6_lS7_lS5_lT8_i,"axG",@progbits,_ZL26rocblas_hemvn_kernel_upperILb0ELi64ELi4ELi33ELi32ELi16ElPKfPKS1_PfEviT6_lT7_lT5_lS6_lS7_lS5_lT8_i,comdat
	.globl	_ZL26rocblas_hemvn_kernel_upperILb0ELi64ELi4ELi33ELi32ELi16ElPKfPKS1_PfEviT6_lT7_lT5_lS6_lS7_lS5_lT8_i ; -- Begin function _ZL26rocblas_hemvn_kernel_upperILb0ELi64ELi4ELi33ELi32ELi16ElPKfPKS1_PfEviT6_lT7_lT5_lS6_lS7_lS5_lT8_i
	.p2align	8
	.type	_ZL26rocblas_hemvn_kernel_upperILb0ELi64ELi4ELi33ELi32ELi16ElPKfPKS1_PfEviT6_lT7_lT5_lS6_lS7_lS5_lT8_i,@function
_ZL26rocblas_hemvn_kernel_upperILb0ELi64ELi4ELi33ELi32ELi16ElPKfPKS1_PfEviT6_lT7_lT5_lS6_lS7_lS5_lT8_i: ; @_ZL26rocblas_hemvn_kernel_upperILb0ELi64ELi4ELi33ELi32ELi16ElPKfPKS1_PfEviT6_lT7_lT5_lS6_lS7_lS5_lT8_i
; %bb.0:
	s_load_b64 s[2:3], s[0:1], 0x84
	s_add_u32 s20, s0, 0x78
	s_addc_u32 s21, s1, 0
	s_waitcnt lgkmcnt(0)
	s_lshr_b32 s4, s2, 16
	s_and_b32 s2, s2, 0xffff
	s_and_b32 s3, s3, 0xffff
	s_mul_i32 s2, s4, s2
	s_delay_alu instid0(SALU_CYCLE_1) | instskip(NEXT) | instid1(SALU_CYCLE_1)
	s_mul_i32 s2, s2, s3
	s_cmpk_lg_i32 s2, 0x100
	s_cbranch_scc1 .LBB135_130
; %bb.1:
	s_clause 0x1
	s_load_b256 s[4:11], s[0:1], 0x8
	s_load_b128 s[24:27], s[0:1], 0x58
	s_mov_b32 s18, s15
	s_mov_b32 s19, 0
	s_waitcnt lgkmcnt(0)
	s_mul_i32 s3, s15, s7
	s_mul_hi_u32 s7, s15, s6
	s_mul_i32 s2, s15, s6
	s_add_i32 s3, s7, s3
	s_mul_i32 s6, s15, s27
	s_lshl_b64 s[2:3], s[2:3], 2
	s_mul_hi_u32 s7, s15, s26
	s_add_u32 s2, s4, s2
	s_addc_u32 s3, s5, s3
	s_add_i32 s5, s7, s6
	s_mul_i32 s4, s15, s26
	s_delay_alu instid0(SALU_CYCLE_1) | instskip(NEXT) | instid1(SALU_CYCLE_1)
	s_lshl_b64 s[4:5], s[4:5], 2
	s_add_u32 s4, s24, s4
	s_addc_u32 s5, s25, s5
	s_load_b32 s2, s[2:3], 0x0
	s_load_b32 s4, s[4:5], 0x0
	s_waitcnt lgkmcnt(0)
	v_cmp_eq_f32_e64 s3, s2, 0
	v_cmp_eq_f32_e64 s4, s4, 1.0
	s_delay_alu instid0(VALU_DEP_1) | instskip(NEXT) | instid1(SALU_CYCLE_1)
	s_and_b32 s4, s3, s4
	s_and_b32 vcc_lo, exec_lo, s4
	s_cbranch_vccnz .LBB135_130
; %bb.2:
	s_load_b64 s[12:13], s[0:1], 0x28
	v_cmp_neq_f32_e64 s15, s2, 0
	s_mov_b64 s[22:23], 0
	s_and_b32 vcc_lo, exec_lo, s3
	s_mov_b64 s[2:3], 0
	s_cbranch_vccnz .LBB135_4
; %bb.3:
	s_lshl_b64 s[2:3], s[18:19], 3
	s_delay_alu instid0(SALU_CYCLE_1)
	s_add_u32 s2, s8, s2
	s_addc_u32 s3, s9, s3
	s_lshl_b64 s[4:5], s[10:11], 2
	s_load_b64 s[2:3], s[2:3], 0x0
	s_waitcnt lgkmcnt(0)
	s_add_u32 s2, s2, s4
	s_addc_u32 s3, s3, s5
.LBB135_4:
	s_clause 0x1
	s_load_b128 s[4:7], s[0:1], 0x38
	s_load_b64 s[8:9], s[0:1], 0x48
	v_cndmask_b32_e64 v1, 0, 1, s15
	s_and_not1_b32 vcc_lo, exec_lo, s15
	s_cbranch_vccnz .LBB135_6
; %bb.5:
	s_lshl_b64 s[10:11], s[18:19], 3
	s_waitcnt lgkmcnt(0)
	s_add_u32 s4, s4, s10
	s_addc_u32 s5, s5, s11
	s_lshl_b64 s[6:7], s[6:7], 2
	s_load_b64 s[4:5], s[4:5], 0x0
	s_waitcnt lgkmcnt(0)
	s_add_u32 s22, s4, s6
	s_addc_u32 s23, s5, s7
.LBB135_6:
	s_delay_alu instid0(VALU_DEP_1)
	v_cmp_ne_u32_e32 vcc_lo, 1, v1
	s_cbranch_vccnz .LBB135_130
; %bb.7:
	v_and_b32_e32 v16, 0x3ff, v0
	s_lshl_b32 s16, s14, 6
	s_load_b32 s26, s[0:1], 0x0
	s_waitcnt lgkmcnt(0)
	s_load_b32 s7, s[20:21], 0x0
	s_load_b64 s[20:21], s[0:1], 0x68
	v_add_nc_u32_e32 v4, s16, v16
	v_bfe_u32 v17, v0, 10, 10
	s_delay_alu instid0(VALU_DEP_2) | instskip(SKIP_2) | instid1(VALU_DEP_3)
	v_ashrrev_i32_e32 v5, 31, v4
	v_mul_lo_u32 v3, v4, s9
	v_mad_u64_u32 v[1:2], null, v4, s8, 0
	v_mul_lo_u32 v6, v5, s8
	s_ashr_i32 s27, s26, 31
	s_delay_alu instid0(VALU_DEP_1) | instskip(SKIP_4) | instid1(SALU_CYCLE_1)
	v_add3_u32 v2, v2, v3, v6
	s_lshr_b32 s0, s27, 26
	s_waitcnt lgkmcnt(0)
	s_add_i32 s1, s7, -1
	s_add_i32 s0, s26, s0
	s_and_not1_b32 s0, s0, 63
	v_lshlrev_b64 v[1:2], 2, v[1:2]
	s_sub_i32 s15, s26, s0
	v_cmp_eq_u32_e64 s0, 0, v17
	s_cmp_eq_u32 s14, s1
	s_cselect_b32 s10, s15, 0
	s_delay_alu instid0(VALU_DEP_2)
	v_add_co_u32 v8, vcc_lo, s22, v1
	v_add_co_ci_u32_e32 v9, vcc_lo, s23, v2, vcc_lo
	s_and_saveexec_b32 s1, s0
	s_cbranch_execz .LBB135_11
; %bb.8:
	v_cmp_gt_i32_e32 vcc_lo, s10, v16
	s_cmp_eq_u32 s10, 0
	v_mov_b32_e32 v0, 0
	s_cselect_b32 s4, -1, 0
	s_delay_alu instid0(SALU_CYCLE_1) | instskip(NEXT) | instid1(SALU_CYCLE_1)
	s_or_b32 s5, s4, vcc_lo
	s_and_saveexec_b32 s4, s5
	s_cbranch_execz .LBB135_10
; %bb.9:
	flat_load_b32 v0, v[8:9]
.LBB135_10:
	s_or_b32 exec_lo, exec_lo, s4
	v_lshlrev_b32_e32 v1, 2, v16
	s_waitcnt vmcnt(0) lgkmcnt(0)
	ds_store_b32 v1, v0 offset:4544
.LBB135_11:
	s_or_b32 exec_lo, exec_lo, s1
	v_lshl_add_u32 v14, v17, 6, v16
	v_dual_mov_b32 v1, 0 :: v_dual_and_b32 v0, 31, v16
	s_ashr_i32 s17, s16, 31
	s_mul_i32 s1, s16, s13
	s_delay_alu instid0(VALU_DEP_2)
	v_lshrrev_b32_e32 v15, 5, v14
	s_lshl_b64 s[4:5], s[16:17], 2
	s_mul_hi_u32 s6, s16, s12
	s_add_u32 s4, s2, s4
	s_mul_i32 s11, s17, s12
	v_mad_u64_u32 v[2:3], null, v15, s12, v[0:1]
	s_addc_u32 s5, s3, s5
	s_add_i32 s1, s6, s1
	s_mul_i32 s2, s16, s12
	s_add_i32 s3, s1, s11
	v_cmp_gt_i32_e64 s1, s10, v0
	s_lshl_b64 s[2:3], s[2:3], 2
	s_delay_alu instid0(VALU_DEP_2)
	v_mad_u64_u32 v[6:7], null, v15, s13, v[3:4]
	s_add_u32 s2, s2, s4
	s_addc_u32 s3, s3, s5
	s_cmp_eq_u32 s10, 0
	v_lshlrev_b32_e32 v19, 2, v0
	s_cselect_b32 s19, -1, 0
	s_cmp_lg_u32 s10, 0
	s_delay_alu instid0(VALU_DEP_2) | instskip(SKIP_1) | instid1(SALU_CYCLE_1)
	v_mov_b32_e32 v3, v6
	s_cselect_b32 s28, -1, 0
	s_and_b32 vcc_lo, exec_lo, s28
	s_delay_alu instid0(VALU_DEP_1) | instskip(NEXT) | instid1(VALU_DEP_1)
	v_lshlrev_b64 v[6:7], 2, v[2:3]
	v_add_co_u32 v10, s2, s2, v6
	s_delay_alu instid0(VALU_DEP_1)
	v_add_co_ci_u32_e64 v11, s2, s3, v7, s2
	s_cbranch_vccz .LBB135_21
; %bb.12:
	s_delay_alu instid0(VALU_DEP_2) | instskip(SKIP_1) | instid1(VALU_DEP_2)
	v_sub_co_u32 v2, vcc_lo, v10, v19
	s_ashr_i32 s11, s10, 31
	v_subrev_co_ci_u32_e32 v3, vcc_lo, 0, v11, vcc_lo
	s_lshl_b64 s[2:3], s[10:11], 2
	s_mov_b32 s4, exec_lo
	v_add_co_u32 v2, vcc_lo, v2, s2
	s_delay_alu instid0(VALU_DEP_2) | instskip(NEXT) | instid1(VALU_DEP_2)
	v_add_co_ci_u32_e32 v3, vcc_lo, s3, v3, vcc_lo
	v_add_co_u32 v2, vcc_lo, v2, -4
	s_delay_alu instid0(VALU_DEP_2) | instskip(NEXT) | instid1(VALU_DEP_2)
	v_add_co_ci_u32_e32 v3, vcc_lo, -1, v3, vcc_lo
	v_cndmask_b32_e64 v2, v2, v10, s1
	s_delay_alu instid0(VALU_DEP_2)
	v_cndmask_b32_e64 v3, v3, v11, s1
	v_cmpx_gt_i32_e64 s10, v15
	s_cbranch_execz .LBB135_14
; %bb.13:
	flat_load_b32 v1, v[2:3]
.LBB135_14:
	s_or_b32 exec_lo, exec_lo, s4
	v_mul_u32_u24_e32 v12, 33, v15
	v_dual_mov_b32 v18, 0 :: v_dual_add_nc_u32 v13, 8, v15
	s_delay_alu instid0(VALU_DEP_2) | instskip(NEXT) | instid1(VALU_DEP_2)
	v_add_lshl_u32 v12, v12, v0, 2
	v_cmp_gt_i32_e32 vcc_lo, s10, v13
	v_mov_b32_e32 v13, 0
	s_waitcnt vmcnt(0) lgkmcnt(0)
	ds_store_b32 v12, v1
	s_and_saveexec_b32 s4, vcc_lo
	s_cbranch_execz .LBB135_16
; %bb.15:
	s_lshl_b64 s[22:23], s[12:13], 5
	s_delay_alu instid0(SALU_CYCLE_1)
	v_add_co_u32 v20, vcc_lo, v2, s22
	v_add_co_ci_u32_e32 v21, vcc_lo, s23, v3, vcc_lo
	flat_load_b32 v18, v[20:21]
.LBB135_16:
	s_or_b32 exec_lo, exec_lo, s4
	v_add_nc_u32_e32 v1, 16, v15
	s_mov_b32 s4, exec_lo
	s_waitcnt vmcnt(0) lgkmcnt(0)
	ds_store_b32 v12, v18 offset:1056
	v_cmpx_gt_i32_e64 s10, v1
	s_cbranch_execz .LBB135_18
; %bb.17:
	s_lshl_b64 s[22:23], s[12:13], 6
	s_delay_alu instid0(SALU_CYCLE_1)
	v_add_co_u32 v20, vcc_lo, v2, s22
	v_add_co_ci_u32_e32 v21, vcc_lo, s23, v3, vcc_lo
	flat_load_b32 v13, v[20:21]
.LBB135_18:
	s_or_b32 exec_lo, exec_lo, s4
	v_dual_mov_b32 v18, 0 :: v_dual_add_nc_u32 v1, 24, v15
	s_mov_b32 s4, exec_lo
	s_waitcnt vmcnt(0) lgkmcnt(0)
	ds_store_b32 v12, v13 offset:2112
	v_cmpx_gt_i32_e64 s10, v1
	s_cbranch_execz .LBB135_20
; %bb.19:
	v_mad_u64_u32 v[20:21], null, 0x60, s12, v[2:3]
	s_delay_alu instid0(VALU_DEP_1) | instskip(NEXT) | instid1(VALU_DEP_1)
	v_mov_b32_e32 v1, v21
	v_mad_u64_u32 v[21:22], null, 0x60, s13, v[1:2]
	flat_load_b32 v18, v[20:21]
.LBB135_20:
	s_or_b32 exec_lo, exec_lo, s4
	v_add_co_u32 v1, vcc_lo, v2, v19
	v_add_co_ci_u32_e32 v2, vcc_lo, 0, v3, vcc_lo
	s_waitcnt vmcnt(0) lgkmcnt(0)
	ds_store_b32 v12, v18 offset:3168
	v_sub_co_u32 v1, vcc_lo, v1, s2
	v_subrev_co_ci_u32_e32 v2, vcc_lo, s3, v2, vcc_lo
	s_delay_alu instid0(VALU_DEP_2) | instskip(NEXT) | instid1(VALU_DEP_2)
	v_add_co_u32 v1, vcc_lo, v1, 4
	v_add_co_ci_u32_e32 v2, vcc_lo, 0, v2, vcc_lo
	s_delay_alu instid0(VALU_DEP_2) | instskip(NEXT) | instid1(VALU_DEP_2)
	v_cndmask_b32_e64 v1, v1, v10, s1
	v_cndmask_b32_e64 v2, v2, v11, s1
	v_mul_u32_u24_e32 v22, 33, v15
	s_branch .LBB135_23
.LBB135_21:
                                        ; implicit-def: $vgpr1_vgpr2
	v_mul_u32_u24_e32 v22, 33, v15
	s_cbranch_execz .LBB135_23
; %bb.22:
	flat_load_b32 v3, v[10:11]
	s_lshl_b64 s[2:3], s[12:13], 5
	v_add_lshl_u32 v18, v22, v0, 2
	v_add_co_u32 v1, vcc_lo, v10, s2
	v_add_co_ci_u32_e32 v2, vcc_lo, s3, v11, vcc_lo
	s_waitcnt vmcnt(0) lgkmcnt(0)
	ds_store_b32 v18, v3
	flat_load_b32 v3, v[1:2]
	v_add_co_u32 v1, vcc_lo, v1, s2
	v_add_co_ci_u32_e32 v2, vcc_lo, s3, v2, vcc_lo
	s_waitcnt vmcnt(0) lgkmcnt(0)
	ds_store_b32 v18, v3 offset:1056
	flat_load_b32 v3, v[1:2]
	v_mad_u64_u32 v[1:2], null, 0x60, s12, v[10:11]
	s_waitcnt vmcnt(0) lgkmcnt(0)
	s_delay_alu instid0(VALU_DEP_1)
	v_mad_u64_u32 v[12:13], null, 0x60, s13, v[2:3]
	ds_store_b32 v18, v3 offset:2112
	v_mov_b32_e32 v2, v12
	flat_load_b32 v3, v[1:2]
	v_dual_mov_b32 v1, v10 :: v_dual_mov_b32 v2, v11
	s_waitcnt vmcnt(0) lgkmcnt(0)
	ds_store_b32 v18, v3 offset:3168
.LBB135_23:
	v_lshlrev_b32_e32 v20, 2, v15
	v_mul_u32_u24_e32 v3, 33, v0
	v_mul_u32_u24_e32 v10, 0x84, v15
	s_waitcnt lgkmcnt(0)
	s_barrier
	v_cmp_gt_u32_e64 s2, v20, v0
	v_add_lshl_u32 v27, v20, v3, 2
	buffer_gl0_inv
	s_and_saveexec_b32 s1, s2
	s_cbranch_execz .LBB135_25
; %bb.24:
	v_add_lshl_u32 v11, v10, v0, 2
	ds_load_b32 v11, v11
	s_waitcnt lgkmcnt(0)
	ds_store_b32 v27, v11
.LBB135_25:
	s_or_b32 exec_lo, exec_lo, s1
	v_cmp_ge_u32_e64 s3, v20, v0
	s_delay_alu instid0(VALU_DEP_1)
	s_and_saveexec_b32 s1, s3
	s_cbranch_execz .LBB135_27
; %bb.26:
	v_or_b32_e32 v11, 1, v20
	s_delay_alu instid0(VALU_DEP_1) | instskip(NEXT) | instid1(VALU_DEP_1)
	v_mul_u32_u24_e32 v11, 33, v11
	v_add_lshl_u32 v11, v11, v0, 2
	ds_load_b32 v11, v11
	s_waitcnt lgkmcnt(0)
	ds_store_b32 v27, v11 offset:4
.LBB135_27:
	s_or_b32 exec_lo, exec_lo, s1
	v_or_b32_e32 v11, 2, v20
	s_delay_alu instid0(VALU_DEP_1) | instskip(NEXT) | instid1(VALU_DEP_1)
	v_cmp_gt_u32_e64 s4, v11, v0
	s_and_saveexec_b32 s1, s4
	s_cbranch_execz .LBB135_29
; %bb.28:
	v_mul_u32_u24_e32 v11, 33, v11
	s_delay_alu instid0(VALU_DEP_1)
	v_add_lshl_u32 v11, v11, v0, 2
	ds_load_b32 v11, v11
	s_waitcnt lgkmcnt(0)
	ds_store_b32 v27, v11 offset:8
.LBB135_29:
	s_or_b32 exec_lo, exec_lo, s1
	v_or_b32_e32 v11, 3, v20
	s_delay_alu instid0(VALU_DEP_1) | instskip(SKIP_1) | instid1(VALU_DEP_2)
	v_mad_u32_u24 v12, v11, 33, v0
	v_cmp_gt_u32_e64 s5, v11, v0
	v_lshlrev_b32_e32 v24, 2, v12
	s_delay_alu instid0(VALU_DEP_2)
	s_and_saveexec_b32 s1, s5
	s_cbranch_execz .LBB135_31
; %bb.30:
	ds_load_b32 v11, v24
	s_waitcnt lgkmcnt(0)
	ds_store_b32 v27, v11 offset:12
.LBB135_31:
	s_or_b32 exec_lo, exec_lo, s1
	v_add_lshl_u32 v25, v10, v0, 2
	v_lshlrev_b32_e32 v28, 2, v20
	v_add_nc_u32_e32 v26, 0xfffffef8, v24
	s_waitcnt lgkmcnt(0)
	s_barrier
	buffer_gl0_inv
	ds_load_b32 v18, v25
	ds_load_b128 v[10:13], v28 offset:4544
	ds_load_2addr_b32 v[29:30], v26 offset1:33
	ds_load_b32 v21, v24
	v_add_lshl_u32 v23, v15, v3, 2
	v_cmp_gt_u32_e64 s1, 32, v14
	s_waitcnt lgkmcnt(0)
	s_barrier
	buffer_gl0_inv
	v_fma_f32 v10, v18, v10, 0
	v_mov_b32_e32 v18, 0
	s_delay_alu instid0(VALU_DEP_2) | instskip(NEXT) | instid1(VALU_DEP_1)
	v_fmac_f32_e32 v10, v29, v11
	v_fmac_f32_e32 v10, v30, v12
	s_delay_alu instid0(VALU_DEP_1)
	v_dual_fmac_f32 v10, v21, v13 :: v_dual_lshlrev_b32 v21, 2, v3
	ds_store_b32 v23, v10
	s_waitcnt lgkmcnt(0)
	s_barrier
	buffer_gl0_inv
	s_and_saveexec_b32 s6, s1
	s_cbranch_execz .LBB135_33
; %bb.32:
	ds_load_2addr_b32 v[10:11], v21 offset1:1
	ds_load_2addr_b32 v[12:13], v21 offset0:2 offset1:3
	ds_load_2addr_b32 v[29:30], v21 offset0:4 offset1:5
	;; [unrolled: 1-line block ×3, first 2 shown]
	s_waitcnt lgkmcnt(3)
	v_add_f32_e32 v10, v10, v11
	s_waitcnt lgkmcnt(2)
	s_delay_alu instid0(VALU_DEP_1) | instskip(NEXT) | instid1(VALU_DEP_1)
	v_add_f32_e32 v10, v10, v12
	v_add_f32_e32 v10, v10, v13
	s_waitcnt lgkmcnt(1)
	s_delay_alu instid0(VALU_DEP_1) | instskip(NEXT) | instid1(VALU_DEP_1)
	v_add_f32_e32 v10, v10, v29
	;; [unrolled: 4-line block ×3, first 2 shown]
	v_add_f32_e32 v18, v10, v32
.LBB135_33:
	s_or_b32 exec_lo, exec_lo, s6
	s_lshl_b64 s[22:23], s[12:13], 7
	s_delay_alu instid0(SALU_CYCLE_1) | instskip(SKIP_2) | instid1(VALU_DEP_2)
	v_add_co_u32 v10, vcc_lo, v1, s22
	v_add_co_ci_u32_e32 v11, vcc_lo, s23, v2, vcc_lo
	s_lshl_b64 s[22:23], s[12:13], 5
	v_add_co_u32 v1, vcc_lo, 0x80, v10
	s_delay_alu instid0(VALU_DEP_2)
	v_add_co_ci_u32_e32 v2, vcc_lo, 0, v11, vcc_lo
	s_and_b32 vcc_lo, exec_lo, s28
	s_barrier
	buffer_gl0_inv
	s_cbranch_vccz .LBB135_43
; %bb.34:
	v_or_b32_e32 v12, 32, v0
	s_ashr_i32 s11, s10, 31
	v_mov_b32_e32 v31, 0
	s_lshl_b64 s[24:25], s[10:11], 2
	s_sub_i32 s11, s10, 32
	v_lshlrev_b32_e32 v13, 2, v12
	s_mov_b32 s29, exec_lo
	s_delay_alu instid0(VALU_DEP_1) | instskip(SKIP_1) | instid1(VALU_DEP_2)
	v_sub_co_u32 v13, vcc_lo, v1, v13
	v_subrev_co_ci_u32_e32 v29, vcc_lo, 0, v2, vcc_lo
	v_add_co_u32 v13, vcc_lo, v13, s24
	s_delay_alu instid0(VALU_DEP_2) | instskip(NEXT) | instid1(VALU_DEP_2)
	v_add_co_ci_u32_e32 v29, vcc_lo, s25, v29, vcc_lo
	v_add_co_u32 v30, vcc_lo, v13, -4
	s_delay_alu instid0(VALU_DEP_2) | instskip(SKIP_1) | instid1(VALU_DEP_2)
	v_add_co_ci_u32_e32 v13, vcc_lo, -1, v29, vcc_lo
	v_cmp_gt_i32_e32 vcc_lo, s10, v12
	v_dual_cndmask_b32 v12, v30, v1 :: v_dual_cndmask_b32 v13, v13, v2
	v_mov_b32_e32 v30, 0
	v_cmpx_gt_i32_e64 s11, v15
	s_cbranch_execz .LBB135_36
; %bb.35:
	flat_load_b32 v30, v[12:13]
.LBB135_36:
	s_or_b32 exec_lo, exec_lo, s29
	v_add_nc_u32_e32 v32, 8, v15
	v_add_lshl_u32 v29, v22, v0, 2
	s_mov_b32 s29, exec_lo
	s_waitcnt vmcnt(0) lgkmcnt(0)
	ds_store_b32 v29, v30
	v_cmpx_gt_i32_e64 s11, v32
	s_cbranch_execz .LBB135_38
; %bb.37:
	v_add_co_u32 v30, s6, v12, s22
	s_delay_alu instid0(VALU_DEP_1)
	v_add_co_ci_u32_e64 v31, s6, s23, v13, s6
	flat_load_b32 v31, v[30:31]
.LBB135_38:
	s_or_b32 exec_lo, exec_lo, s29
	v_add_nc_u32_e32 v32, 16, v15
	v_mov_b32_e32 v30, 0
	s_waitcnt vmcnt(0) lgkmcnt(0)
	ds_store_b32 v29, v31 offset:1056
	v_cmp_gt_i32_e64 s6, s11, v32
	v_mov_b32_e32 v32, 0
	s_delay_alu instid0(VALU_DEP_2)
	s_and_saveexec_b32 s29, s6
	s_cbranch_execz .LBB135_40
; %bb.39:
	s_lshl_b64 s[30:31], s[12:13], 6
	s_delay_alu instid0(SALU_CYCLE_1) | instskip(NEXT) | instid1(VALU_DEP_1)
	v_add_co_u32 v31, s6, v12, s30
	v_add_co_ci_u32_e64 v32, s6, s31, v13, s6
	flat_load_b32 v32, v[31:32]
.LBB135_40:
	s_or_b32 exec_lo, exec_lo, s29
	v_add_nc_u32_e32 v31, 24, v15
	s_waitcnt vmcnt(0) lgkmcnt(0)
	ds_store_b32 v29, v32 offset:2112
	v_cmp_gt_i32_e64 s6, s11, v31
	s_delay_alu instid0(VALU_DEP_1)
	s_and_saveexec_b32 s11, s6
	s_cbranch_execz .LBB135_42
; %bb.41:
	v_mad_u64_u32 v[30:31], null, 0x60, s12, v[12:13]
	s_delay_alu instid0(VALU_DEP_1) | instskip(NEXT) | instid1(VALU_DEP_1)
	v_mad_u64_u32 v[32:33], null, 0x60, s13, v[31:32]
	v_mov_b32_e32 v31, v32
	flat_load_b32 v30, v[30:31]
.LBB135_42:
	s_or_b32 exec_lo, exec_lo, s11
	v_add_co_u32 v12, s6, v12, v19
	s_delay_alu instid0(VALU_DEP_1) | instskip(SKIP_3) | instid1(VALU_DEP_1)
	v_add_co_ci_u32_e64 v13, s6, 0, v13, s6
	s_waitcnt vmcnt(0) lgkmcnt(0)
	ds_store_b32 v29, v30 offset:3168
	v_sub_co_u32 v12, s6, v12, s24
	v_subrev_co_ci_u32_e64 v13, s6, s25, v13, s6
	s_delay_alu instid0(VALU_DEP_2) | instskip(NEXT) | instid1(VALU_DEP_1)
	v_add_co_u32 v12, s6, 0x84, v12
	v_add_co_ci_u32_e64 v13, s6, 0, v13, s6
	s_delay_alu instid0(VALU_DEP_1)
	v_dual_cndmask_b32 v12, v12, v1 :: v_dual_cndmask_b32 v13, v13, v2
	s_branch .LBB135_45
.LBB135_43:
                                        ; implicit-def: $vgpr12_vgpr13
	s_cbranch_execz .LBB135_45
; %bb.44:
	flat_load_b32 v29, v[10:11] offset:128
	v_add_co_u32 v12, vcc_lo, v10, s22
	v_add_lshl_u32 v31, v22, v0, 2
	v_add_co_ci_u32_e32 v13, vcc_lo, s23, v11, vcc_lo
	s_waitcnt vmcnt(0) lgkmcnt(0)
	ds_store_b32 v31, v29
	flat_load_b32 v29, v[12:13] offset:128
	v_add_co_u32 v12, vcc_lo, v12, s22
	v_add_co_ci_u32_e32 v13, vcc_lo, s23, v13, vcc_lo
	s_waitcnt vmcnt(0) lgkmcnt(0)
	ds_store_b32 v31, v29 offset:1056
	flat_load_b32 v32, v[12:13] offset:128
	v_mad_u64_u32 v[12:13], null, 0x60, s12, v[10:11]
	s_delay_alu instid0(VALU_DEP_1) | instskip(NEXT) | instid1(VALU_DEP_1)
	v_mov_b32_e32 v10, v13
	v_mad_u64_u32 v[29:30], null, 0x60, s13, v[10:11]
	s_delay_alu instid0(VALU_DEP_1)
	v_mov_b32_e32 v13, v29
	s_waitcnt vmcnt(0) lgkmcnt(0)
	ds_store_b32 v31, v32 offset:2112
	flat_load_b32 v10, v[12:13] offset:128
	v_dual_mov_b32 v13, v2 :: v_dual_mov_b32 v12, v1
	s_waitcnt vmcnt(0) lgkmcnt(0)
	ds_store_b32 v31, v10 offset:3168
.LBB135_45:
	s_waitcnt lgkmcnt(0)
	s_barrier
	buffer_gl0_inv
	s_and_saveexec_b32 s6, s2
	s_cbranch_execnz .LBB135_62
; %bb.46:
	s_or_b32 exec_lo, exec_lo, s6
	s_and_saveexec_b32 s2, s3
	s_cbranch_execnz .LBB135_63
.LBB135_47:
	s_or_b32 exec_lo, exec_lo, s2
	s_and_saveexec_b32 s2, s4
	s_cbranch_execnz .LBB135_64
.LBB135_48:
	s_or_b32 exec_lo, exec_lo, s2
	v_add_nc_u32_e32 v28, 0x11c0, v28
	s_and_saveexec_b32 s2, s5
	s_cbranch_execz .LBB135_50
.LBB135_49:
	ds_load_b32 v1, v24
	s_waitcnt lgkmcnt(0)
	ds_store_b32 v27, v1 offset:12
.LBB135_50:
	s_or_b32 exec_lo, exec_lo, s2
	s_waitcnt lgkmcnt(0)
	s_barrier
	buffer_gl0_inv
	ds_load_b32 v10, v25
	ds_load_b128 v[29:32], v28 offset:128
	ds_load_2addr_b32 v[1:2], v26 offset1:33
	ds_load_b32 v11, v24
	v_cmp_eq_u32_e64 s2, 1, v15
	s_waitcnt lgkmcnt(0)
	s_barrier
	buffer_gl0_inv
	v_fma_f32 v10, v10, v29, 0
	s_delay_alu instid0(VALU_DEP_1) | instskip(NEXT) | instid1(VALU_DEP_1)
	v_fmac_f32_e32 v10, v1, v30
	v_fmac_f32_e32 v10, v2, v31
	s_delay_alu instid0(VALU_DEP_1)
	v_fmac_f32_e32 v10, v11, v32
	ds_store_b32 v23, v10
	s_waitcnt lgkmcnt(0)
	s_barrier
	buffer_gl0_inv
	s_and_saveexec_b32 s3, s2
	s_cbranch_execz .LBB135_52
; %bb.51:
	ds_load_2addr_b32 v[1:2], v21 offset1:1
	ds_load_2addr_b32 v[10:11], v21 offset0:2 offset1:3
	ds_load_2addr_b32 v[29:30], v21 offset0:4 offset1:5
	;; [unrolled: 1-line block ×3, first 2 shown]
	s_waitcnt lgkmcnt(3)
	v_add_f32_e32 v1, v1, v2
	s_waitcnt lgkmcnt(2)
	s_delay_alu instid0(VALU_DEP_1) | instskip(NEXT) | instid1(VALU_DEP_1)
	v_add_f32_e32 v1, v1, v10
	v_add_f32_e32 v1, v1, v11
	s_waitcnt lgkmcnt(1)
	s_delay_alu instid0(VALU_DEP_1) | instskip(NEXT) | instid1(VALU_DEP_1)
	v_add_f32_e32 v1, v1, v29
	;; [unrolled: 4-line block ×3, first 2 shown]
	v_add_f32_e32 v18, v1, v32
.LBB135_52:
	s_or_b32 exec_lo, exec_lo, s3
	v_add_co_u32 v1, vcc_lo, 0xffffff80, v12
	v_add_co_ci_u32_e32 v2, vcc_lo, -1, v13, vcc_lo
	s_and_b32 vcc_lo, exec_lo, s28
	s_barrier
	buffer_gl0_inv
	s_cbranch_vccz .LBB135_65
; %bb.53:
	v_sub_co_u32 v10, vcc_lo, v1, v19
	s_ashr_i32 s11, s10, 31
	v_subrev_co_ci_u32_e32 v11, vcc_lo, 0, v2, vcc_lo
	s_lshl_b64 s[4:5], s[10:11], 2
	v_mov_b32_e32 v13, 0
	v_add_co_u32 v10, vcc_lo, v10, s4
	s_delay_alu instid0(VALU_DEP_3) | instskip(SKIP_1) | instid1(VALU_DEP_2)
	v_add_co_ci_u32_e32 v11, vcc_lo, s5, v11, vcc_lo
	s_sub_i32 s6, s10, 32
	v_add_co_u32 v10, vcc_lo, v10, -4
	s_delay_alu instid0(VALU_DEP_2) | instskip(SKIP_3) | instid1(VALU_DEP_3)
	v_add_co_ci_u32_e32 v11, vcc_lo, -1, v11, vcc_lo
	v_cmp_gt_i32_e32 vcc_lo, s10, v0
	v_mov_b32_e32 v27, 0
	s_mov_b32 s11, exec_lo
	v_dual_cndmask_b32 v10, v10, v1 :: v_dual_cndmask_b32 v11, v11, v2
	v_cmpx_gt_i32_e64 s6, v15
	s_cbranch_execz .LBB135_55
; %bb.54:
	flat_load_b32 v13, v[10:11]
.LBB135_55:
	s_or_b32 exec_lo, exec_lo, s11
	v_add_nc_u32_e32 v12, 8, v15
	v_add_lshl_u32 v29, v22, v0, 2
	s_mov_b32 s11, exec_lo
	s_waitcnt vmcnt(0) lgkmcnt(0)
	ds_store_b32 v29, v13
	v_cmpx_gt_i32_e64 s6, v12
	s_cbranch_execz .LBB135_57
; %bb.56:
	v_add_co_u32 v30, s3, v10, s22
	s_delay_alu instid0(VALU_DEP_1)
	v_add_co_ci_u32_e64 v31, s3, s23, v11, s3
	flat_load_b32 v27, v[30:31]
.LBB135_57:
	s_or_b32 exec_lo, exec_lo, s11
	v_dual_mov_b32 v30, 0 :: v_dual_add_nc_u32 v13, 16, v15
	v_mov_b32_e32 v31, 0
	s_mov_b32 s11, exec_lo
	s_waitcnt vmcnt(0) lgkmcnt(0)
	ds_store_b32 v29, v27 offset:1056
	v_cmpx_gt_i32_e64 s6, v13
	s_cbranch_execz .LBB135_59
; %bb.58:
	s_lshl_b64 s[24:25], s[12:13], 6
	s_delay_alu instid0(SALU_CYCLE_1) | instskip(NEXT) | instid1(VALU_DEP_1)
	v_add_co_u32 v31, s3, v10, s24
	v_add_co_ci_u32_e64 v32, s3, s25, v11, s3
	flat_load_b32 v31, v[31:32]
.LBB135_59:
	s_or_b32 exec_lo, exec_lo, s11
	v_add_nc_u32_e32 v27, 24, v15
	s_waitcnt vmcnt(0) lgkmcnt(0)
	ds_store_b32 v29, v31 offset:2112
	v_cmp_gt_i32_e64 s3, s6, v27
	s_delay_alu instid0(VALU_DEP_1)
	s_and_saveexec_b32 s6, s3
	s_cbranch_execz .LBB135_61
; %bb.60:
	v_mad_u64_u32 v[30:31], null, 0x60, s12, v[10:11]
	s_delay_alu instid0(VALU_DEP_1) | instskip(NEXT) | instid1(VALU_DEP_1)
	v_mad_u64_u32 v[32:33], null, 0x60, s13, v[31:32]
	v_mov_b32_e32 v31, v32
	flat_load_b32 v30, v[30:31]
.LBB135_61:
	s_or_b32 exec_lo, exec_lo, s6
	v_add_co_u32 v10, s3, v10, v19
	s_delay_alu instid0(VALU_DEP_1) | instskip(SKIP_3) | instid1(VALU_DEP_1)
	v_add_co_ci_u32_e64 v11, s3, 0, v11, s3
	s_waitcnt vmcnt(0) lgkmcnt(0)
	ds_store_b32 v29, v30 offset:3168
	v_sub_co_u32 v10, s3, v10, s4
	v_subrev_co_ci_u32_e64 v11, s3, s5, v11, s3
	s_delay_alu instid0(VALU_DEP_2) | instskip(NEXT) | instid1(VALU_DEP_1)
	v_add_co_u32 v10, s3, v10, 4
	v_add_co_ci_u32_e64 v11, s3, 0, v11, s3
	s_delay_alu instid0(VALU_DEP_1)
	v_dual_cndmask_b32 v10, v10, v1 :: v_dual_cndmask_b32 v11, v11, v2
	s_branch .LBB135_67
.LBB135_62:
	ds_load_b32 v1, v25
	s_waitcnt lgkmcnt(0)
	ds_store_b32 v27, v1
	s_or_b32 exec_lo, exec_lo, s6
	s_and_saveexec_b32 s2, s3
	s_cbranch_execz .LBB135_47
.LBB135_63:
	ds_load_b32 v1, v26
	s_waitcnt lgkmcnt(0)
	ds_store_b32 v27, v1 offset:4
	s_or_b32 exec_lo, exec_lo, s2
	s_and_saveexec_b32 s2, s4
	s_cbranch_execz .LBB135_48
.LBB135_64:
	ds_load_b32 v1, v26 offset:132
	s_waitcnt lgkmcnt(0)
	ds_store_b32 v27, v1 offset:8
	s_or_b32 exec_lo, exec_lo, s2
	v_add_nc_u32_e32 v28, 0x11c0, v28
	s_and_saveexec_b32 s2, s5
	s_cbranch_execnz .LBB135_49
	s_branch .LBB135_50
.LBB135_65:
                                        ; implicit-def: $vgpr10_vgpr11
                                        ; implicit-def: $vgpr12
                                        ; implicit-def: $vgpr13
                                        ; implicit-def: $vgpr27
	s_cbranch_execz .LBB135_67
; %bb.66:
	flat_load_b32 v12, v[1:2]
	v_add_co_u32 v10, vcc_lo, v1, s22
	v_add_lshl_u32 v19, v22, v0, 2
	v_add_co_ci_u32_e32 v11, vcc_lo, s23, v2, vcc_lo
	v_add_nc_u32_e32 v27, 24, v15
	s_waitcnt vmcnt(0) lgkmcnt(0)
	ds_store_b32 v19, v12
	flat_load_b32 v0, v[10:11]
	v_add_co_u32 v10, vcc_lo, v10, s22
	v_add_co_ci_u32_e32 v11, vcc_lo, s23, v11, vcc_lo
	s_waitcnt vmcnt(0) lgkmcnt(0)
	ds_store_b32 v19, v0 offset:1056
	flat_load_b32 v13, v[10:11]
	v_mad_u64_u32 v[10:11], null, 0x60, s12, v[1:2]
	s_delay_alu instid0(VALU_DEP_1)
	v_mov_b32_e32 v0, v11
	s_waitcnt vmcnt(0) lgkmcnt(0)
	ds_store_b32 v19, v13 offset:2112
	v_add_nc_u32_e32 v13, 16, v15
	v_mad_u64_u32 v[11:12], null, 0x60, s13, v[0:1]
	v_add_nc_u32_e32 v12, 8, v15
	flat_load_b32 v0, v[10:11]
	v_dual_mov_b32 v11, v2 :: v_dual_mov_b32 v10, v1
	s_waitcnt vmcnt(0) lgkmcnt(0)
	ds_store_b32 v19, v0 offset:3168
.LBB135_67:
	s_waitcnt lgkmcnt(0)
	s_barrier
	buffer_gl0_inv
	ds_load_b32 v19, v23
	ds_load_b32 v20, v20 offset:4544
	v_add_lshl_u32 v0, v12, v3, 2
	v_add_lshl_u32 v2, v13, v3, 2
	s_waitcnt lgkmcnt(0)
	v_fma_f32 v20, v19, v20, 0
	v_lshlrev_b32_e32 v1, 2, v12
	ds_load_b32 v22, v0
	ds_load_b32 v29, v1 offset:4544
	v_lshlrev_b32_e32 v12, 2, v13
	v_add_lshl_u32 v0, v27, v3, 2
	s_waitcnt lgkmcnt(0)
	v_dual_fmac_f32 v20, v22, v29 :: v_dual_lshlrev_b32 v1, 2, v27
	ds_load_b32 v27, v2
	ds_load_b32 v30, v12 offset:4544
	ds_load_b32 v31, v0
	ds_load_b32 v32, v1 offset:4544
	ds_load_b32 v15, v25
	ds_load_b128 v[0:3], v28 offset:128
	ds_load_2addr_b32 v[12:13], v26 offset1:33
	ds_load_b32 v19, v24
	s_waitcnt lgkmcnt(0)
	s_barrier
	buffer_gl0_inv
	v_fmac_f32_e32 v20, v27, v30
	s_delay_alu instid0(VALU_DEP_1)
	v_fmac_f32_e32 v20, v31, v32
	ds_store_b32 v23, v20
	s_waitcnt lgkmcnt(0)
	s_barrier
	buffer_gl0_inv
	s_and_saveexec_b32 s3, s2
	s_cbranch_execz .LBB135_69
; %bb.68:
	ds_load_2addr_b32 v[24:25], v21 offset1:1
	ds_load_2addr_b32 v[26:27], v21 offset0:2 offset1:3
	ds_load_2addr_b32 v[28:29], v21 offset0:4 offset1:5
	;; [unrolled: 1-line block ×3, first 2 shown]
	s_waitcnt lgkmcnt(3)
	v_add_f32_e32 v18, v18, v24
	s_delay_alu instid0(VALU_DEP_1) | instskip(SKIP_1) | instid1(VALU_DEP_1)
	v_add_f32_e32 v18, v18, v25
	s_waitcnt lgkmcnt(2)
	v_add_f32_e32 v18, v18, v26
	s_delay_alu instid0(VALU_DEP_1) | instskip(SKIP_1) | instid1(VALU_DEP_1)
	v_add_f32_e32 v18, v18, v27
	;; [unrolled: 4-line block ×3, first 2 shown]
	s_waitcnt lgkmcnt(0)
	v_add_f32_e32 v18, v18, v30
	s_delay_alu instid0(VALU_DEP_1)
	v_add_f32_e32 v18, v18, v31
.LBB135_69:
	s_or_b32 exec_lo, exec_lo, s3
	v_fma_f32 v0, v15, v0, 0
	s_barrier
	buffer_gl0_inv
	v_fmac_f32_e32 v0, v12, v1
	s_delay_alu instid0(VALU_DEP_1) | instskip(NEXT) | instid1(VALU_DEP_1)
	v_fmac_f32_e32 v0, v13, v2
	v_fmac_f32_e32 v0, v19, v3
	ds_store_b32 v23, v0
	s_waitcnt lgkmcnt(0)
	s_barrier
	buffer_gl0_inv
	s_and_saveexec_b32 s2, s1
	s_cbranch_execz .LBB135_71
; %bb.70:
	ds_load_2addr_b32 v[0:1], v21 offset1:1
	ds_load_2addr_b32 v[2:3], v21 offset0:2 offset1:3
	ds_load_2addr_b32 v[12:13], v21 offset0:4 offset1:5
	;; [unrolled: 1-line block ×3, first 2 shown]
	s_waitcnt lgkmcnt(3)
	v_add_f32_e32 v0, v18, v0
	s_delay_alu instid0(VALU_DEP_1) | instskip(SKIP_1) | instid1(VALU_DEP_1)
	v_add_f32_e32 v0, v0, v1
	s_waitcnt lgkmcnt(2)
	v_add_f32_e32 v0, v0, v2
	s_delay_alu instid0(VALU_DEP_1) | instskip(SKIP_1) | instid1(VALU_DEP_1)
	v_add_f32_e32 v0, v0, v3
	;; [unrolled: 4-line block ×3, first 2 shown]
	s_waitcnt lgkmcnt(0)
	v_add_f32_e32 v0, v0, v19
	s_delay_alu instid0(VALU_DEP_1)
	v_add_f32_e32 v18, v0, v20
.LBB135_71:
	s_or_b32 exec_lo, exec_lo, s2
	s_mul_hi_u32 s1, s26, s18
	s_mul_i32 s27, s27, s18
	s_mul_i32 s2, s26, s18
	s_add_i32 s1, s1, s27
	s_mul_hi_u32 s3, s2, s7
	s_mul_i32 s1, s1, s7
	s_mul_i32 s2, s2, s7
	s_add_i32 s3, s3, s1
	s_mul_hi_i32 s5, s26, s14
	s_lshl_b64 s[2:3], s[2:3], 2
	s_mul_i32 s4, s26, s14
	s_add_u32 s1, s20, s2
	s_addc_u32 s2, s21, s3
	s_lshl_b64 s[4:5], s[4:5], 2
	v_lshlrev_b32_e32 v19, 2, v16
	s_add_u32 s3, s1, s4
	s_addc_u32 s6, s2, s5
	s_add_i32 s1, s14, 1
	s_delay_alu instid0(SALU_CYCLE_1)
	s_cmp_ge_u32 s1, s7
	s_barrier
	buffer_gl0_inv
	s_cbranch_scc1 .LBB135_128
; %bb.72:
	v_lshlrev_b32_e32 v20, 2, v17
	s_lshl_b64 s[20:21], s[22:23], 2
	s_mul_i32 s1, s16, s9
	s_mul_hi_u32 s2, s16, s8
	s_mul_i32 s5, s17, s8
	v_mad_u64_u32 v[0:1], null, v20, s12, 0
	s_add_i32 s1, s2, s1
	v_lshlrev_b32_e32 v68, 4, v17
	s_mul_i32 s4, s16, s8
	s_add_i32 s5, s1, s5
	v_lshrrev_b32_e32 v13, 4, v14
	s_lshl_b64 s[4:5], s[4:5], 2
	s_delay_alu instid0(VALU_DEP_3)
	v_mad_u64_u32 v[2:3], null, v20, s13, v[1:2]
	v_add_co_u32 v3, vcc_lo, v10, s20
	v_add_co_ci_u32_e32 v22, vcc_lo, s21, v11, vcc_lo
	v_add_nc_u32_e32 v48, 0x88, v68
	v_cmp_gt_u32_e64 s1, 64, v14
	v_mov_b32_e32 v1, v2
	v_sub_co_u32 v2, vcc_lo, v3, v6
	v_sub_co_ci_u32_e32 v3, vcc_lo, v22, v7, vcc_lo
	s_delay_alu instid0(VALU_DEP_3) | instskip(SKIP_3) | instid1(VALU_DEP_4)
	v_lshlrev_b64 v[0:1], 2, v[0:1]
	v_sub_co_u32 v22, vcc_lo, v8, s4
	v_subrev_co_ci_u32_e32 v23, vcc_lo, s5, v9, vcc_lo
	v_and_b32_e32 v15, 48, v16
	v_add_co_u32 v24, vcc_lo, v2, v0
	v_add_co_ci_u32_e32 v25, vcc_lo, v3, v1, vcc_lo
	v_and_b32_e32 v0, 0x1fff0, v14
	v_add_nc_u32_e32 v14, 0x8c, v68
	v_mad_u64_u32 v[2:3], null, s12, v48, 0
	v_and_b32_e32 v12, 15, v16
	v_or_b32_e32 v28, 60, v19
	v_lshlrev_b32_e32 v27, 2, v15
	v_mul_i32_i24_e32 v78, -12, v13
	v_add_nc_u32_e32 v52, 0xc8, v68
	v_mad_u32_u24 v29, 0x10c, v12, v0
	v_mad_u64_u32 v[0:1], null, s12, v14, 0
	v_or_b32_e32 v30, 1, v20
	v_or_b32_e32 v31, 2, v20
	;; [unrolled: 1-line block ×3, first 2 shown]
	v_mad_u32_u24 v34, 0x430, v17, v19
	v_add_nc_u32_e32 v41, 34, v20
	v_add_nc_u32_e32 v43, 48, v20
	v_mad_u64_u32 v[8:9], null, s13, v14, v[1:2]
	v_mov_b32_e32 v1, v3
	v_add_nc_u32_e32 v3, 0x84, v68
	v_add_nc_u32_e32 v21, 0x10c0, v19
	v_mad_u32_u24 v27, 0x10c, v12, v27
	v_mad_u32_u24 v28, 0x10c, v12, v28
	v_or_b32_e32 v47, v15, v12
	v_mov_b32_e32 v14, v8
	v_mad_u64_u32 v[8:9], null, s13, v48, v[1:2]
	v_mad_u64_u32 v[12:13], null, s12, v3, 0
	v_sub_co_u32 v0, vcc_lo, v0, v6
	s_delay_alu instid0(VALU_DEP_4) | instskip(SKIP_1) | instid1(VALU_DEP_3)
	v_sub_co_ci_u32_e32 v1, vcc_lo, v14, v7, vcc_lo
	v_add_nc_u32_e32 v15, 0xcc, v68
	v_add_co_u32 v48, vcc_lo, v10, v0
	v_add_nc_u32_e32 v26, 0x11c0, v19
	s_delay_alu instid0(VALU_DEP_4) | instskip(SKIP_3) | instid1(VALU_DEP_3)
	v_add_co_ci_u32_e32 v49, vcc_lo, v11, v1, vcc_lo
	v_dual_mov_b32 v1, v8 :: v_dual_mov_b32 v0, v13
	v_mad_u64_u32 v[8:9], null, s12, v15, 0
	v_sub_co_u32 v13, vcc_lo, v2, v6
	v_sub_co_ci_u32_e32 v14, vcc_lo, v1, v7, vcc_lo
	s_delay_alu instid0(VALU_DEP_4) | instskip(NEXT) | instid1(VALU_DEP_4)
	v_mad_u64_u32 v[1:2], null, s13, v3, v[0:1]
	v_mov_b32_e32 v0, v9
	v_mad_u64_u32 v[2:3], null, s12, v52, 0
	v_add_co_u32 v50, vcc_lo, v10, v13
	v_add_co_ci_u32_e32 v51, vcc_lo, v11, v14, vcc_lo
	s_delay_alu instid0(VALU_DEP_4) | instskip(NEXT) | instid1(VALU_DEP_4)
	v_mad_u64_u32 v[13:14], null, s13, v15, v[0:1]
	v_dual_mov_b32 v0, v3 :: v_dual_add_nc_u32 v35, 16, v20
	v_sub_co_u32 v3, vcc_lo, v12, v6
	v_sub_co_ci_u32_e32 v9, vcc_lo, v1, v7, vcc_lo
	s_delay_alu instid0(VALU_DEP_4) | instskip(NEXT) | instid1(VALU_DEP_4)
	v_mov_b32_e32 v15, v13
	v_mad_u64_u32 v[12:13], null, s13, v52, v[0:1]
	s_delay_alu instid0(VALU_DEP_4) | instskip(NEXT) | instid1(VALU_DEP_4)
	v_add_co_u32 v52, vcc_lo, v10, v3
	v_add_co_ci_u32_e32 v53, vcc_lo, v11, v9, vcc_lo
	v_sub_co_u32 v13, vcc_lo, v8, v6
	s_delay_alu instid0(VALU_DEP_4) | instskip(SKIP_3) | instid1(VALU_DEP_4)
	v_dual_mov_b32 v3, v12 :: v_dual_add_nc_u32 v14, 0xc4, v68
	v_add_nc_u32_e32 v58, 0xc0, v68
	v_sub_co_ci_u32_e32 v15, vcc_lo, v15, v7, vcc_lo
	v_sub_co_u32 v12, vcc_lo, v2, v6
	v_mad_u64_u32 v[0:1], null, s12, v14, 0
	s_delay_alu instid0(VALU_DEP_4) | instskip(SKIP_2) | instid1(VALU_DEP_4)
	v_mad_u64_u32 v[8:9], null, s12, v58, 0
	v_sub_co_ci_u32_e32 v57, vcc_lo, v3, v7, vcc_lo
	v_add_co_u32 v54, vcc_lo, v10, v13
	v_mad_u64_u32 v[2:3], null, s13, v14, v[1:2]
	v_add_co_ci_u32_e32 v55, vcc_lo, v11, v15, vcc_lo
	v_add_co_u32 v56, vcc_lo, v10, v12
	v_mov_b32_e32 v1, v9
	v_add_nc_u32_e32 v9, 0x10c, v68
	v_add_co_ci_u32_e32 v57, vcc_lo, v11, v57, vcc_lo
	v_sub_co_u32 v0, vcc_lo, v0, v6
	v_sub_co_ci_u32_e32 v14, vcc_lo, v2, v7, vcc_lo
	s_delay_alu instid0(VALU_DEP_4)
	v_mad_u64_u32 v[2:3], null, s12, v9, 0
	v_add_nc_u32_e32 v33, 0x10c0, v68
	v_add_nc_u32_e32 v66, 0x100, v68
	;; [unrolled: 1-line block ×6, first 2 shown]
	v_mad_u64_u32 v[12:13], null, s13, v58, v[1:2]
	v_add_nc_u32_e32 v1, 0x108, v68
	v_add_co_u32 v58, vcc_lo, v10, v0
	v_mov_b32_e32 v0, v3
	v_add_nc_u32_e32 v36, 17, v20
	v_add_co_ci_u32_e32 v59, vcc_lo, v11, v14, vcc_lo
	v_mov_b32_e32 v3, v12
	s_delay_alu instid0(VALU_DEP_4) | instskip(SKIP_1) | instid1(VALU_DEP_3)
	v_mad_u64_u32 v[62:63], null, s13, v9, v[0:1]
	v_sub_co_u32 v8, vcc_lo, v8, v6
	v_sub_co_ci_u32_e32 v3, vcc_lo, v3, v7, vcc_lo
	v_mad_u64_u32 v[13:14], null, s12, v1, 0
	s_delay_alu instid0(VALU_DEP_3) | instskip(SKIP_1) | instid1(VALU_DEP_4)
	v_add_co_u32 v60, vcc_lo, v10, v8
	v_add_nc_u32_e32 v38, 19, v20
	v_add_co_ci_u32_e32 v61, vcc_lo, v11, v3, vcc_lo
	v_mov_b32_e32 v3, v62
	v_sub_co_u32 v2, vcc_lo, v2, v6
	v_dual_mov_b32 v0, v14 :: v_dual_add_nc_u32 v37, 18, v20
	v_add_nc_u32_e32 v12, 0x104, v68
	s_delay_alu instid0(VALU_DEP_4) | instskip(NEXT) | instid1(VALU_DEP_4)
	v_sub_co_ci_u32_e32 v3, vcc_lo, v3, v7, vcc_lo
	v_add_co_u32 v62, vcc_lo, v10, v2
	s_delay_alu instid0(VALU_DEP_4) | instskip(NEXT) | instid1(VALU_DEP_4)
	v_mad_u64_u32 v[8:9], null, s13, v1, v[0:1]
	v_mad_u64_u32 v[0:1], null, s12, v12, 0
	s_delay_alu instid0(VALU_DEP_4) | instskip(SKIP_4) | instid1(VALU_DEP_3)
	v_add_co_ci_u32_e32 v63, vcc_lo, v11, v3, vcc_lo
	v_mad_u64_u32 v[2:3], null, s12, v66, 0
	v_sub_co_u32 v14, vcc_lo, v13, v6
	v_sub_co_ci_u32_e32 v15, vcc_lo, v8, v7, vcc_lo
	v_add_nc_u32_e32 v40, 33, v20
	v_add_co_u32 v64, vcc_lo, v10, v14
	v_mad_u64_u32 v[8:9], null, s13, v12, v[1:2]
	v_mov_b32_e32 v1, v3
	v_mad_u64_u32 v[12:13], null, s12, v67, 0
	v_add_co_ci_u32_e32 v65, vcc_lo, v11, v15, vcc_lo
	s_delay_alu instid0(VALU_DEP_3) | instskip(SKIP_1) | instid1(VALU_DEP_4)
	v_mad_u64_u32 v[14:15], null, s13, v66, v[1:2]
	v_dual_mov_b32 v3, v8 :: v_dual_add_nc_u32 v42, 35, v20
	v_mov_b32_e32 v1, v13
	v_add_nc_u32_e32 v15, 0x148, v68
	v_sub_co_u32 v13, vcc_lo, v0, v6
	s_delay_alu instid0(VALU_DEP_4) | instskip(NEXT) | instid1(VALU_DEP_4)
	v_sub_co_ci_u32_e32 v3, vcc_lo, v3, v7, vcc_lo
	v_mad_u64_u32 v[8:9], null, s13, v67, v[1:2]
	s_delay_alu instid0(VALU_DEP_4) | instskip(NEXT) | instid1(VALU_DEP_4)
	v_mad_u64_u32 v[0:1], null, s12, v15, 0
	v_add_co_u32 v66, vcc_lo, v10, v13
	s_delay_alu instid0(VALU_DEP_4)
	v_add_co_ci_u32_e32 v67, vcc_lo, v11, v3, vcc_lo
	v_sub_co_u32 v69, vcc_lo, v2, v6
	v_dual_mov_b32 v71, v8 :: v_dual_add_nc_u32 v44, 49, v20
	v_sub_co_ci_u32_e32 v70, vcc_lo, v14, v7, vcc_lo
	v_mad_u64_u32 v[2:3], null, s13, v15, v[1:2]
	v_mad_u64_u32 v[8:9], null, s12, v72, 0
	;; [unrolled: 1-line block ×3, first 2 shown]
	v_add_co_u32 v68, vcc_lo, v10, v69
	v_add_co_ci_u32_e32 v69, vcc_lo, v11, v70, vcc_lo
	v_add_nc_u32_e32 v39, 32, v20
	v_dual_mov_b32 v15, v2 :: v_dual_add_nc_u32 v46, 51, v20
	v_sub_co_u32 v3, vcc_lo, v12, v6
	v_dual_mov_b32 v1, v9 :: v_dual_mov_b32 v2, v14
	v_sub_co_ci_u32_e32 v12, vcc_lo, v71, v7, vcc_lo
	v_sub_co_u32 v9, vcc_lo, v0, v6
	v_sub_co_ci_u32_e32 v74, vcc_lo, v15, v7, vcc_lo
	s_delay_alu instid0(VALU_DEP_4)
	v_mad_u64_u32 v[14:15], null, s13, v72, v[1:2]
	v_add_co_u32 v70, vcc_lo, v10, v3
	v_mad_u64_u32 v[0:1], null, s13, v73, v[2:3]
	v_add_co_ci_u32_e32 v71, vcc_lo, v11, v12, vcc_lo
	v_add_co_u32 v72, vcc_lo, v10, v9
	v_mov_b32_e32 v1, v14
	v_add_co_ci_u32_e32 v73, vcc_lo, v11, v74, vcc_lo
	v_sub_co_u32 v2, vcc_lo, v8, v6
	s_delay_alu instid0(VALU_DEP_3) | instskip(SKIP_2) | instid1(VALU_DEP_4)
	v_sub_co_ci_u32_e32 v1, vcc_lo, v1, v7, vcc_lo
	v_sub_co_u32 v3, vcc_lo, v13, v6
	v_sub_co_ci_u32_e32 v0, vcc_lo, v0, v7, vcc_lo
	v_add_co_u32 v74, vcc_lo, v10, v2
	s_delay_alu instid0(VALU_DEP_4) | instskip(NEXT) | instid1(VALU_DEP_4)
	v_add_co_ci_u32_e32 v75, vcc_lo, v11, v1, vcc_lo
	v_add_co_u32 v76, vcc_lo, v10, v3
	s_delay_alu instid0(VALU_DEP_4)
	v_add_co_ci_u32_e32 v77, vcc_lo, v11, v0, vcc_lo
	v_add_nc_u32_e32 v78, v29, v78
	s_add_i32 s11, s7, -2
	s_add_i32 s16, s16, 64
	s_lshl_b64 s[4:5], s[12:13], 8
	s_cmp_eq_u32 s11, s14
	s_cselect_b32 s12, s15, 0
	s_and_saveexec_b32 s2, s0
	s_cbranch_execz .LBB135_76
.LBB135_73:
	v_cmp_gt_i32_e32 vcc_lo, s12, v16
	s_cmp_eq_u32 s12, 0
	v_mov_b32_e32 v0, 0
	s_cselect_b32 s13, -1, 0
	s_delay_alu instid0(SALU_CYCLE_1) | instskip(NEXT) | instid1(SALU_CYCLE_1)
	s_or_b32 s17, s13, vcc_lo
	s_and_saveexec_b32 s13, s17
	s_cbranch_execz .LBB135_75
; %bb.74:
	s_mul_i32 s17, s16, s9
	s_mul_hi_u32 s18, s16, s8
	s_ashr_i32 s20, s16, 31
	s_add_i32 s17, s18, s17
	s_mul_i32 s20, s20, s8
	s_delay_alu instid0(SALU_CYCLE_1) | instskip(SKIP_1) | instid1(SALU_CYCLE_1)
	s_add_i32 s21, s17, s20
	s_mul_i32 s20, s16, s8
	s_lshl_b64 s[20:21], s[20:21], 2
	s_delay_alu instid0(SALU_CYCLE_1)
	v_add_co_u32 v0, vcc_lo, v22, s20
	v_add_co_ci_u32_e32 v1, vcc_lo, s21, v23, vcc_lo
	flat_load_b32 v0, v[0:1]
.LBB135_75:
	s_or_b32 exec_lo, exec_lo, s13
	s_waitcnt vmcnt(0) lgkmcnt(0)
	ds_store_b32 v21, v0
.LBB135_76:                             ; =>This Inner Loop Header: Depth=1
	s_or_b32 exec_lo, exec_lo, s2
	s_cmp_eq_u32 s12, 0
	v_add_co_u32 v0, vcc_lo, v24, v19
	s_cselect_b32 s13, -1, 0
	s_cmp_lg_u32 s12, 0
	v_add_co_ci_u32_e32 v1, vcc_lo, 0, v25, vcc_lo
	s_cselect_b32 s2, -1, 0
	s_waitcnt lgkmcnt(0)
	s_and_b32 vcc_lo, exec_lo, s2
	s_barrier
	buffer_gl0_inv
	s_cbranch_vccz .LBB135_124
; %bb.77:                               ;   in Loop: Header=BB135_76 Depth=1
	v_dual_mov_b32 v79, 0 :: v_dual_mov_b32 v82, 0
	s_mov_b32 s17, exec_lo
	v_cmpx_gt_i32_e64 s12, v20
	s_cbranch_execz .LBB135_79
; %bb.78:                               ;   in Loop: Header=BB135_76 Depth=1
	flat_load_b32 v82, v[0:1]
.LBB135_79:                             ;   in Loop: Header=BB135_76 Depth=1
	s_or_b32 exec_lo, exec_lo, s17
	s_delay_alu instid0(SALU_CYCLE_1)
	s_mov_b32 s17, exec_lo
	v_cmpx_gt_i32_e64 s12, v30
	s_cbranch_execz .LBB135_81
; %bb.80:                               ;   in Loop: Header=BB135_76 Depth=1
	v_add_co_u32 v2, vcc_lo, v52, v19
	v_add_co_ci_u32_e32 v3, vcc_lo, 0, v53, vcc_lo
	flat_load_b32 v79, v[2:3]
.LBB135_81:                             ;   in Loop: Header=BB135_76 Depth=1
	s_or_b32 exec_lo, exec_lo, s17
	v_dual_mov_b32 v80, 0 :: v_dual_mov_b32 v81, 0
	s_mov_b32 s17, exec_lo
	v_cmpx_gt_i32_e64 s12, v31
	s_cbranch_execz .LBB135_83
; %bb.82:                               ;   in Loop: Header=BB135_76 Depth=1
	v_add_co_u32 v2, vcc_lo, v50, v19
	v_add_co_ci_u32_e32 v3, vcc_lo, 0, v51, vcc_lo
	flat_load_b32 v81, v[2:3]
.LBB135_83:                             ;   in Loop: Header=BB135_76 Depth=1
	s_or_b32 exec_lo, exec_lo, s17
	s_delay_alu instid0(SALU_CYCLE_1)
	s_mov_b32 s17, exec_lo
	v_cmpx_gt_i32_e64 s12, v32
	s_cbranch_execz .LBB135_85
; %bb.84:                               ;   in Loop: Header=BB135_76 Depth=1
	v_add_co_u32 v2, vcc_lo, v48, v19
	v_add_co_ci_u32_e32 v3, vcc_lo, 0, v49, vcc_lo
	flat_load_b32 v80, v[2:3]
.LBB135_85:                             ;   in Loop: Header=BB135_76 Depth=1
	s_or_b32 exec_lo, exec_lo, s17
	s_branch .LBB135_87
.LBB135_86:                             ;   in Loop: Header=BB135_76 Depth=1
	v_add_co_u32 v2, vcc_lo, v52, v19
	v_add_co_ci_u32_e32 v3, vcc_lo, 0, v53, vcc_lo
	v_add_co_u32 v6, vcc_lo, v50, v19
	v_add_co_ci_u32_e32 v7, vcc_lo, 0, v51, vcc_lo
	;; [unrolled: 2-line block ×3, first 2 shown]
	s_waitcnt vmcnt(0) lgkmcnt(0)
	flat_load_b32 v82, v[0:1]
	flat_load_b32 v79, v[2:3]
	;; [unrolled: 1-line block ×4, first 2 shown]
.LBB135_87:                             ;   in Loop: Header=BB135_76 Depth=1
	ds_load_b32 v0, v26
	ds_load_b32 v86, v33
	v_add_co_u32 v6, vcc_lo, v60, v19
	v_cndmask_b32_e64 v14, 0, 1, s2
	v_add_co_ci_u32_e32 v7, vcc_lo, 0, v61, vcc_lo
	s_and_not1_b32 vcc_lo, exec_lo, s2
	s_waitcnt vmcnt(0) lgkmcnt(1)
	v_mul_f32_e32 v1, v82, v0
	v_mul_f32_e32 v2, v79, v0
	;; [unrolled: 1-line block ×4, first 2 shown]
	ds_store_b32 v34, v1
	ds_load_b32 v85, v33 offset:4
	ds_store_b32 v34, v2 offset:268
	ds_load_b32 v84, v33 offset:8
	ds_store_b32 v34, v3 offset:536
	ds_load_b32 v83, v33 offset:12
	ds_store_b32 v34, v0 offset:804
	s_waitcnt lgkmcnt(0)
	s_barrier
	buffer_gl0_inv
	ds_load_2addr_b32 v[2:3], v29 offset1:1
	ds_load_2addr_b32 v[0:1], v29 offset0:2 offset1:3
	s_waitcnt lgkmcnt(0)
	s_barrier
	buffer_gl0_inv
	s_cbranch_vccnz .LBB135_125
; %bb.88:                               ;   in Loop: Header=BB135_76 Depth=1
	v_dual_mov_b32 v87, 0 :: v_dual_mov_b32 v88, 0
	s_mov_b32 s2, exec_lo
	v_cmpx_gt_i32_e64 s12, v35
	s_cbranch_execz .LBB135_90
; %bb.89:                               ;   in Loop: Header=BB135_76 Depth=1
	flat_load_b32 v88, v[6:7]
.LBB135_90:                             ;   in Loop: Header=BB135_76 Depth=1
	s_or_b32 exec_lo, exec_lo, s2
	s_delay_alu instid0(SALU_CYCLE_1)
	s_mov_b32 s2, exec_lo
	v_cmpx_gt_i32_e64 s12, v36
	s_cbranch_execz .LBB135_92
; %bb.91:                               ;   in Loop: Header=BB135_76 Depth=1
	v_add_co_u32 v8, vcc_lo, v58, v19
	v_add_co_ci_u32_e32 v9, vcc_lo, 0, v59, vcc_lo
	flat_load_b32 v87, v[8:9]
.LBB135_92:                             ;   in Loop: Header=BB135_76 Depth=1
	s_or_b32 exec_lo, exec_lo, s2
	v_dual_mov_b32 v89, 0 :: v_dual_mov_b32 v90, 0
	s_mov_b32 s2, exec_lo
	v_cmpx_gt_i32_e64 s12, v37
	s_cbranch_execz .LBB135_94
; %bb.93:                               ;   in Loop: Header=BB135_76 Depth=1
	v_add_co_u32 v8, vcc_lo, v56, v19
	v_add_co_ci_u32_e32 v9, vcc_lo, 0, v57, vcc_lo
	flat_load_b32 v90, v[8:9]
.LBB135_94:                             ;   in Loop: Header=BB135_76 Depth=1
	s_or_b32 exec_lo, exec_lo, s2
	s_delay_alu instid0(SALU_CYCLE_1)
	s_mov_b32 s2, exec_lo
	v_cmpx_gt_i32_e64 s12, v38
	s_cbranch_execz .LBB135_96
; %bb.95:                               ;   in Loop: Header=BB135_76 Depth=1
	v_add_co_u32 v8, vcc_lo, v54, v19
	v_add_co_ci_u32_e32 v9, vcc_lo, 0, v55, vcc_lo
	flat_load_b32 v89, v[8:9]
.LBB135_96:                             ;   in Loop: Header=BB135_76 Depth=1
	s_or_b32 exec_lo, exec_lo, s2
	s_branch .LBB135_98
.LBB135_97:                             ;   in Loop: Header=BB135_76 Depth=1
	v_add_co_u32 v8, vcc_lo, v58, v19
	v_add_co_ci_u32_e32 v9, vcc_lo, 0, v59, vcc_lo
	v_add_co_u32 v10, vcc_lo, v56, v19
	v_add_co_ci_u32_e32 v11, vcc_lo, 0, v57, vcc_lo
	v_add_co_u32 v12, vcc_lo, v54, v19
	v_add_co_ci_u32_e32 v13, vcc_lo, 0, v55, vcc_lo
	s_waitcnt vmcnt(0) lgkmcnt(0)
	flat_load_b32 v88, v[6:7]
	flat_load_b32 v87, v[8:9]
	;; [unrolled: 1-line block ×4, first 2 shown]
.LBB135_98:                             ;   in Loop: Header=BB135_76 Depth=1
	ds_load_b32 v6, v26
	ds_load_b32 v91, v33 offset:64
	v_cmp_ne_u32_e32 vcc_lo, 1, v14
	v_add_co_u32 v10, s2, v68, v19
	s_delay_alu instid0(VALU_DEP_1)
	v_add_co_ci_u32_e64 v11, s2, 0, v69, s2
	s_and_b32 vcc_lo, exec_lo, vcc_lo
	s_waitcnt vmcnt(0) lgkmcnt(1)
	v_mul_f32_e32 v7, v88, v6
	v_mul_f32_e32 v8, v87, v6
	;; [unrolled: 1-line block ×4, first 2 shown]
	ds_store_b32 v34, v7
	ds_load_b32 v94, v33 offset:68
	ds_store_b32 v34, v8 offset:268
	ds_load_b32 v93, v33 offset:72
	ds_store_b32 v34, v9 offset:536
	;; [unrolled: 2-line block ×3, first 2 shown]
	s_waitcnt lgkmcnt(0)
	s_barrier
	buffer_gl0_inv
	ds_load_2addr_b32 v[8:9], v29 offset1:1
	ds_load_2addr_b32 v[6:7], v29 offset0:2 offset1:3
	s_waitcnt lgkmcnt(0)
	s_barrier
	buffer_gl0_inv
	s_cbranch_vccnz .LBB135_126
; %bb.99:                               ;   in Loop: Header=BB135_76 Depth=1
	v_dual_mov_b32 v95, 0 :: v_dual_mov_b32 v96, 0
	s_mov_b32 s2, exec_lo
	v_cmpx_gt_i32_e64 s12, v39
	s_cbranch_execz .LBB135_101
; %bb.100:                              ;   in Loop: Header=BB135_76 Depth=1
	flat_load_b32 v96, v[10:11]
.LBB135_101:                            ;   in Loop: Header=BB135_76 Depth=1
	s_or_b32 exec_lo, exec_lo, s2
	s_delay_alu instid0(SALU_CYCLE_1)
	s_mov_b32 s2, exec_lo
	v_cmpx_gt_i32_e64 s12, v40
	s_cbranch_execz .LBB135_103
; %bb.102:                              ;   in Loop: Header=BB135_76 Depth=1
	v_add_co_u32 v12, vcc_lo, v66, v19
	v_add_co_ci_u32_e32 v13, vcc_lo, 0, v67, vcc_lo
	flat_load_b32 v95, v[12:13]
.LBB135_103:                            ;   in Loop: Header=BB135_76 Depth=1
	s_or_b32 exec_lo, exec_lo, s2
	v_dual_mov_b32 v97, 0 :: v_dual_mov_b32 v98, 0
	s_mov_b32 s2, exec_lo
	v_cmpx_gt_i32_e64 s12, v41
	s_cbranch_execz .LBB135_105
; %bb.104:                              ;   in Loop: Header=BB135_76 Depth=1
	v_add_co_u32 v12, vcc_lo, v64, v19
	v_add_co_ci_u32_e32 v13, vcc_lo, 0, v65, vcc_lo
	flat_load_b32 v98, v[12:13]
.LBB135_105:                            ;   in Loop: Header=BB135_76 Depth=1
	s_or_b32 exec_lo, exec_lo, s2
	s_delay_alu instid0(SALU_CYCLE_1)
	s_mov_b32 s2, exec_lo
	v_cmpx_gt_i32_e64 s12, v42
	s_cbranch_execz .LBB135_107
; %bb.106:                              ;   in Loop: Header=BB135_76 Depth=1
	v_add_co_u32 v12, vcc_lo, v62, v19
	v_add_co_ci_u32_e32 v13, vcc_lo, 0, v63, vcc_lo
	flat_load_b32 v97, v[12:13]
.LBB135_107:                            ;   in Loop: Header=BB135_76 Depth=1
	s_or_b32 exec_lo, exec_lo, s2
	s_branch .LBB135_109
.LBB135_108:                            ;   in Loop: Header=BB135_76 Depth=1
	v_add_co_u32 v12, vcc_lo, v66, v19
	v_add_co_ci_u32_e32 v13, vcc_lo, 0, v67, vcc_lo
	s_waitcnt vmcnt(0) lgkmcnt(0)
	v_add_co_u32 v97, vcc_lo, v64, v19
	v_add_co_ci_u32_e32 v98, vcc_lo, 0, v65, vcc_lo
	v_add_co_u32 v99, vcc_lo, v62, v19
	v_add_co_ci_u32_e32 v100, vcc_lo, 0, v63, vcc_lo
	flat_load_b32 v96, v[10:11]
	flat_load_b32 v95, v[12:13]
	;; [unrolled: 1-line block ×4, first 2 shown]
.LBB135_109:                            ;   in Loop: Header=BB135_76 Depth=1
	ds_load_b32 v10, v26
	ds_load_b32 v99, v33 offset:128
	v_cmp_ne_u32_e32 vcc_lo, 1, v14
	v_add_co_u32 v14, s2, v76, v19
	s_delay_alu instid0(VALU_DEP_1)
	v_add_co_ci_u32_e64 v15, s2, 0, v77, s2
	s_and_b32 vcc_lo, exec_lo, vcc_lo
	s_waitcnt vmcnt(0) lgkmcnt(1)
	v_mul_f32_e32 v11, v96, v10
	v_mul_f32_e32 v12, v95, v10
	;; [unrolled: 1-line block ×4, first 2 shown]
	ds_store_b32 v34, v11
	ds_load_b32 v102, v33 offset:132
	ds_store_b32 v34, v12 offset:268
	ds_load_b32 v101, v33 offset:136
	ds_store_b32 v34, v13 offset:536
	;; [unrolled: 2-line block ×3, first 2 shown]
	s_waitcnt lgkmcnt(0)
	s_barrier
	buffer_gl0_inv
	ds_load_2addr_b32 v[12:13], v29 offset1:1
	ds_load_2addr_b32 v[10:11], v29 offset0:2 offset1:3
	s_waitcnt lgkmcnt(0)
	s_barrier
	buffer_gl0_inv
	s_cbranch_vccnz .LBB135_127
; %bb.110:                              ;   in Loop: Header=BB135_76 Depth=1
	v_dual_mov_b32 v103, 0 :: v_dual_mov_b32 v104, 0
	s_mov_b32 s2, exec_lo
	v_cmpx_gt_i32_e64 s12, v43
	s_cbranch_execz .LBB135_112
; %bb.111:                              ;   in Loop: Header=BB135_76 Depth=1
	flat_load_b32 v104, v[14:15]
.LBB135_112:                            ;   in Loop: Header=BB135_76 Depth=1
	s_or_b32 exec_lo, exec_lo, s2
	s_delay_alu instid0(SALU_CYCLE_1)
	s_mov_b32 s2, exec_lo
	v_cmpx_gt_i32_e64 s12, v44
	s_cbranch_execz .LBB135_114
; %bb.113:                              ;   in Loop: Header=BB135_76 Depth=1
	v_add_co_u32 v105, vcc_lo, v74, v19
	v_add_co_ci_u32_e32 v106, vcc_lo, 0, v75, vcc_lo
	flat_load_b32 v103, v[105:106]
.LBB135_114:                            ;   in Loop: Header=BB135_76 Depth=1
	s_or_b32 exec_lo, exec_lo, s2
	v_dual_mov_b32 v105, 0 :: v_dual_mov_b32 v106, 0
	s_mov_b32 s2, exec_lo
	v_cmpx_gt_i32_e64 s12, v45
	s_cbranch_execz .LBB135_116
; %bb.115:                              ;   in Loop: Header=BB135_76 Depth=1
	v_add_co_u32 v106, vcc_lo, v72, v19
	v_add_co_ci_u32_e32 v107, vcc_lo, 0, v73, vcc_lo
	flat_load_b32 v106, v[106:107]
.LBB135_116:                            ;   in Loop: Header=BB135_76 Depth=1
	s_or_b32 exec_lo, exec_lo, s2
	s_delay_alu instid0(SALU_CYCLE_1)
	s_mov_b32 s2, exec_lo
	v_cmpx_gt_i32_e64 s12, v46
	s_cbranch_execz .LBB135_118
; %bb.117:                              ;   in Loop: Header=BB135_76 Depth=1
	v_add_co_u32 v107, vcc_lo, v70, v19
	v_add_co_ci_u32_e32 v108, vcc_lo, 0, v71, vcc_lo
	flat_load_b32 v105, v[107:108]
.LBB135_118:                            ;   in Loop: Header=BB135_76 Depth=1
	s_or_b32 exec_lo, exec_lo, s2
	s_branch .LBB135_120
.LBB135_119:                            ;   in Loop: Header=BB135_76 Depth=1
	s_waitcnt vmcnt(0) lgkmcnt(0)
	v_add_co_u32 v105, vcc_lo, v74, v19
	v_add_co_ci_u32_e32 v106, vcc_lo, 0, v75, vcc_lo
	v_add_co_u32 v107, vcc_lo, v72, v19
	v_add_co_ci_u32_e32 v108, vcc_lo, 0, v73, vcc_lo
	;; [unrolled: 2-line block ×3, first 2 shown]
	flat_load_b32 v104, v[14:15]
	flat_load_b32 v103, v[105:106]
	;; [unrolled: 1-line block ×4, first 2 shown]
.LBB135_120:                            ;   in Loop: Header=BB135_76 Depth=1
	ds_load_b32 v15, v26
	ds_load_b32 v14, v33 offset:192
	v_cmp_gt_i32_e32 vcc_lo, s12, v16
	v_add_f32_e32 v12, 0, v12
	v_add_f32_e32 v8, 0, v8
	;; [unrolled: 1-line block ×3, first 2 shown]
	s_or_b32 s2, s13, vcc_lo
	s_delay_alu instid0(SALU_CYCLE_1) | instskip(NEXT) | instid1(VALU_DEP_2)
	s_and_b32 s12, s1, s2
	v_add_f32_e32 v8, v8, v9
	s_waitcnt vmcnt(0) lgkmcnt(1)
	v_mul_f32_e32 v107, v104, v15
	v_mul_f32_e32 v109, v103, v15
	;; [unrolled: 1-line block ×4, first 2 shown]
	ds_store_b32 v34, v107
	ds_load_b32 v108, v33 offset:196
	ds_store_b32 v34, v109 offset:268
	ds_load_b32 v107, v33 offset:200
	ds_store_b32 v34, v110 offset:536
	ds_load_b32 v15, v33 offset:204
	ds_store_b32 v34, v111 offset:804
	s_waitcnt lgkmcnt(0)
	s_barrier
	buffer_gl0_inv
	ds_load_2addr_b32 v[109:110], v29 offset1:1
	ds_load_2addr_b32 v[111:112], v29 offset0:2 offset1:3
	s_waitcnt lgkmcnt(0)
	s_barrier
	buffer_gl0_inv
	v_add_f32_e32 v109, 0, v109
	v_add_f32_e32 v12, v12, v13
	s_delay_alu instid0(VALU_DEP_2) | instskip(NEXT) | instid1(VALU_DEP_1)
	v_dual_add_f32 v2, v2, v3 :: v_dual_add_f32 v3, v109, v110
	v_dual_add_f32 v9, v12, v10 :: v_dual_add_f32 v0, v2, v0
	s_delay_alu instid0(VALU_DEP_2) | instskip(NEXT) | instid1(VALU_DEP_2)
	v_add_f32_e32 v2, v3, v111
	v_dual_add_f32 v3, v9, v11 :: v_dual_add_f32 v6, v8, v6
	s_delay_alu instid0(VALU_DEP_2) | instskip(NEXT) | instid1(VALU_DEP_2)
	v_dual_add_f32 v0, v0, v1 :: v_dual_add_f32 v1, v2, v112
	v_add_f32_e32 v6, v6, v7
	ds_store_2addr_b32 v78, v0, v6 offset1:16
	ds_store_2addr_b32 v78, v3, v1 offset0:32 offset1:48
	s_waitcnt lgkmcnt(0)
	s_barrier
	buffer_gl0_inv
	s_and_saveexec_b32 s2, s12
	s_cbranch_execz .LBB135_122
; %bb.121:                              ;   in Loop: Header=BB135_76 Depth=1
	ds_load_2addr_b32 v[0:1], v27 offset1:1
	ds_load_2addr_b32 v[2:3], v27 offset0:2 offset1:3
	ds_load_2addr_b32 v[6:7], v27 offset0:4 offset1:5
	;; [unrolled: 1-line block ×3, first 2 shown]
	s_waitcnt lgkmcnt(3)
	v_add_f32_e32 v0, v0, v1
	s_waitcnt lgkmcnt(2)
	s_delay_alu instid0(VALU_DEP_1) | instskip(NEXT) | instid1(VALU_DEP_1)
	v_add_f32_e32 v0, v0, v2
	v_add_f32_e32 v0, v0, v3
	s_waitcnt lgkmcnt(1)
	s_delay_alu instid0(VALU_DEP_1) | instskip(SKIP_3) | instid1(VALU_DEP_1)
	v_add_f32_e32 v2, v0, v6
	ds_load_2addr_b32 v[0:1], v27 offset0:8 offset1:9
	v_add_f32_e32 v2, v2, v7
	s_waitcnt lgkmcnt(1)
	v_add_f32_e32 v6, v2, v8
	ds_load_2addr_b32 v[2:3], v27 offset0:10 offset1:11
	v_add_f32_e32 v8, v6, v9
	ds_load_2addr_b32 v[6:7], v27 offset0:12 offset1:13
	ds_load_b32 v9, v27 offset:56
	s_waitcnt lgkmcnt(3)
	v_add_f32_e32 v0, v8, v0
	s_delay_alu instid0(VALU_DEP_1) | instskip(SKIP_1) | instid1(VALU_DEP_1)
	v_add_f32_e32 v0, v0, v1
	s_waitcnt lgkmcnt(2)
	v_add_f32_e32 v0, v0, v2
	ds_load_b32 v2, v28
	v_add_f32_e32 v0, v0, v3
	s_waitcnt lgkmcnt(2)
	s_delay_alu instid0(VALU_DEP_1) | instskip(NEXT) | instid1(VALU_DEP_1)
	v_dual_add_f32 v1, v0, v6 :: v_dual_add_nc_u32 v0, s16, v47
	v_add_f32_e32 v3, v1, v7
	s_delay_alu instid0(VALU_DEP_2) | instskip(SKIP_1) | instid1(VALU_DEP_2)
	v_ashrrev_i32_e32 v1, 31, v0
	s_waitcnt lgkmcnt(1)
	v_add_f32_e32 v3, v3, v9
	s_delay_alu instid0(VALU_DEP_2) | instskip(SKIP_1) | instid1(VALU_DEP_2)
	v_lshlrev_b64 v[0:1], 2, v[0:1]
	s_waitcnt lgkmcnt(0)
	v_add_f32_e32 v2, v3, v2
	s_delay_alu instid0(VALU_DEP_2) | instskip(NEXT) | instid1(VALU_DEP_3)
	v_add_co_u32 v0, vcc_lo, s3, v0
	v_add_co_ci_u32_e32 v1, vcc_lo, s6, v1, vcc_lo
	global_store_b32 v[0:1], v2, off
.LBB135_122:                            ;   in Loop: Header=BB135_76 Depth=1
	s_or_b32 exec_lo, exec_lo, s2
	v_fmac_f32_e32 v18, v82, v86
	v_add_co_u32 v48, vcc_lo, v48, s4
	v_add_co_ci_u32_e32 v49, vcc_lo, s5, v49, vcc_lo
	s_delay_alu instid0(VALU_DEP_3) | instskip(SKIP_2) | instid1(VALU_DEP_3)
	v_fmac_f32_e32 v18, v79, v85
	v_add_co_u32 v50, vcc_lo, v50, s4
	v_add_co_ci_u32_e32 v51, vcc_lo, s5, v51, vcc_lo
	v_fmac_f32_e32 v18, v81, v84
	v_add_co_u32 v52, vcc_lo, v52, s4
	v_add_co_ci_u32_e32 v53, vcc_lo, s5, v53, vcc_lo
	s_delay_alu instid0(VALU_DEP_3) | instskip(SKIP_2) | instid1(VALU_DEP_3)
	v_fmac_f32_e32 v18, v80, v83
	v_add_co_u32 v24, vcc_lo, v24, s4
	v_add_co_ci_u32_e32 v25, vcc_lo, s5, v25, vcc_lo
	v_fmac_f32_e32 v18, v88, v91
	v_add_co_u32 v54, vcc_lo, v54, s4
	v_add_co_ci_u32_e32 v55, vcc_lo, s5, v55, vcc_lo
	s_delay_alu instid0(VALU_DEP_3) | instskip(SKIP_2) | instid1(VALU_DEP_3)
	v_fmac_f32_e32 v18, v87, v94
	v_add_co_u32 v56, vcc_lo, v56, s4
	v_add_co_ci_u32_e32 v57, vcc_lo, s5, v57, vcc_lo
	v_fmac_f32_e32 v18, v90, v93
	v_add_co_u32 v58, vcc_lo, v58, s4
	v_add_co_ci_u32_e32 v59, vcc_lo, s5, v59, vcc_lo
	s_delay_alu instid0(VALU_DEP_3) | instskip(SKIP_2) | instid1(VALU_DEP_3)
	v_fmac_f32_e32 v18, v89, v92
	v_add_co_u32 v60, vcc_lo, v60, s4
	v_add_co_ci_u32_e32 v61, vcc_lo, s5, v61, vcc_lo
	v_fmac_f32_e32 v18, v96, v99
	v_add_co_u32 v62, vcc_lo, v62, s4
	v_add_co_ci_u32_e32 v63, vcc_lo, s5, v63, vcc_lo
	s_delay_alu instid0(VALU_DEP_3) | instskip(SKIP_2) | instid1(VALU_DEP_3)
	v_fmac_f32_e32 v18, v95, v102
	v_add_co_u32 v64, vcc_lo, v64, s4
	v_add_co_ci_u32_e32 v65, vcc_lo, s5, v65, vcc_lo
	v_fmac_f32_e32 v18, v98, v101
	v_add_co_u32 v66, vcc_lo, v66, s4
	v_add_co_ci_u32_e32 v67, vcc_lo, s5, v67, vcc_lo
	s_delay_alu instid0(VALU_DEP_3) | instskip(SKIP_2) | instid1(VALU_DEP_3)
	v_fmac_f32_e32 v18, v97, v100
	v_add_co_u32 v68, vcc_lo, v68, s4
	v_add_co_ci_u32_e32 v69, vcc_lo, s5, v69, vcc_lo
	v_fmac_f32_e32 v18, v104, v14
	v_add_co_u32 v70, vcc_lo, v70, s4
	v_add_co_ci_u32_e32 v71, vcc_lo, s5, v71, vcc_lo
	s_delay_alu instid0(VALU_DEP_3) | instskip(SKIP_2) | instid1(VALU_DEP_3)
	v_fmac_f32_e32 v18, v103, v108
	v_add_co_u32 v72, vcc_lo, v72, s4
	v_add_co_ci_u32_e32 v73, vcc_lo, s5, v73, vcc_lo
	v_fmac_f32_e32 v18, v106, v107
	v_add_co_u32 v74, vcc_lo, v74, s4
	v_add_co_ci_u32_e32 v75, vcc_lo, s5, v75, vcc_lo
	v_add_co_u32 v76, vcc_lo, v76, s4
	s_delay_alu instid0(VALU_DEP_4)
	v_fmac_f32_e32 v18, v105, v15
	v_add_co_ci_u32_e32 v77, vcc_lo, s5, v77, vcc_lo
	s_add_i32 s12, s14, 2
	s_add_i32 s2, s14, 1
	;; [unrolled: 1-line block ×3, first 2 shown]
	s_cmp_ge_u32 s12, s7
	s_waitcnt_vscnt null, 0x0
	s_barrier
	buffer_gl0_inv
	s_cbranch_scc1 .LBB135_128
; %bb.123:                              ;   in Loop: Header=BB135_76 Depth=1
	s_mov_b32 s14, s2
	s_delay_alu instid0(SALU_CYCLE_1)
	s_cmp_eq_u32 s11, s14
	s_cselect_b32 s12, s15, 0
	s_and_saveexec_b32 s2, s0
	s_cbranch_execnz .LBB135_73
	s_branch .LBB135_76
.LBB135_124:                            ;   in Loop: Header=BB135_76 Depth=1
                                        ; implicit-def: $vgpr80
                                        ; implicit-def: $vgpr81
                                        ; implicit-def: $vgpr79
                                        ; implicit-def: $vgpr82
	s_cbranch_execnz .LBB135_86
	s_branch .LBB135_87
.LBB135_125:                            ;   in Loop: Header=BB135_76 Depth=1
                                        ; implicit-def: $vgpr89
                                        ; implicit-def: $vgpr90
                                        ; implicit-def: $vgpr87
                                        ; implicit-def: $vgpr88
	s_cbranch_execnz .LBB135_97
	s_branch .LBB135_98
.LBB135_126:                            ;   in Loop: Header=BB135_76 Depth=1
                                        ; implicit-def: $vgpr97
                                        ; implicit-def: $vgpr98
                                        ; implicit-def: $vgpr95
                                        ; implicit-def: $vgpr96
	s_cbranch_execnz .LBB135_108
	s_branch .LBB135_109
.LBB135_127:                            ;   in Loop: Header=BB135_76 Depth=1
                                        ; implicit-def: $vgpr105
                                        ; implicit-def: $vgpr106
                                        ; implicit-def: $vgpr103
                                        ; implicit-def: $vgpr104
	s_cbranch_execnz .LBB135_119
	s_branch .LBB135_120
.LBB135_128:
	v_cmp_gt_i32_e32 vcc_lo, s10, v16
	v_mad_u32_u24 v0, 0x10c, v17, v19
	s_or_b32 s1, s19, vcc_lo
	ds_store_b32 v0, v18
	s_and_b32 s0, s0, s1
	s_waitcnt lgkmcnt(0)
	s_barrier
	buffer_gl0_inv
	s_and_saveexec_b32 s1, s0
	s_cbranch_execz .LBB135_130
; %bb.129:
	ds_load_2addr_b32 v[0:1], v19 offset1:67
	ds_load_2addr_b32 v[2:3], v19 offset0:134 offset1:201
	s_waitcnt lgkmcnt(1)
	v_add_f32_e32 v0, v0, v1
	s_waitcnt lgkmcnt(0)
	s_delay_alu instid0(VALU_DEP_1) | instskip(SKIP_1) | instid1(VALU_DEP_2)
	v_add_f32_e32 v2, v0, v2
	v_lshlrev_b64 v[0:1], 2, v[4:5]
	v_add_f32_e32 v2, v2, v3
	s_delay_alu instid0(VALU_DEP_2) | instskip(NEXT) | instid1(VALU_DEP_3)
	v_add_co_u32 v0, vcc_lo, s3, v0
	v_add_co_ci_u32_e32 v1, vcc_lo, s6, v1, vcc_lo
	global_store_b32 v[0:1], v2, off
.LBB135_130:
	s_nop 0
	s_sendmsg sendmsg(MSG_DEALLOC_VGPRS)
	s_endpgm
	.section	.rodata,"a",@progbits
	.p2align	6, 0x0
	.amdhsa_kernel _ZL26rocblas_hemvn_kernel_upperILb0ELi64ELi4ELi33ELi32ELi16ElPKfPKS1_PfEviT6_lT7_lT5_lS6_lS7_lS5_lT8_i
		.amdhsa_group_segment_fixed_size 4800
		.amdhsa_private_segment_fixed_size 0
		.amdhsa_kernarg_size 376
		.amdhsa_user_sgpr_count 14
		.amdhsa_user_sgpr_dispatch_ptr 0
		.amdhsa_user_sgpr_queue_ptr 0
		.amdhsa_user_sgpr_kernarg_segment_ptr 1
		.amdhsa_user_sgpr_dispatch_id 0
		.amdhsa_user_sgpr_private_segment_size 0
		.amdhsa_wavefront_size32 1
		.amdhsa_uses_dynamic_stack 0
		.amdhsa_enable_private_segment 0
		.amdhsa_system_sgpr_workgroup_id_x 1
		.amdhsa_system_sgpr_workgroup_id_y 0
		.amdhsa_system_sgpr_workgroup_id_z 1
		.amdhsa_system_sgpr_workgroup_info 0
		.amdhsa_system_vgpr_workitem_id 1
		.amdhsa_next_free_vgpr 113
		.amdhsa_next_free_sgpr 32
		.amdhsa_reserve_vcc 1
		.amdhsa_float_round_mode_32 0
		.amdhsa_float_round_mode_16_64 0
		.amdhsa_float_denorm_mode_32 3
		.amdhsa_float_denorm_mode_16_64 3
		.amdhsa_dx10_clamp 1
		.amdhsa_ieee_mode 1
		.amdhsa_fp16_overflow 0
		.amdhsa_workgroup_processor_mode 1
		.amdhsa_memory_ordered 1
		.amdhsa_forward_progress 0
		.amdhsa_shared_vgpr_count 0
		.amdhsa_exception_fp_ieee_invalid_op 0
		.amdhsa_exception_fp_denorm_src 0
		.amdhsa_exception_fp_ieee_div_zero 0
		.amdhsa_exception_fp_ieee_overflow 0
		.amdhsa_exception_fp_ieee_underflow 0
		.amdhsa_exception_fp_ieee_inexact 0
		.amdhsa_exception_int_div_zero 0
	.end_amdhsa_kernel
	.section	.text._ZL26rocblas_hemvn_kernel_upperILb0ELi64ELi4ELi33ELi32ELi16ElPKfPKS1_PfEviT6_lT7_lT5_lS6_lS7_lS5_lT8_i,"axG",@progbits,_ZL26rocblas_hemvn_kernel_upperILb0ELi64ELi4ELi33ELi32ELi16ElPKfPKS1_PfEviT6_lT7_lT5_lS6_lS7_lS5_lT8_i,comdat
.Lfunc_end135:
	.size	_ZL26rocblas_hemvn_kernel_upperILb0ELi64ELi4ELi33ELi32ELi16ElPKfPKS1_PfEviT6_lT7_lT5_lS6_lS7_lS5_lT8_i, .Lfunc_end135-_ZL26rocblas_hemvn_kernel_upperILb0ELi64ELi4ELi33ELi32ELi16ElPKfPKS1_PfEviT6_lT7_lT5_lS6_lS7_lS5_lT8_i
                                        ; -- End function
	.section	.AMDGPU.csdata,"",@progbits
; Kernel info:
; codeLenInByte = 8116
; NumSgprs: 34
; NumVgprs: 113
; ScratchSize: 0
; MemoryBound: 0
; FloatMode: 240
; IeeeMode: 1
; LDSByteSize: 4800 bytes/workgroup (compile time only)
; SGPRBlocks: 4
; VGPRBlocks: 14
; NumSGPRsForWavesPerEU: 34
; NumVGPRsForWavesPerEU: 113
; Occupancy: 12
; WaveLimiterHint : 1
; COMPUTE_PGM_RSRC2:SCRATCH_EN: 0
; COMPUTE_PGM_RSRC2:USER_SGPR: 14
; COMPUTE_PGM_RSRC2:TRAP_HANDLER: 0
; COMPUTE_PGM_RSRC2:TGID_X_EN: 1
; COMPUTE_PGM_RSRC2:TGID_Y_EN: 0
; COMPUTE_PGM_RSRC2:TGID_Z_EN: 1
; COMPUTE_PGM_RSRC2:TIDIG_COMP_CNT: 1
	.section	.text._ZL36rocblas_hemvn_kernel_upper_block_sumILi64ElPKfPKPffEviT1_lS5_lT2_lT0_lPT3_i,"axG",@progbits,_ZL36rocblas_hemvn_kernel_upper_block_sumILi64ElPKfPKPffEviT1_lS5_lT2_lT0_lPT3_i,comdat
	.globl	_ZL36rocblas_hemvn_kernel_upper_block_sumILi64ElPKfPKPffEviT1_lS5_lT2_lT0_lPT3_i ; -- Begin function _ZL36rocblas_hemvn_kernel_upper_block_sumILi64ElPKfPKPffEviT1_lS5_lT2_lT0_lPT3_i
	.p2align	8
	.type	_ZL36rocblas_hemvn_kernel_upper_block_sumILi64ElPKfPKPffEviT1_lS5_lT2_lT0_lPT3_i,@function
_ZL36rocblas_hemvn_kernel_upper_block_sumILi64ElPKfPKPffEviT1_lS5_lT2_lT0_lPT3_i: ; @_ZL36rocblas_hemvn_kernel_upper_block_sumILi64ElPKfPKPffEviT1_lS5_lT2_lT0_lPT3_i
; %bb.0:
	s_load_b256 s[16:23], s[0:1], 0x8
	s_mov_b32 s9, 0
	s_waitcnt lgkmcnt(0)
	s_mul_i32 s3, s15, s19
	s_mul_hi_u32 s4, s15, s18
	s_mul_i32 s2, s15, s18
	s_add_i32 s3, s4, s3
	s_mul_i32 s4, s15, s23
	s_lshl_b64 s[2:3], s[2:3], 2
	s_mul_hi_u32 s5, s15, s22
	s_add_u32 s2, s16, s2
	s_addc_u32 s3, s17, s3
	s_add_i32 s5, s5, s4
	s_mul_i32 s4, s15, s22
	s_delay_alu instid0(SALU_CYCLE_1) | instskip(NEXT) | instid1(SALU_CYCLE_1)
	s_lshl_b64 s[4:5], s[4:5], 2
	s_add_u32 s4, s20, s4
	s_addc_u32 s5, s21, s5
	s_load_b32 s12, s[2:3], 0x0
	s_load_b32 s13, s[4:5], 0x0
	s_waitcnt lgkmcnt(0)
	v_cmp_eq_f32_e64 s2, s12, 0
	v_cmp_eq_f32_e64 s3, s13, 1.0
	s_delay_alu instid0(VALU_DEP_1) | instskip(NEXT) | instid1(SALU_CYCLE_1)
	s_and_b32 s2, s2, s3
	s_and_b32 vcc_lo, exec_lo, s2
	s_cbranch_vccnz .LBB136_19
; %bb.1:
	s_clause 0x1
	s_load_b64 s[2:3], s[0:1], 0x28
	s_load_b32 s10, s[0:1], 0x0
	s_mov_b32 s8, s15
	s_load_b128 s[4:7], s[0:1], 0x30
	s_lshl_b64 s[16:17], s[8:9], 3
	v_lshl_or_b32 v0, s14, 6, v0
	s_waitcnt lgkmcnt(0)
	s_add_u32 s2, s2, s16
	s_addc_u32 s3, s3, s17
	s_lshl_b64 s[4:5], s[4:5], 2
	s_load_b64 s[16:17], s[2:3], 0x0
	v_cmp_neq_f32_e64 s2, s12, 0
	s_waitcnt lgkmcnt(0)
	s_add_u32 s3, s16, s4
	s_addc_u32 s4, s17, s5
	s_delay_alu instid0(VALU_DEP_1)
	s_and_b32 vcc_lo, exec_lo, s2
	v_cmp_gt_i32_e64 s2, s10, v0
	s_cbranch_vccnz .LBB136_6
; %bb.2:
	s_mov_b32 s5, 0
                                        ; implicit-def: $vgpr3
                                        ; implicit-def: $vgpr1_vgpr2
	s_delay_alu instid0(VALU_DEP_1)
	s_and_saveexec_b32 s11, s2
	s_cbranch_execz .LBB136_7
; %bb.3:
	v_ashrrev_i32_e32 v3, 31, v0
	v_mul_lo_u32 v4, v0, s7
	v_mad_u64_u32 v[1:2], null, v0, s6, 0
	v_cmp_eq_f32_e64 s2, s13, 0
	s_delay_alu instid0(VALU_DEP_4) | instskip(NEXT) | instid1(VALU_DEP_2)
	v_mul_lo_u32 v3, v3, s6
	s_and_b32 vcc_lo, exec_lo, s2
	s_delay_alu instid0(VALU_DEP_1)
	v_add3_u32 v2, v2, v4, v3
	v_mov_b32_e32 v3, 0
	s_cbranch_vccnz .LBB136_5
; %bb.4:
	s_delay_alu instid0(VALU_DEP_2) | instskip(NEXT) | instid1(VALU_DEP_1)
	v_lshlrev_b64 v[3:4], 2, v[1:2]
	v_add_co_u32 v3, vcc_lo, s3, v3
	s_delay_alu instid0(VALU_DEP_2)
	v_add_co_ci_u32_e32 v4, vcc_lo, s4, v4, vcc_lo
	global_load_b32 v3, v[3:4], off
	s_waitcnt vmcnt(0)
	v_mul_f32_e32 v3, s13, v3
.LBB136_5:
	s_mov_b32 s9, exec_lo
	s_or_b32 exec_lo, exec_lo, s11
	s_delay_alu instid0(SALU_CYCLE_1)
	s_and_b32 vcc_lo, exec_lo, s5
	s_cbranch_vccnz .LBB136_8
	s_branch .LBB136_17
.LBB136_6:
                                        ; implicit-def: $vgpr3
                                        ; implicit-def: $vgpr1_vgpr2
	s_cbranch_execnz .LBB136_8
	s_branch .LBB136_17
.LBB136_7:
	s_or_b32 exec_lo, exec_lo, s11
	s_delay_alu instid0(SALU_CYCLE_1)
	s_and_b32 vcc_lo, exec_lo, s5
	s_cbranch_vccz .LBB136_17
.LBB136_8:
	s_mov_b32 s2, exec_lo
                                        ; implicit-def: $vgpr3
                                        ; implicit-def: $vgpr1_vgpr2
	v_cmpx_gt_i32_e64 s10, v0
	s_cbranch_execz .LBB136_16
; %bb.9:
	v_ashrrev_i32_e32 v1, 31, v0
	v_mov_b32_e32 v4, 0
	s_cmp_lt_i32 s14, 0
	s_cbranch_scc1 .LBB136_12
; %bb.10:
	s_clause 0x1
	s_load_b32 s5, s[0:1], 0x58
	s_load_b64 s[0:1], s[0:1], 0x48
	s_ashr_i32 s11, s10, 31
	s_mul_hi_u32 s15, s10, s8
	s_mul_i32 s16, s11, s8
	s_mul_i32 s8, s10, s8
	s_add_i32 s15, s15, s16
	v_lshlrev_b64 v[2:3], 2, v[0:1]
	v_mov_b32_e32 v4, 0
	s_waitcnt lgkmcnt(0)
	s_mul_i32 s15, s15, s5
	s_mul_hi_u32 s17, s8, s5
	s_mul_i32 s16, s8, s5
	s_add_i32 s17, s17, s15
	s_delay_alu instid0(SALU_CYCLE_1) | instskip(NEXT) | instid1(SALU_CYCLE_1)
	s_lshl_b64 s[16:17], s[16:17], 2
	s_add_u32 s0, s0, s16
	s_addc_u32 s1, s1, s17
	v_add_co_u32 v2, vcc_lo, s0, v2
	v_add_co_ci_u32_e32 v3, vcc_lo, s1, v3, vcc_lo
	s_add_i32 s5, s14, 1
	s_lshl_b64 s[0:1], s[10:11], 2
.LBB136_11:                             ; =>This Inner Loop Header: Depth=1
	global_load_b32 v5, v[2:3], off
	v_add_co_u32 v2, vcc_lo, v2, s0
	v_add_co_ci_u32_e32 v3, vcc_lo, s1, v3, vcc_lo
	s_add_i32 s5, s5, -1
	s_delay_alu instid0(SALU_CYCLE_1)
	s_cmp_eq_u32 s5, 0
	s_waitcnt vmcnt(0)
	v_add_f32_e32 v4, v4, v5
	s_cbranch_scc0 .LBB136_11
.LBB136_12:
	s_delay_alu instid0(VALU_DEP_2) | instskip(SKIP_2) | instid1(VALU_DEP_1)
	v_mul_lo_u32 v5, v1, s6
	v_mul_lo_u32 v6, v0, s7
	v_cmp_eq_f32_e64 s0, s13, 0
	s_and_b32 vcc_lo, exec_lo, s0
	s_mov_b32 s0, 0
	s_cbranch_vccz .LBB136_20
; %bb.13:
	v_mad_u64_u32 v[1:2], null, v0, s6, 0
	v_mul_f32_e32 v3, s12, v4
	s_delay_alu instid0(VALU_DEP_2)
	v_add3_u32 v2, v2, v6, v5
	s_and_not1_b32 vcc_lo, exec_lo, s0
	s_cbranch_vccnz .LBB136_15
.LBB136_14:
	v_mad_u64_u32 v[1:2], null, v0, s6, 0
	s_delay_alu instid0(VALU_DEP_1) | instskip(NEXT) | instid1(VALU_DEP_1)
	v_add3_u32 v2, v2, v6, v5
	v_lshlrev_b64 v[5:6], 2, v[1:2]
	s_delay_alu instid0(VALU_DEP_1) | instskip(NEXT) | instid1(VALU_DEP_2)
	v_add_co_u32 v5, vcc_lo, s3, v5
	v_add_co_ci_u32_e32 v6, vcc_lo, s4, v6, vcc_lo
	global_load_b32 v0, v[5:6], off
	s_waitcnt vmcnt(0)
	v_mul_f32_e32 v3, s13, v0
	s_delay_alu instid0(VALU_DEP_1)
	v_fmac_f32_e32 v3, s12, v4
.LBB136_15:
	s_or_b32 s9, s9, exec_lo
.LBB136_16:
	s_or_b32 exec_lo, exec_lo, s2
.LBB136_17:
	s_and_saveexec_b32 s0, s9
	s_cbranch_execz .LBB136_19
; %bb.18:
	v_lshlrev_b64 v[0:1], 2, v[1:2]
	s_delay_alu instid0(VALU_DEP_1) | instskip(NEXT) | instid1(VALU_DEP_2)
	v_add_co_u32 v0, vcc_lo, s3, v0
	v_add_co_ci_u32_e32 v1, vcc_lo, s4, v1, vcc_lo
	global_store_b32 v[0:1], v3, off
.LBB136_19:
	s_nop 0
	s_sendmsg sendmsg(MSG_DEALLOC_VGPRS)
	s_endpgm
.LBB136_20:
                                        ; implicit-def: $vgpr3
                                        ; implicit-def: $vgpr1_vgpr2
	s_branch .LBB136_14
	.section	.rodata,"a",@progbits
	.p2align	6, 0x0
	.amdhsa_kernel _ZL36rocblas_hemvn_kernel_upper_block_sumILi64ElPKfPKPffEviT1_lS5_lT2_lT0_lPT3_i
		.amdhsa_group_segment_fixed_size 0
		.amdhsa_private_segment_fixed_size 0
		.amdhsa_kernarg_size 344
		.amdhsa_user_sgpr_count 14
		.amdhsa_user_sgpr_dispatch_ptr 0
		.amdhsa_user_sgpr_queue_ptr 0
		.amdhsa_user_sgpr_kernarg_segment_ptr 1
		.amdhsa_user_sgpr_dispatch_id 0
		.amdhsa_user_sgpr_private_segment_size 0
		.amdhsa_wavefront_size32 1
		.amdhsa_uses_dynamic_stack 0
		.amdhsa_enable_private_segment 0
		.amdhsa_system_sgpr_workgroup_id_x 1
		.amdhsa_system_sgpr_workgroup_id_y 0
		.amdhsa_system_sgpr_workgroup_id_z 1
		.amdhsa_system_sgpr_workgroup_info 0
		.amdhsa_system_vgpr_workitem_id 0
		.amdhsa_next_free_vgpr 7
		.amdhsa_next_free_sgpr 24
		.amdhsa_reserve_vcc 1
		.amdhsa_float_round_mode_32 0
		.amdhsa_float_round_mode_16_64 0
		.amdhsa_float_denorm_mode_32 3
		.amdhsa_float_denorm_mode_16_64 3
		.amdhsa_dx10_clamp 1
		.amdhsa_ieee_mode 1
		.amdhsa_fp16_overflow 0
		.amdhsa_workgroup_processor_mode 1
		.amdhsa_memory_ordered 1
		.amdhsa_forward_progress 0
		.amdhsa_shared_vgpr_count 0
		.amdhsa_exception_fp_ieee_invalid_op 0
		.amdhsa_exception_fp_denorm_src 0
		.amdhsa_exception_fp_ieee_div_zero 0
		.amdhsa_exception_fp_ieee_overflow 0
		.amdhsa_exception_fp_ieee_underflow 0
		.amdhsa_exception_fp_ieee_inexact 0
		.amdhsa_exception_int_div_zero 0
	.end_amdhsa_kernel
	.section	.text._ZL36rocblas_hemvn_kernel_upper_block_sumILi64ElPKfPKPffEviT1_lS5_lT2_lT0_lPT3_i,"axG",@progbits,_ZL36rocblas_hemvn_kernel_upper_block_sumILi64ElPKfPKPffEviT1_lS5_lT2_lT0_lPT3_i,comdat
.Lfunc_end136:
	.size	_ZL36rocblas_hemvn_kernel_upper_block_sumILi64ElPKfPKPffEviT1_lS5_lT2_lT0_lPT3_i, .Lfunc_end136-_ZL36rocblas_hemvn_kernel_upper_block_sumILi64ElPKfPKPffEviT1_lS5_lT2_lT0_lPT3_i
                                        ; -- End function
	.section	.AMDGPU.csdata,"",@progbits
; Kernel info:
; codeLenInByte = 796
; NumSgprs: 26
; NumVgprs: 7
; ScratchSize: 0
; MemoryBound: 0
; FloatMode: 240
; IeeeMode: 1
; LDSByteSize: 0 bytes/workgroup (compile time only)
; SGPRBlocks: 3
; VGPRBlocks: 0
; NumSGPRsForWavesPerEU: 26
; NumVGPRsForWavesPerEU: 7
; Occupancy: 16
; WaveLimiterHint : 1
; COMPUTE_PGM_RSRC2:SCRATCH_EN: 0
; COMPUTE_PGM_RSRC2:USER_SGPR: 14
; COMPUTE_PGM_RSRC2:TRAP_HANDLER: 0
; COMPUTE_PGM_RSRC2:TGID_X_EN: 1
; COMPUTE_PGM_RSRC2:TGID_Y_EN: 0
; COMPUTE_PGM_RSRC2:TGID_Z_EN: 1
; COMPUTE_PGM_RSRC2:TIDIG_COMP_CNT: 0
	.section	.text._ZL26rocblas_hemvn_kernel_upperILb0ELi64ELi4ELi33ELi32ELi16EiPKfPKS1_PfEviT6_lT7_lT5_lS6_lS7_lS5_lT8_i,"axG",@progbits,_ZL26rocblas_hemvn_kernel_upperILb0ELi64ELi4ELi33ELi32ELi16EiPKfPKS1_PfEviT6_lT7_lT5_lS6_lS7_lS5_lT8_i,comdat
	.globl	_ZL26rocblas_hemvn_kernel_upperILb0ELi64ELi4ELi33ELi32ELi16EiPKfPKS1_PfEviT6_lT7_lT5_lS6_lS7_lS5_lT8_i ; -- Begin function _ZL26rocblas_hemvn_kernel_upperILb0ELi64ELi4ELi33ELi32ELi16EiPKfPKS1_PfEviT6_lT7_lT5_lS6_lS7_lS5_lT8_i
	.p2align	8
	.type	_ZL26rocblas_hemvn_kernel_upperILb0ELi64ELi4ELi33ELi32ELi16EiPKfPKS1_PfEviT6_lT7_lT5_lS6_lS7_lS5_lT8_i,@function
_ZL26rocblas_hemvn_kernel_upperILb0ELi64ELi4ELi33ELi32ELi16EiPKfPKS1_PfEviT6_lT7_lT5_lS6_lS7_lS5_lT8_i: ; @_ZL26rocblas_hemvn_kernel_upperILb0ELi64ELi4ELi33ELi32ELi16EiPKfPKS1_PfEviT6_lT7_lT5_lS6_lS7_lS5_lT8_i
; %bb.0:
	s_load_b64 s[4:5], s[0:1], 0x84
	s_add_u32 s2, s0, 0x78
	s_addc_u32 s3, s1, 0
	s_waitcnt lgkmcnt(0)
	s_lshr_b32 s6, s4, 16
	s_and_b32 s4, s4, 0xffff
	s_and_b32 s5, s5, 0xffff
	s_mul_i32 s4, s6, s4
	s_delay_alu instid0(SALU_CYCLE_1) | instskip(NEXT) | instid1(SALU_CYCLE_1)
	s_mul_i32 s4, s4, s5
	s_cmpk_lg_i32 s4, 0x100
	s_cbranch_scc1 .LBB137_130
; %bb.1:
	s_clause 0x1
	s_load_b256 s[4:11], s[0:1], 0x8
	s_load_b128 s[16:19], s[0:1], 0x58
	s_mov_b32 s12, s15
	s_waitcnt lgkmcnt(0)
	s_mul_i32 s7, s15, s7
	s_mul_hi_u32 s13, s15, s6
	s_mul_i32 s6, s15, s6
	s_add_i32 s7, s13, s7
	s_mul_i32 s13, s15, s19
	s_lshl_b64 s[6:7], s[6:7], 2
	s_mul_hi_u32 s15, s15, s18
	s_add_u32 s4, s4, s6
	s_addc_u32 s5, s5, s7
	s_add_i32 s7, s15, s13
	s_mul_i32 s6, s12, s18
	s_mov_b32 s13, 0
	s_lshl_b64 s[6:7], s[6:7], 2
	s_delay_alu instid0(SALU_CYCLE_1)
	s_add_u32 s6, s16, s6
	s_addc_u32 s7, s17, s7
	s_load_b32 s4, s[4:5], 0x0
	s_load_b32 s6, s[6:7], 0x0
	s_waitcnt lgkmcnt(0)
	v_cmp_eq_f32_e64 s5, s4, 0
	v_cmp_eq_f32_e64 s6, s6, 1.0
	s_delay_alu instid0(VALU_DEP_1) | instskip(NEXT) | instid1(SALU_CYCLE_1)
	s_and_b32 s6, s5, s6
	s_and_b32 vcc_lo, exec_lo, s6
	s_cbranch_vccnz .LBB137_130
; %bb.2:
	v_cmp_neq_f32_e64 s15, s4, 0
	s_mov_b64 s[6:7], 0
	s_and_b32 vcc_lo, exec_lo, s5
	s_mov_b64 s[4:5], 0
	s_cbranch_vccnz .LBB137_4
; %bb.3:
	s_lshl_b64 s[4:5], s[12:13], 3
	s_delay_alu instid0(SALU_CYCLE_1)
	s_add_u32 s4, s8, s4
	s_addc_u32 s5, s9, s5
	s_lshl_b64 s[8:9], s[10:11], 2
	s_load_b64 s[4:5], s[4:5], 0x0
	s_waitcnt lgkmcnt(0)
	s_add_u32 s4, s4, s8
	s_addc_u32 s5, s5, s9
.LBB137_4:
	v_cndmask_b32_e64 v1, 0, 1, s15
	s_and_not1_b32 vcc_lo, exec_lo, s15
	s_cbranch_vccnz .LBB137_6
; %bb.5:
	s_load_b128 s[8:11], s[0:1], 0x38
	s_lshl_b64 s[6:7], s[12:13], 3
	s_waitcnt lgkmcnt(0)
	s_add_u32 s6, s8, s6
	s_addc_u32 s7, s9, s7
	s_lshl_b64 s[8:9], s[10:11], 2
	s_load_b64 s[6:7], s[6:7], 0x0
	s_waitcnt lgkmcnt(0)
	s_add_u32 s6, s6, s8
	s_addc_u32 s7, s7, s9
.LBB137_6:
	s_delay_alu instid0(VALU_DEP_1)
	v_cmp_ne_u32_e32 vcc_lo, 1, v1
	s_cbranch_vccnz .LBB137_130
; %bb.7:
	s_clause 0x1
	s_load_b32 s26, s[0:1], 0x48
	s_load_b32 s13, s[0:1], 0x0
	v_and_b32_e32 v5, 0x3ff, v0
	s_lshl_b32 s16, s14, 6
	s_load_b32 s15, s[2:3], 0x0
	s_load_b64 s[18:19], s[0:1], 0x68
	v_bfe_u32 v18, v0, 10, 10
	v_add_nc_u32_e32 v4, s16, v5
	s_waitcnt lgkmcnt(0)
	s_delay_alu instid0(VALU_DEP_1) | instskip(SKIP_1) | instid1(SALU_CYCLE_1)
	v_mul_lo_u32 v1, v4, s26
	s_ashr_i32 s27, s13, 31
	s_lshr_b32 s2, s27, 26
	s_add_i32 s3, s15, -1
	s_add_i32 s2, s13, s2
	s_delay_alu instid0(SALU_CYCLE_1) | instskip(NEXT) | instid1(VALU_DEP_1)
	s_and_not1_b32 s2, s2, 63
	v_ashrrev_i32_e32 v2, 31, v1
	s_sub_i32 s28, s13, s2
	v_cmp_eq_u32_e64 s2, 0, v18
	s_cmp_eq_u32 s14, s3
	s_cselect_b32 s8, s28, 0
	v_lshlrev_b64 v[1:2], 2, v[1:2]
	s_delay_alu instid0(VALU_DEP_1) | instskip(NEXT) | instid1(VALU_DEP_2)
	v_add_co_u32 v8, vcc_lo, s6, v1
	v_add_co_ci_u32_e32 v9, vcc_lo, s7, v2, vcc_lo
	s_and_saveexec_b32 s3, s2
	s_cbranch_execz .LBB137_11
; %bb.8:
	v_cmp_gt_i32_e32 vcc_lo, s8, v5
	s_cmp_eq_u32 s8, 0
	v_mov_b32_e32 v0, 0
	s_cselect_b32 s6, -1, 0
	s_delay_alu instid0(SALU_CYCLE_1) | instskip(NEXT) | instid1(SALU_CYCLE_1)
	s_or_b32 s7, s6, vcc_lo
	s_and_saveexec_b32 s6, s7
	s_cbranch_execz .LBB137_10
; %bb.9:
	flat_load_b32 v0, v[8:9]
.LBB137_10:
	s_or_b32 exec_lo, exec_lo, s6
	v_lshlrev_b32_e32 v1, 2, v5
	s_waitcnt vmcnt(0) lgkmcnt(0)
	ds_store_b32 v1, v0 offset:4544
.LBB137_11:
	s_or_b32 exec_lo, exec_lo, s3
	s_load_b32 s10, s[0:1], 0x28
	v_lshl_add_u32 v14, v18, 6, v5
	v_and_b32_e32 v0, 31, v5
	s_ashr_i32 s17, s16, 31
	s_delay_alu instid0(SALU_CYCLE_1) | instskip(NEXT) | instid1(VALU_DEP_2)
	s_lshl_b64 s[0:1], s[16:17], 2
	v_lshrrev_b32_e32 v3, 5, v14
	s_add_u32 s3, s4, s0
	s_addc_u32 s4, s5, s1
	v_lshlrev_b32_e32 v15, 2, v0
	s_waitcnt lgkmcnt(0)
	v_mad_u64_u32 v[1:2], null, v3, s10, v[0:1]
	s_mul_i32 s0, s16, s10
	s_delay_alu instid0(SALU_CYCLE_1) | instskip(NEXT) | instid1(SALU_CYCLE_1)
	s_ashr_i32 s1, s0, 31
	s_lshl_b64 s[0:1], s[0:1], 2
	s_delay_alu instid0(SALU_CYCLE_1) | instskip(NEXT) | instid1(VALU_DEP_1)
	s_add_u32 s3, s0, s3
	v_ashrrev_i32_e32 v2, 31, v1
	s_addc_u32 s4, s1, s4
	s_cmp_eq_u32 s8, 0
	v_cmp_gt_i32_e64 s0, s8, v0
	s_cselect_b32 s29, -1, 0
	v_lshlrev_b64 v[6:7], 2, v[1:2]
	s_cmp_lg_u32 s8, 0
	s_cselect_b32 s7, -1, 0
	s_delay_alu instid0(SALU_CYCLE_1) | instskip(NEXT) | instid1(VALU_DEP_1)
	s_and_b32 vcc_lo, exec_lo, s7
	v_add_co_u32 v1, s1, s3, v6
	s_delay_alu instid0(VALU_DEP_1)
	v_add_co_ci_u32_e64 v2, s1, s4, v7, s1
	s_cbranch_vccz .LBB137_21
; %bb.12:
	s_delay_alu instid0(VALU_DEP_2) | instskip(SKIP_1) | instid1(VALU_DEP_2)
	v_sub_co_u32 v10, vcc_lo, v1, v15
	s_ashr_i32 s9, s8, 31
	v_subrev_co_ci_u32_e32 v11, vcc_lo, 0, v2, vcc_lo
	s_lshl_b64 s[4:5], s[8:9], 2
	v_dual_mov_b32 v16, 0 :: v_dual_mov_b32 v13, 0
	v_add_co_u32 v10, vcc_lo, v10, s4
	s_delay_alu instid0(VALU_DEP_3) | instskip(SKIP_1) | instid1(VALU_DEP_2)
	v_add_co_ci_u32_e32 v11, vcc_lo, s5, v11, vcc_lo
	s_mov_b32 s1, exec_lo
	v_add_co_u32 v10, vcc_lo, v10, -4
	s_delay_alu instid0(VALU_DEP_2) | instskip(NEXT) | instid1(VALU_DEP_2)
	v_add_co_ci_u32_e32 v11, vcc_lo, -1, v11, vcc_lo
	v_cndmask_b32_e64 v10, v10, v1, s0
	s_delay_alu instid0(VALU_DEP_2)
	v_cndmask_b32_e64 v11, v11, v2, s0
	v_cmpx_gt_i32_e64 s8, v3
	s_cbranch_execz .LBB137_14
; %bb.13:
	flat_load_b32 v13, v[10:11]
.LBB137_14:
	s_or_b32 exec_lo, exec_lo, s1
	v_mul_u32_u24_e32 v12, 33, v3
	v_add_nc_u32_e32 v17, 8, v3
	s_mov_b32 s1, exec_lo
	s_delay_alu instid0(VALU_DEP_2)
	v_add_lshl_u32 v12, v12, v0, 2
	s_waitcnt vmcnt(0) lgkmcnt(0)
	ds_store_b32 v12, v13
	v_cmpx_gt_i32_e64 s8, v17
	s_cbranch_execz .LBB137_16
; %bb.15:
	s_lshl_b32 s20, s10, 3
	s_delay_alu instid0(SALU_CYCLE_1) | instskip(NEXT) | instid1(SALU_CYCLE_1)
	s_ashr_i32 s21, s20, 31
	s_lshl_b64 s[20:21], s[20:21], 2
	s_delay_alu instid0(SALU_CYCLE_1)
	v_add_co_u32 v16, vcc_lo, v10, s20
	v_add_co_ci_u32_e32 v17, vcc_lo, s21, v11, vcc_lo
	flat_load_b32 v16, v[16:17]
.LBB137_16:
	s_or_b32 exec_lo, exec_lo, s1
	v_add_nc_u32_e32 v17, 16, v3
	v_mov_b32_e32 v13, 0
	s_waitcnt vmcnt(0) lgkmcnt(0)
	ds_store_b32 v12, v16 offset:1056
	v_cmp_gt_i32_e32 vcc_lo, s8, v17
	v_mov_b32_e32 v17, 0
	s_and_saveexec_b32 s1, vcc_lo
	s_cbranch_execz .LBB137_18
; %bb.17:
	s_lshl_b32 s20, s10, 4
	s_delay_alu instid0(SALU_CYCLE_1) | instskip(NEXT) | instid1(SALU_CYCLE_1)
	s_ashr_i32 s21, s20, 31
	s_lshl_b64 s[20:21], s[20:21], 2
	s_delay_alu instid0(SALU_CYCLE_1)
	v_add_co_u32 v16, vcc_lo, v10, s20
	v_add_co_ci_u32_e32 v17, vcc_lo, s21, v11, vcc_lo
	flat_load_b32 v17, v[16:17]
.LBB137_18:
	s_or_b32 exec_lo, exec_lo, s1
	v_add_nc_u32_e32 v16, 24, v3
	s_mov_b32 s1, exec_lo
	s_waitcnt vmcnt(0) lgkmcnt(0)
	ds_store_b32 v12, v17 offset:2112
	v_cmpx_gt_i32_e64 s8, v16
	s_cbranch_execz .LBB137_20
; %bb.19:
	s_mul_i32 s20, s10, 24
	s_delay_alu instid0(SALU_CYCLE_1) | instskip(NEXT) | instid1(SALU_CYCLE_1)
	s_ashr_i32 s21, s20, 31
	s_lshl_b64 s[20:21], s[20:21], 2
	s_delay_alu instid0(SALU_CYCLE_1)
	v_add_co_u32 v16, vcc_lo, v10, s20
	v_add_co_ci_u32_e32 v17, vcc_lo, s21, v11, vcc_lo
	flat_load_b32 v13, v[16:17]
.LBB137_20:
	s_or_b32 exec_lo, exec_lo, s1
	v_add_co_u32 v10, vcc_lo, v10, v15
	v_add_co_ci_u32_e32 v11, vcc_lo, 0, v11, vcc_lo
	s_waitcnt vmcnt(0) lgkmcnt(0)
	ds_store_b32 v12, v13 offset:3168
	v_sub_co_u32 v10, vcc_lo, v10, s4
	v_subrev_co_ci_u32_e32 v11, vcc_lo, s5, v11, vcc_lo
	s_delay_alu instid0(VALU_DEP_2) | instskip(NEXT) | instid1(VALU_DEP_2)
	v_add_co_u32 v10, vcc_lo, v10, 4
	v_add_co_ci_u32_e32 v11, vcc_lo, 0, v11, vcc_lo
	s_delay_alu instid0(VALU_DEP_2) | instskip(NEXT) | instid1(VALU_DEP_2)
	v_cndmask_b32_e64 v10, v10, v1, s0
	v_cndmask_b32_e64 v11, v11, v2, s0
	v_mul_u32_u24_e32 v20, 33, v3
	s_branch .LBB137_23
.LBB137_21:
                                        ; implicit-def: $vgpr10_vgpr11
	v_mul_u32_u24_e32 v20, 33, v3
	s_cbranch_execz .LBB137_23
; %bb.22:
	flat_load_b32 v12, v[1:2]
	s_lshl_b32 s0, s10, 3
	v_add_lshl_u32 v13, v20, v0, 2
	s_ashr_i32 s1, s0, 31
	s_ashr_i32 s11, s10, 31
	s_lshl_b64 s[0:1], s[0:1], 2
	s_delay_alu instid0(SALU_CYCLE_1)
	v_add_co_u32 v10, vcc_lo, v1, s0
	v_add_co_ci_u32_e32 v11, vcc_lo, s1, v2, vcc_lo
	s_lshl_b64 s[0:1], s[10:11], 5
	s_waitcnt vmcnt(0) lgkmcnt(0)
	ds_store_b32 v13, v12
	flat_load_b32 v12, v[10:11]
	v_add_co_u32 v10, vcc_lo, v10, s0
	v_add_co_ci_u32_e32 v11, vcc_lo, s1, v11, vcc_lo
	s_waitcnt vmcnt(0) lgkmcnt(0)
	ds_store_b32 v13, v12 offset:1056
	flat_load_b32 v12, v[10:11]
	v_add_co_u32 v10, vcc_lo, v10, s0
	v_add_co_ci_u32_e32 v11, vcc_lo, s1, v11, vcc_lo
	s_waitcnt vmcnt(0) lgkmcnt(0)
	ds_store_b32 v13, v12 offset:2112
	flat_load_b32 v12, v[10:11]
	v_dual_mov_b32 v11, v2 :: v_dual_mov_b32 v10, v1
	s_waitcnt vmcnt(0) lgkmcnt(0)
	ds_store_b32 v13, v12 offset:3168
.LBB137_23:
	v_lshlrev_b32_e32 v17, 2, v3
	v_mul_u32_u24_e32 v16, 33, v0
	v_mul_u32_u24_e32 v1, 0x84, v3
	s_waitcnt lgkmcnt(0)
	s_barrier
	v_cmp_gt_u32_e64 s1, v17, v0
	v_add_lshl_u32 v26, v17, v16, 2
	buffer_gl0_inv
	s_and_saveexec_b32 s0, s1
	s_cbranch_execz .LBB137_25
; %bb.24:
	v_add_lshl_u32 v2, v1, v0, 2
	ds_load_b32 v2, v2
	s_waitcnt lgkmcnt(0)
	ds_store_b32 v26, v2
.LBB137_25:
	s_or_b32 exec_lo, exec_lo, s0
	v_cmp_ge_u32_e64 s3, v17, v0
	s_delay_alu instid0(VALU_DEP_1)
	s_and_saveexec_b32 s0, s3
	s_cbranch_execz .LBB137_27
; %bb.26:
	v_or_b32_e32 v2, 1, v17
	s_delay_alu instid0(VALU_DEP_1) | instskip(NEXT) | instid1(VALU_DEP_1)
	v_mul_u32_u24_e32 v2, 33, v2
	v_add_lshl_u32 v2, v2, v0, 2
	ds_load_b32 v2, v2
	s_waitcnt lgkmcnt(0)
	ds_store_b32 v26, v2 offset:4
.LBB137_27:
	s_or_b32 exec_lo, exec_lo, s0
	v_or_b32_e32 v2, 2, v17
	s_delay_alu instid0(VALU_DEP_1) | instskip(NEXT) | instid1(VALU_DEP_1)
	v_cmp_gt_u32_e64 s4, v2, v0
	s_and_saveexec_b32 s0, s4
	s_cbranch_execz .LBB137_29
; %bb.28:
	v_mul_u32_u24_e32 v2, 33, v2
	s_delay_alu instid0(VALU_DEP_1)
	v_add_lshl_u32 v2, v2, v0, 2
	ds_load_b32 v2, v2
	s_waitcnt lgkmcnt(0)
	ds_store_b32 v26, v2 offset:8
.LBB137_29:
	s_or_b32 exec_lo, exec_lo, s0
	v_or_b32_e32 v2, 3, v17
	s_delay_alu instid0(VALU_DEP_1) | instskip(SKIP_1) | instid1(VALU_DEP_2)
	v_mad_u32_u24 v12, v2, 33, v0
	v_cmp_gt_u32_e64 s5, v2, v0
	v_lshlrev_b32_e32 v23, 2, v12
	s_delay_alu instid0(VALU_DEP_2)
	s_and_saveexec_b32 s0, s5
	s_cbranch_execz .LBB137_31
; %bb.30:
	ds_load_b32 v2, v23
	s_waitcnt lgkmcnt(0)
	ds_store_b32 v26, v2 offset:12
.LBB137_31:
	s_or_b32 exec_lo, exec_lo, s0
	v_add_lshl_u32 v24, v1, v0, 2
	v_lshlrev_b32_e32 v27, 2, v17
	v_add_nc_u32_e32 v25, 0xfffffef8, v23
	s_waitcnt lgkmcnt(0)
	s_barrier
	buffer_gl0_inv
	ds_load_b32 v12, v24
	ds_load_b128 v[28:31], v27 offset:4544
	ds_load_2addr_b32 v[1:2], v25 offset1:33
	ds_load_b32 v13, v23
	v_add_lshl_u32 v22, v3, v16, 2
	v_cmp_gt_u32_e64 s0, 32, v14
	v_lshlrev_b32_e32 v21, 2, v16
	s_waitcnt lgkmcnt(0)
	s_barrier
	buffer_gl0_inv
	v_fma_f32 v12, v12, v28, 0
	s_delay_alu instid0(VALU_DEP_1) | instskip(NEXT) | instid1(VALU_DEP_1)
	v_fmac_f32_e32 v12, v1, v29
	v_dual_fmac_f32 v12, v2, v30 :: v_dual_mov_b32 v19, 0
	s_delay_alu instid0(VALU_DEP_1)
	v_fmac_f32_e32 v12, v13, v31
	ds_store_b32 v22, v12
	s_waitcnt lgkmcnt(0)
	s_barrier
	buffer_gl0_inv
	s_and_saveexec_b32 s6, s0
	s_cbranch_execz .LBB137_33
; %bb.32:
	ds_load_2addr_b32 v[1:2], v21 offset1:1
	ds_load_2addr_b32 v[12:13], v21 offset0:2 offset1:3
	ds_load_2addr_b32 v[28:29], v21 offset0:4 offset1:5
	;; [unrolled: 1-line block ×3, first 2 shown]
	s_waitcnt lgkmcnt(3)
	v_add_f32_e32 v1, v1, v2
	s_waitcnt lgkmcnt(2)
	s_delay_alu instid0(VALU_DEP_1) | instskip(NEXT) | instid1(VALU_DEP_1)
	v_add_f32_e32 v1, v1, v12
	v_add_f32_e32 v1, v1, v13
	s_waitcnt lgkmcnt(1)
	s_delay_alu instid0(VALU_DEP_1) | instskip(NEXT) | instid1(VALU_DEP_1)
	v_add_f32_e32 v1, v1, v28
	;; [unrolled: 4-line block ×3, first 2 shown]
	v_add_f32_e32 v19, v1, v31
.LBB137_33:
	s_or_b32 exec_lo, exec_lo, s6
	s_lshl_b32 s22, s10, 5
	s_delay_alu instid0(SALU_CYCLE_1)
	s_ashr_i32 s23, s22, 31
	s_barrier
	s_lshl_b64 s[20:21], s[22:23], 2
	buffer_gl0_inv
	v_add_co_u32 v10, vcc_lo, v10, s20
	v_add_co_ci_u32_e32 v11, vcc_lo, s21, v11, vcc_lo
	s_delay_alu instid0(VALU_DEP_2) | instskip(NEXT) | instid1(VALU_DEP_2)
	v_add_co_u32 v1, vcc_lo, 0x80, v10
	v_add_co_ci_u32_e32 v2, vcc_lo, 0, v11, vcc_lo
	s_and_b32 vcc_lo, exec_lo, s7
	s_cbranch_vccz .LBB137_43
; %bb.34:
	v_or_b32_e32 v12, 32, v0
	s_ashr_i32 s9, s8, 31
	s_mov_b32 s11, exec_lo
	s_lshl_b64 s[24:25], s[8:9], 2
	s_sub_i32 s9, s8, 32
	v_dual_mov_b32 v30, 0 :: v_dual_lshlrev_b32 v13, 2, v12
	s_delay_alu instid0(VALU_DEP_1) | instskip(SKIP_1) | instid1(VALU_DEP_2)
	v_sub_co_u32 v13, vcc_lo, v1, v13
	v_subrev_co_ci_u32_e32 v28, vcc_lo, 0, v2, vcc_lo
	v_add_co_u32 v13, vcc_lo, v13, s24
	s_delay_alu instid0(VALU_DEP_2) | instskip(NEXT) | instid1(VALU_DEP_2)
	v_add_co_ci_u32_e32 v28, vcc_lo, s25, v28, vcc_lo
	v_add_co_u32 v29, vcc_lo, v13, -4
	s_delay_alu instid0(VALU_DEP_2) | instskip(SKIP_1) | instid1(VALU_DEP_2)
	v_add_co_ci_u32_e32 v13, vcc_lo, -1, v28, vcc_lo
	v_cmp_gt_i32_e32 vcc_lo, s8, v12
	v_cndmask_b32_e32 v13, v13, v2, vcc_lo
	s_delay_alu instid0(VALU_DEP_4)
	v_dual_cndmask_b32 v12, v29, v1 :: v_dual_mov_b32 v29, 0
	v_cmpx_gt_i32_e64 s9, v3
	s_cbranch_execz .LBB137_36
; %bb.35:
	flat_load_b32 v29, v[12:13]
.LBB137_36:
	s_or_b32 exec_lo, exec_lo, s11
	v_add_nc_u32_e32 v31, 8, v3
	v_add_lshl_u32 v28, v20, v0, 2
	s_mov_b32 s11, exec_lo
	s_waitcnt vmcnt(0) lgkmcnt(0)
	ds_store_b32 v28, v29
	v_cmpx_gt_i32_e64 s9, v31
	s_cbranch_execz .LBB137_38
; %bb.37:
	s_lshl_b32 s30, s10, 3
	s_delay_alu instid0(SALU_CYCLE_1) | instskip(NEXT) | instid1(SALU_CYCLE_1)
	s_ashr_i32 s31, s30, 31
	s_lshl_b64 s[30:31], s[30:31], 2
	s_delay_alu instid0(SALU_CYCLE_1) | instskip(NEXT) | instid1(VALU_DEP_1)
	v_add_co_u32 v29, s6, v12, s30
	v_add_co_ci_u32_e64 v30, s6, s31, v13, s6
	flat_load_b32 v30, v[29:30]
.LBB137_38:
	s_or_b32 exec_lo, exec_lo, s11
	v_add_nc_u32_e32 v31, 16, v3
	v_mov_b32_e32 v29, 0
	s_waitcnt vmcnt(0) lgkmcnt(0)
	ds_store_b32 v28, v30 offset:1056
	v_cmp_gt_i32_e64 s6, s9, v31
	v_mov_b32_e32 v31, 0
	s_delay_alu instid0(VALU_DEP_2)
	s_and_saveexec_b32 s11, s6
	s_cbranch_execz .LBB137_40
; %bb.39:
	s_lshl_b32 s30, s10, 4
	s_delay_alu instid0(SALU_CYCLE_1) | instskip(NEXT) | instid1(SALU_CYCLE_1)
	s_ashr_i32 s31, s30, 31
	s_lshl_b64 s[30:31], s[30:31], 2
	s_delay_alu instid0(SALU_CYCLE_1) | instskip(NEXT) | instid1(VALU_DEP_1)
	v_add_co_u32 v30, s6, v12, s30
	v_add_co_ci_u32_e64 v31, s6, s31, v13, s6
	flat_load_b32 v31, v[30:31]
.LBB137_40:
	s_or_b32 exec_lo, exec_lo, s11
	v_add_nc_u32_e32 v30, 24, v3
	s_waitcnt vmcnt(0) lgkmcnt(0)
	ds_store_b32 v28, v31 offset:2112
	v_cmp_gt_i32_e64 s6, s9, v30
	s_delay_alu instid0(VALU_DEP_1)
	s_and_saveexec_b32 s9, s6
	s_cbranch_execz .LBB137_42
; %bb.41:
	s_mul_i32 s30, s10, 24
	s_delay_alu instid0(SALU_CYCLE_1) | instskip(NEXT) | instid1(SALU_CYCLE_1)
	s_ashr_i32 s31, s30, 31
	s_lshl_b64 s[30:31], s[30:31], 2
	s_delay_alu instid0(SALU_CYCLE_1) | instskip(NEXT) | instid1(VALU_DEP_1)
	v_add_co_u32 v29, s6, v12, s30
	v_add_co_ci_u32_e64 v30, s6, s31, v13, s6
	flat_load_b32 v29, v[29:30]
.LBB137_42:
	s_or_b32 exec_lo, exec_lo, s9
	v_add_co_u32 v12, s6, v12, v15
	s_delay_alu instid0(VALU_DEP_1) | instskip(SKIP_3) | instid1(VALU_DEP_1)
	v_add_co_ci_u32_e64 v13, s6, 0, v13, s6
	s_waitcnt vmcnt(0) lgkmcnt(0)
	ds_store_b32 v28, v29 offset:3168
	v_sub_co_u32 v12, s6, v12, s24
	v_subrev_co_ci_u32_e64 v13, s6, s25, v13, s6
	s_delay_alu instid0(VALU_DEP_2) | instskip(NEXT) | instid1(VALU_DEP_1)
	v_add_co_u32 v12, s6, 0x84, v12
	v_add_co_ci_u32_e64 v13, s6, 0, v13, s6
	s_delay_alu instid0(VALU_DEP_1)
	v_dual_cndmask_b32 v12, v12, v1 :: v_dual_cndmask_b32 v13, v13, v2
	s_branch .LBB137_45
.LBB137_43:
                                        ; implicit-def: $vgpr12_vgpr13
	s_cbranch_execz .LBB137_45
; %bb.44:
	flat_load_b32 v12, v[10:11] offset:128
	s_lshl_b32 s24, s10, 3
	v_add_lshl_u32 v28, v20, v0, 2
	s_ashr_i32 s25, s24, 31
	s_ashr_i32 s11, s10, 31
	s_lshl_b64 s[24:25], s[24:25], 2
	s_delay_alu instid0(SALU_CYCLE_1)
	v_add_co_u32 v10, vcc_lo, v10, s24
	v_add_co_ci_u32_e32 v11, vcc_lo, s25, v11, vcc_lo
	s_lshl_b64 s[24:25], s[10:11], 5
	s_waitcnt vmcnt(0) lgkmcnt(0)
	ds_store_b32 v28, v12
	flat_load_b32 v12, v[10:11] offset:128
	v_add_co_u32 v10, vcc_lo, v10, s24
	v_add_co_ci_u32_e32 v11, vcc_lo, s25, v11, vcc_lo
	s_waitcnt vmcnt(0) lgkmcnt(0)
	ds_store_b32 v28, v12 offset:1056
	flat_load_b32 v12, v[10:11] offset:128
	v_add_co_u32 v10, vcc_lo, v10, s24
	v_add_co_ci_u32_e32 v11, vcc_lo, s25, v11, vcc_lo
	s_waitcnt vmcnt(0) lgkmcnt(0)
	ds_store_b32 v28, v12 offset:2112
	flat_load_b32 v10, v[10:11] offset:128
	v_dual_mov_b32 v13, v2 :: v_dual_mov_b32 v12, v1
	s_waitcnt vmcnt(0) lgkmcnt(0)
	ds_store_b32 v28, v10 offset:3168
.LBB137_45:
	s_waitcnt lgkmcnt(0)
	s_barrier
	buffer_gl0_inv
	s_and_saveexec_b32 s6, s1
	s_cbranch_execnz .LBB137_62
; %bb.46:
	s_or_b32 exec_lo, exec_lo, s6
	s_and_saveexec_b32 s1, s3
	s_cbranch_execnz .LBB137_63
.LBB137_47:
	s_or_b32 exec_lo, exec_lo, s1
	s_and_saveexec_b32 s1, s4
	s_cbranch_execnz .LBB137_64
.LBB137_48:
	s_or_b32 exec_lo, exec_lo, s1
	v_add_nc_u32_e32 v27, 0x11c0, v27
	s_and_saveexec_b32 s1, s5
	s_cbranch_execz .LBB137_50
.LBB137_49:
	ds_load_b32 v1, v23
	s_waitcnt lgkmcnt(0)
	ds_store_b32 v26, v1 offset:12
.LBB137_50:
	s_or_b32 exec_lo, exec_lo, s1
	s_waitcnt lgkmcnt(0)
	s_barrier
	buffer_gl0_inv
	ds_load_b32 v10, v24
	ds_load_b128 v[28:31], v27 offset:128
	ds_load_2addr_b32 v[1:2], v25 offset1:33
	ds_load_b32 v11, v23
	v_cmp_eq_u32_e64 s1, 1, v3
	s_waitcnt lgkmcnt(0)
	s_barrier
	buffer_gl0_inv
	v_fma_f32 v10, v10, v28, 0
	s_delay_alu instid0(VALU_DEP_1) | instskip(NEXT) | instid1(VALU_DEP_1)
	v_fmac_f32_e32 v10, v1, v29
	v_fmac_f32_e32 v10, v2, v30
	s_delay_alu instid0(VALU_DEP_1)
	v_fmac_f32_e32 v10, v11, v31
	ds_store_b32 v22, v10
	s_waitcnt lgkmcnt(0)
	s_barrier
	buffer_gl0_inv
	s_and_saveexec_b32 s3, s1
	s_cbranch_execz .LBB137_52
; %bb.51:
	ds_load_2addr_b32 v[1:2], v21 offset1:1
	ds_load_2addr_b32 v[10:11], v21 offset0:2 offset1:3
	ds_load_2addr_b32 v[28:29], v21 offset0:4 offset1:5
	;; [unrolled: 1-line block ×3, first 2 shown]
	s_waitcnt lgkmcnt(3)
	v_add_f32_e32 v1, v1, v2
	s_waitcnt lgkmcnt(2)
	s_delay_alu instid0(VALU_DEP_1) | instskip(NEXT) | instid1(VALU_DEP_1)
	v_add_f32_e32 v1, v1, v10
	v_add_f32_e32 v1, v1, v11
	s_waitcnt lgkmcnt(1)
	s_delay_alu instid0(VALU_DEP_1) | instskip(NEXT) | instid1(VALU_DEP_1)
	v_add_f32_e32 v1, v1, v28
	;; [unrolled: 4-line block ×3, first 2 shown]
	v_add_f32_e32 v19, v1, v31
.LBB137_52:
	s_or_b32 exec_lo, exec_lo, s3
	v_add_co_u32 v1, vcc_lo, 0xffffff80, v12
	v_add_co_ci_u32_e32 v2, vcc_lo, -1, v13, vcc_lo
	s_and_b32 vcc_lo, exec_lo, s7
	s_barrier
	buffer_gl0_inv
	s_cbranch_vccz .LBB137_65
; %bb.53:
	v_sub_co_u32 v10, vcc_lo, v1, v15
	s_ashr_i32 s9, s8, 31
	v_subrev_co_ci_u32_e32 v11, vcc_lo, 0, v2, vcc_lo
	s_lshl_b64 s[4:5], s[8:9], 2
	v_dual_mov_b32 v26, 0 :: v_dual_mov_b32 v13, 0
	v_add_co_u32 v10, vcc_lo, v10, s4
	s_delay_alu instid0(VALU_DEP_3) | instskip(SKIP_1) | instid1(VALU_DEP_2)
	v_add_co_ci_u32_e32 v11, vcc_lo, s5, v11, vcc_lo
	s_sub_i32 s6, s8, 32
	v_add_co_u32 v10, vcc_lo, v10, -4
	s_delay_alu instid0(VALU_DEP_2) | instskip(SKIP_2) | instid1(VALU_DEP_2)
	v_add_co_ci_u32_e32 v11, vcc_lo, -1, v11, vcc_lo
	v_cmp_gt_i32_e32 vcc_lo, s8, v0
	s_mov_b32 s7, exec_lo
	v_dual_cndmask_b32 v11, v11, v2 :: v_dual_cndmask_b32 v10, v10, v1
	v_cmpx_gt_i32_e64 s6, v3
	s_cbranch_execz .LBB137_55
; %bb.54:
	flat_load_b32 v13, v[10:11]
.LBB137_55:
	s_or_b32 exec_lo, exec_lo, s7
	v_add_nc_u32_e32 v12, 8, v3
	v_add_lshl_u32 v28, v20, v0, 2
	s_mov_b32 s7, exec_lo
	s_waitcnt vmcnt(0) lgkmcnt(0)
	ds_store_b32 v28, v13
	v_cmpx_gt_i32_e64 s6, v12
	s_cbranch_execz .LBB137_57
; %bb.56:
	s_lshl_b32 s24, s10, 3
	s_delay_alu instid0(SALU_CYCLE_1) | instskip(NEXT) | instid1(SALU_CYCLE_1)
	s_ashr_i32 s25, s24, 31
	s_lshl_b64 s[24:25], s[24:25], 2
	s_delay_alu instid0(SALU_CYCLE_1) | instskip(NEXT) | instid1(VALU_DEP_1)
	v_add_co_u32 v29, s3, v10, s24
	v_add_co_ci_u32_e64 v30, s3, s25, v11, s3
	flat_load_b32 v26, v[29:30]
.LBB137_57:
	s_or_b32 exec_lo, exec_lo, s7
	v_dual_mov_b32 v30, 0 :: v_dual_add_nc_u32 v13, 16, v3
	v_mov_b32_e32 v29, 0
	s_mov_b32 s7, exec_lo
	s_waitcnt vmcnt(0) lgkmcnt(0)
	ds_store_b32 v28, v26 offset:1056
	v_cmpx_gt_i32_e64 s6, v13
	s_cbranch_execz .LBB137_59
; %bb.58:
	s_lshl_b32 s24, s10, 4
	s_delay_alu instid0(SALU_CYCLE_1) | instskip(NEXT) | instid1(SALU_CYCLE_1)
	s_ashr_i32 s25, s24, 31
	s_lshl_b64 s[24:25], s[24:25], 2
	s_delay_alu instid0(SALU_CYCLE_1) | instskip(NEXT) | instid1(VALU_DEP_1)
	v_add_co_u32 v30, s3, v10, s24
	v_add_co_ci_u32_e64 v31, s3, s25, v11, s3
	flat_load_b32 v30, v[30:31]
.LBB137_59:
	s_or_b32 exec_lo, exec_lo, s7
	v_add_nc_u32_e32 v26, 24, v3
	s_waitcnt vmcnt(0) lgkmcnt(0)
	ds_store_b32 v28, v30 offset:2112
	v_cmp_gt_i32_e64 s3, s6, v26
	s_delay_alu instid0(VALU_DEP_1)
	s_and_saveexec_b32 s6, s3
	s_cbranch_execz .LBB137_61
; %bb.60:
	s_mul_i32 s24, s10, 24
	s_delay_alu instid0(SALU_CYCLE_1) | instskip(NEXT) | instid1(SALU_CYCLE_1)
	s_ashr_i32 s25, s24, 31
	s_lshl_b64 s[24:25], s[24:25], 2
	s_delay_alu instid0(SALU_CYCLE_1) | instskip(NEXT) | instid1(VALU_DEP_1)
	v_add_co_u32 v29, s3, v10, s24
	v_add_co_ci_u32_e64 v30, s3, s25, v11, s3
	flat_load_b32 v29, v[29:30]
.LBB137_61:
	s_or_b32 exec_lo, exec_lo, s6
	v_add_co_u32 v10, s3, v10, v15
	s_delay_alu instid0(VALU_DEP_1) | instskip(SKIP_3) | instid1(VALU_DEP_1)
	v_add_co_ci_u32_e64 v11, s3, 0, v11, s3
	s_waitcnt vmcnt(0) lgkmcnt(0)
	ds_store_b32 v28, v29 offset:3168
	v_sub_co_u32 v10, s3, v10, s4
	v_subrev_co_ci_u32_e64 v11, s3, s5, v11, s3
	s_delay_alu instid0(VALU_DEP_2) | instskip(NEXT) | instid1(VALU_DEP_1)
	v_add_co_u32 v10, s3, v10, 4
	v_add_co_ci_u32_e64 v11, s3, 0, v11, s3
	s_delay_alu instid0(VALU_DEP_1)
	v_dual_cndmask_b32 v10, v10, v1 :: v_dual_cndmask_b32 v11, v11, v2
	s_branch .LBB137_67
.LBB137_62:
	ds_load_b32 v1, v24
	s_waitcnt lgkmcnt(0)
	ds_store_b32 v26, v1
	s_or_b32 exec_lo, exec_lo, s6
	s_and_saveexec_b32 s1, s3
	s_cbranch_execz .LBB137_47
.LBB137_63:
	ds_load_b32 v1, v25
	s_waitcnt lgkmcnt(0)
	ds_store_b32 v26, v1 offset:4
	s_or_b32 exec_lo, exec_lo, s1
	s_and_saveexec_b32 s1, s4
	s_cbranch_execz .LBB137_48
.LBB137_64:
	ds_load_b32 v1, v25 offset:132
	s_waitcnt lgkmcnt(0)
	ds_store_b32 v26, v1 offset:8
	s_or_b32 exec_lo, exec_lo, s1
	v_add_nc_u32_e32 v27, 0x11c0, v27
	s_and_saveexec_b32 s1, s5
	s_cbranch_execnz .LBB137_49
	s_branch .LBB137_50
.LBB137_65:
                                        ; implicit-def: $vgpr10_vgpr11
                                        ; implicit-def: $vgpr12
                                        ; implicit-def: $vgpr13
                                        ; implicit-def: $vgpr26
	s_cbranch_execz .LBB137_67
; %bb.66:
	flat_load_b32 v12, v[1:2]
	s_lshl_b32 s4, s10, 3
	v_add_lshl_u32 v0, v20, v0, 2
	s_ashr_i32 s5, s4, 31
	s_ashr_i32 s11, s10, 31
	s_lshl_b64 s[4:5], s[4:5], 2
	v_add_nc_u32_e32 v13, 16, v3
	v_add_co_u32 v10, vcc_lo, v1, s4
	v_add_co_ci_u32_e32 v11, vcc_lo, s5, v2, vcc_lo
	s_lshl_b64 s[4:5], s[10:11], 5
	v_add_nc_u32_e32 v26, 24, v3
	s_waitcnt vmcnt(0) lgkmcnt(0)
	ds_store_b32 v0, v12
	flat_load_b32 v12, v[10:11]
	v_add_co_u32 v10, vcc_lo, v10, s4
	v_add_co_ci_u32_e32 v11, vcc_lo, s5, v11, vcc_lo
	s_waitcnt vmcnt(0) lgkmcnt(0)
	ds_store_b32 v0, v12 offset:1056
	flat_load_b32 v12, v[10:11]
	v_add_co_u32 v10, vcc_lo, v10, s4
	v_add_co_ci_u32_e32 v11, vcc_lo, s5, v11, vcc_lo
	s_waitcnt vmcnt(0) lgkmcnt(0)
	ds_store_b32 v0, v12 offset:2112
	flat_load_b32 v15, v[10:11]
	v_dual_mov_b32 v11, v2 :: v_dual_add_nc_u32 v12, 8, v3
	v_mov_b32_e32 v10, v1
	s_waitcnt vmcnt(0) lgkmcnt(0)
	ds_store_b32 v0, v15 offset:3168
.LBB137_67:
	s_waitcnt lgkmcnt(0)
	s_barrier
	buffer_gl0_inv
	ds_load_b32 v20, v22
	ds_load_b32 v17, v17 offset:4544
	v_add_lshl_u32 v0, v12, v16, 2
	v_lshlrev_b32_e32 v1, 2, v12
	ds_load_b32 v28, v0
	ds_load_b32 v29, v1 offset:4544
	v_add_lshl_u32 v2, v13, v16, 2
	v_lshlrev_b32_e32 v3, 2, v13
	v_add_lshl_u32 v0, v26, v16, 2
	v_lshlrev_b32_e32 v1, 2, v26
	ds_load_b32 v26, v2
	ds_load_b32 v30, v3 offset:4544
	ds_load_b32 v31, v0
	ds_load_b32 v32, v1 offset:4544
	ds_load_b32 v15, v24
	ds_load_b128 v[0:3], v27 offset:128
	ds_load_2addr_b32 v[12:13], v25 offset1:33
	ds_load_b32 v16, v23
	s_waitcnt lgkmcnt(0)
	s_barrier
	buffer_gl0_inv
	v_fma_f32 v17, v20, v17, 0
	s_delay_alu instid0(VALU_DEP_1) | instskip(NEXT) | instid1(VALU_DEP_1)
	v_fmac_f32_e32 v17, v28, v29
	v_fmac_f32_e32 v17, v26, v30
	s_delay_alu instid0(VALU_DEP_1)
	v_fmac_f32_e32 v17, v31, v32
	ds_store_b32 v22, v17
	s_waitcnt lgkmcnt(0)
	s_barrier
	buffer_gl0_inv
	s_and_saveexec_b32 s3, s1
	s_cbranch_execz .LBB137_69
; %bb.68:
	ds_load_2addr_b32 v[23:24], v21 offset1:1
	ds_load_2addr_b32 v[25:26], v21 offset0:2 offset1:3
	ds_load_2addr_b32 v[27:28], v21 offset0:4 offset1:5
	;; [unrolled: 1-line block ×3, first 2 shown]
	s_waitcnt lgkmcnt(3)
	v_add_f32_e32 v17, v19, v23
	s_delay_alu instid0(VALU_DEP_1) | instskip(SKIP_1) | instid1(VALU_DEP_1)
	v_add_f32_e32 v17, v17, v24
	s_waitcnt lgkmcnt(2)
	v_add_f32_e32 v17, v17, v25
	s_delay_alu instid0(VALU_DEP_1) | instskip(SKIP_1) | instid1(VALU_DEP_1)
	v_add_f32_e32 v17, v17, v26
	;; [unrolled: 4-line block ×3, first 2 shown]
	s_waitcnt lgkmcnt(0)
	v_add_f32_e32 v17, v17, v29
	s_delay_alu instid0(VALU_DEP_1)
	v_add_f32_e32 v19, v17, v30
.LBB137_69:
	s_or_b32 exec_lo, exec_lo, s3
	v_fma_f32 v0, v15, v0, 0
	s_barrier
	buffer_gl0_inv
	v_fmac_f32_e32 v0, v12, v1
	s_delay_alu instid0(VALU_DEP_1) | instskip(NEXT) | instid1(VALU_DEP_1)
	v_fmac_f32_e32 v0, v13, v2
	v_fmac_f32_e32 v0, v16, v3
	ds_store_b32 v22, v0
	s_waitcnt lgkmcnt(0)
	s_barrier
	buffer_gl0_inv
	s_and_saveexec_b32 s1, s0
	s_cbranch_execz .LBB137_71
; %bb.70:
	ds_load_2addr_b32 v[0:1], v21 offset1:1
	ds_load_2addr_b32 v[2:3], v21 offset0:2 offset1:3
	ds_load_2addr_b32 v[12:13], v21 offset0:4 offset1:5
	;; [unrolled: 1-line block ×3, first 2 shown]
	s_waitcnt lgkmcnt(3)
	v_add_f32_e32 v0, v19, v0
	s_delay_alu instid0(VALU_DEP_1) | instskip(SKIP_1) | instid1(VALU_DEP_1)
	v_add_f32_e32 v0, v0, v1
	s_waitcnt lgkmcnt(2)
	v_add_f32_e32 v0, v0, v2
	s_delay_alu instid0(VALU_DEP_1) | instskip(SKIP_1) | instid1(VALU_DEP_1)
	v_add_f32_e32 v0, v0, v3
	;; [unrolled: 4-line block ×3, first 2 shown]
	s_waitcnt lgkmcnt(0)
	v_add_f32_e32 v0, v0, v15
	s_delay_alu instid0(VALU_DEP_1)
	v_add_f32_e32 v19, v0, v16
.LBB137_71:
	s_or_b32 exec_lo, exec_lo, s1
	s_mul_hi_u32 s0, s13, s12
	s_mul_i32 s27, s27, s12
	s_mul_i32 s1, s13, s12
	s_add_i32 s0, s0, s27
	s_mul_hi_u32 s4, s1, s15
	s_mul_i32 s3, s0, s15
	s_mul_i32 s0, s1, s15
	s_add_i32 s1, s4, s3
	s_mul_hi_i32 s5, s13, s14
	s_lshl_b64 s[0:1], s[0:1], 2
	s_mul_i32 s4, s13, s14
	s_add_u32 s3, s18, s0
	s_addc_u32 s6, s19, s1
	s_lshl_b64 s[0:1], s[4:5], 2
	v_lshlrev_b32_e32 v3, 2, v5
	s_add_u32 s3, s3, s0
	s_addc_u32 s9, s6, s1
	s_add_i32 s1, s14, 1
	s_delay_alu instid0(SALU_CYCLE_1)
	s_cmp_ge_u32 s1, s15
	s_barrier
	buffer_gl0_inv
	s_cbranch_scc1 .LBB137_128
; %bb.72:
	s_mul_i32 s4, s16, s26
	v_lshlrev_b32_e32 v20, 2, v18
	s_ashr_i32 s5, s4, 31
	s_lshl_b32 s31, s26, 6
	s_lshl_b64 s[4:5], s[4:5], 2
	s_ashr_i32 s11, s10, 31
	v_mad_u64_u32 v[1:2], null, v20, s10, v[5:6]
	v_sub_co_u32 v21, vcc_lo, v8, s4
	v_subrev_co_ci_u32_e32 v22, vcc_lo, s5, v9, vcc_lo
	v_and_b32_e32 v9, 48, v5
	v_add_co_u32 v23, vcc_lo, v10, s20
	s_mul_i32 s26, s26, s1
	s_lshl_b32 s12, s10, 4
	s_lshl_b32 s18, s10, 1
	s_mul_i32 s24, s10, 3
	v_add_co_ci_u32_e32 v24, vcc_lo, s21, v11, vcc_lo
	s_lshl_b32 s4, s26, 6
	s_lshl_b64 s[26:27], s[10:11], 3
	v_and_b32_e32 v0, 15, v5
	v_lshrrev_b32_e32 v8, 4, v14
	v_ashrrev_i32_e32 v2, 31, v1
	s_add_i32 s30, s15, -2
	v_lshlrev_b32_e32 v12, 2, v9
	v_or_b32_e32 v13, 60, v3
	v_and_b32_e32 v15, 0x1fff0, v14
	s_ashr_i32 s13, s12, 31
	s_ashr_i32 s19, s18, 31
	;; [unrolled: 1-line block ×3, first 2 shown]
	v_add_nc_u32_e32 v9, s16, v9
	s_lshl_b64 s[16:17], s[10:11], 2
	v_sub_co_u32 v47, vcc_lo, 0, v6
	s_add_u32 s1, s26, s20
	v_sub_co_ci_u32_e32 v48, vcc_lo, 0, v7, vcc_lo
	s_addc_u32 s5, s27, s21
	v_add_co_u32 v49, vcc_lo, v10, s1
	v_cmp_gt_u32_e64 s0, 64, v14
	v_mad_u32_u24 v27, 0x10c, v0, v12
	v_mad_u32_u24 v28, 0x10c, v0, v13
	;; [unrolled: 1-line block ×3, first 2 shown]
	v_mul_i32_i24_e32 v14, -12, v8
	v_add3_u32 v0, v9, v0, 64
	v_lshlrev_b64 v[8:9], 2, v[1:2]
	v_add_co_ci_u32_e32 v50, vcc_lo, s5, v11, vcc_lo
	v_add_co_u32 v12, vcc_lo, s22, v1
	v_add_co_ci_u32_e32 v13, vcc_lo, s23, v2, vcc_lo
	s_delay_alu instid0(VALU_DEP_4) | instskip(SKIP_1) | instid1(VALU_DEP_3)
	v_sub_co_u32 v51, vcc_lo, v8, v6
	v_sub_co_ci_u32_e32 v52, vcc_lo, v9, v7, vcc_lo
	v_lshlrev_b64 v[6:7], 2, v[12:13]
	s_lshl_b64 s[6:7], s[12:13], 4
	s_mul_i32 s36, s10, 12
	s_add_u32 s37, s16, s20
	s_addc_u32 s38, s17, s21
	s_lshl_b64 s[18:19], s[18:19], 2
	s_mul_hi_i32 s33, s10, 12
	v_add_co_u32 v8, vcc_lo, s36, v6
	s_add_u32 s39, s20, s18
	v_add_co_ci_u32_e32 v9, vcc_lo, s33, v7, vcc_lo
	s_addc_u32 s40, s21, s19
	s_lshl_b64 s[24:25], s[24:25], 2
	v_add_co_u32 v53, vcc_lo, v10, v8
	s_add_u32 s41, s20, s24
	s_addc_u32 s42, s21, s25
	s_lshl_b64 s[34:35], s[12:13], 2
	v_add_co_ci_u32_e32 v54, vcc_lo, v11, v9, vcc_lo
	s_add_u32 s43, s1, s34
	v_add_co_u32 v55, vcc_lo, v10, s37
	s_addc_u32 s44, s5, s35
	s_add_u32 s22, s22, s12
	v_add_co_ci_u32_e32 v56, vcc_lo, s38, v11, vcc_lo
	s_addc_u32 s23, s23, s13
	v_add_co_u32 v1, vcc_lo, s22, v1
	v_add_co_ci_u32_e32 v2, vcc_lo, s23, v2, vcc_lo
	v_add_co_u32 v57, vcc_lo, v10, s39
	v_add_co_ci_u32_e32 v58, vcc_lo, s40, v11, vcc_lo
	s_delay_alu instid0(VALU_DEP_3) | instskip(SKIP_3) | instid1(VALU_DEP_3)
	v_lshlrev_b64 v[1:2], 2, v[1:2]
	v_add_co_u32 v59, vcc_lo, v10, s41
	v_add_co_ci_u32_e32 v60, vcc_lo, s42, v11, vcc_lo
	s_add_u32 s22, s37, s34
	v_add_co_u32 v1, vcc_lo, s36, v1
	s_delay_alu instid0(VALU_DEP_4) | instskip(SKIP_2) | instid1(VALU_DEP_4)
	v_add_co_ci_u32_e32 v2, vcc_lo, s33, v2, vcc_lo
	v_add_co_u32 v61, vcc_lo, v10, s43
	v_add_co_ci_u32_e32 v62, vcc_lo, s44, v11, vcc_lo
	v_add_co_u32 v63, vcc_lo, v10, v1
	s_delay_alu instid0(VALU_DEP_4)
	v_add_co_ci_u32_e32 v64, vcc_lo, v11, v2, vcc_lo
	s_addc_u32 s23, s38, s35
	v_add_co_u32 v65, vcc_lo, v10, s22
	s_add_u32 s22, s20, s34
	v_add_co_ci_u32_e32 v66, vcc_lo, s23, v11, vcc_lo
	s_addc_u32 s23, s21, s35
	v_add_co_u32 v67, vcc_lo, v10, s22
	s_add_u32 s34, s22, s18
	;; [unrolled: 4-line block ×3, first 2 shown]
	v_add_co_ci_u32_e32 v70, vcc_lo, s35, v11, vcc_lo
	s_addc_u32 s35, s23, s25
	s_lshl_b64 s[22:23], s[12:13], 3
	v_add_co_u32 v71, vcc_lo, v10, s34
	s_add_u32 s1, s1, s22
	s_addc_u32 s5, s5, s23
	s_add_u32 s34, s36, s22
	v_add_co_ci_u32_e32 v72, vcc_lo, s35, v11, vcc_lo
	s_addc_u32 s33, s33, s23
	v_add_co_u32 v1, vcc_lo, s34, v6
	v_add_co_ci_u32_e32 v2, vcc_lo, s33, v7, vcc_lo
	v_add_co_u32 v73, vcc_lo, v10, s1
	v_add_co_ci_u32_e32 v74, vcc_lo, s5, v11, vcc_lo
	s_add_u32 s1, s22, s20
	v_add_co_u32 v75, vcc_lo, v10, v1
	s_addc_u32 s5, s23, s21
	s_add_u32 s20, s1, s16
	v_add_co_ci_u32_e32 v76, vcc_lo, v11, v2, vcc_lo
	s_addc_u32 s21, s5, s17
	v_add_co_u32 v77, vcc_lo, v10, s20
	s_add_u32 s20, s1, s18
	v_add_co_ci_u32_e32 v78, vcc_lo, s21, v11, vcc_lo
	s_addc_u32 s21, s5, s19
	s_add_u32 s22, s1, s24
	s_mul_i32 s33, s10, 0xc0
	s_addc_u32 s23, s5, s25
	s_mul_hi_i32 s34, s12, 12
	s_add_u32 s26, s33, s26
	s_addc_u32 s27, s34, s27
	s_add_u32 s10, s10, s12
	v_add_co_u32 v79, vcc_lo, v10, s1
	v_mad_u64_u32 v[1:2], null, s10, 12, v[6:7]
	v_add_co_ci_u32_e32 v80, vcc_lo, s5, v11, vcc_lo
	v_add_co_u32 v81, vcc_lo, v10, s20
	v_add_co_ci_u32_e32 v82, vcc_lo, s21, v11, vcc_lo
	s_addc_u32 s1, s11, s13
	v_add_co_u32 v15, vcc_lo, s26, v6
	v_mad_u64_u32 v[8:9], null, s1, 12, v[2:3]
	v_mad_i64_i32 v[12:13], null, s12, 12, v[6:7]
	v_add_co_ci_u32_e32 v16, vcc_lo, s27, v7, vcc_lo
	v_add_co_u32 v83, vcc_lo, v10, s22
	s_delay_alu instid0(VALU_DEP_4)
	v_mov_b32_e32 v2, v8
	v_add_co_ci_u32_e32 v84, vcc_lo, s23, v11, vcc_lo
	v_add_co_u32 v85, vcc_lo, v10, v15
	v_add_co_ci_u32_e32 v86, vcc_lo, v11, v16, vcc_lo
	v_add_co_u32 v6, vcc_lo, v12, s16
	;; [unrolled: 2-line block ×3, first 2 shown]
	v_add_co_ci_u32_e32 v88, vcc_lo, v11, v2, vcc_lo
	s_delay_alu instid0(VALU_DEP_4) | instskip(NEXT) | instid1(VALU_DEP_4)
	v_add_co_u32 v89, vcc_lo, v10, v6
	v_add_co_ci_u32_e32 v90, vcc_lo, v11, v7, vcc_lo
	v_add_co_u32 v91, vcc_lo, v10, v12
	v_add_co_ci_u32_e32 v92, vcc_lo, v11, v13, vcc_lo
	;; [unrolled: 2-line block ×4, first 2 shown]
	s_delay_alu instid0(VALU_DEP_4) | instskip(NEXT) | instid1(VALU_DEP_4)
	v_add_co_u32 v93, vcc_lo, v10, v1
	v_add_co_ci_u32_e32 v94, vcc_lo, v11, v2, vcc_lo
	s_delay_alu instid0(VALU_DEP_4)
	v_add_co_u32 v95, vcc_lo, v10, v6
	v_add_nc_u32_e32 v25, 0x10c0, v3
	v_add_nc_u32_e32 v26, 0x11c0, v3
	v_or_b32_e32 v30, 1, v20
	v_or_b32_e32 v31, 2, v20
	;; [unrolled: 1-line block ×3, first 2 shown]
	v_lshl_add_u32 v33, v18, 4, 0x10c0
	v_mad_u32_u24 v34, 0x430, v18, v3
	v_add_nc_u32_e32 v35, 16, v20
	v_add_nc_u32_e32 v36, 17, v20
	;; [unrolled: 1-line block ×12, first 2 shown]
	v_add_co_ci_u32_e32 v96, vcc_lo, v11, v7, vcc_lo
	v_add_nc_u32_e32 v97, v29, v14
	s_cmp_eq_u32 s30, s14
	s_cselect_b32 s10, s28, 0
	s_and_saveexec_b32 s1, s2
	s_cbranch_execz .LBB137_76
.LBB137_73:
	v_cmp_gt_i32_e32 vcc_lo, s10, v5
	s_cmp_eq_u32 s10, 0
	v_mov_b32_e32 v1, 0
	s_cselect_b32 s5, -1, 0
	s_delay_alu instid0(SALU_CYCLE_1) | instskip(NEXT) | instid1(SALU_CYCLE_1)
	s_or_b32 s5, s5, vcc_lo
	s_and_saveexec_b32 s11, s5
	s_cbranch_execz .LBB137_75
; %bb.74:
	s_ashr_i32 s5, s4, 31
	s_delay_alu instid0(SALU_CYCLE_1) | instskip(NEXT) | instid1(SALU_CYCLE_1)
	s_lshl_b64 s[12:13], s[4:5], 2
	v_add_co_u32 v1, vcc_lo, v21, s12
	v_add_co_ci_u32_e32 v2, vcc_lo, s13, v22, vcc_lo
	flat_load_b32 v1, v[1:2]
.LBB137_75:
	s_or_b32 exec_lo, exec_lo, s11
	s_waitcnt vmcnt(0) lgkmcnt(0)
	ds_store_b32 v25, v1
.LBB137_76:                             ; =>This Inner Loop Header: Depth=1
	s_or_b32 exec_lo, exec_lo, s1
	s_cmp_eq_u32 s10, 0
	v_add_co_u32 v1, vcc_lo, v23, v51
	s_cselect_b32 s5, -1, 0
	s_cmp_lg_u32 s10, 0
	v_add_co_ci_u32_e32 v2, vcc_lo, v24, v52, vcc_lo
	s_cselect_b32 s1, -1, 0
	s_waitcnt lgkmcnt(0)
	s_and_b32 vcc_lo, exec_lo, s1
	s_barrier
	buffer_gl0_inv
	s_cbranch_vccz .LBB137_124
; %bb.77:                               ;   in Loop: Header=BB137_76 Depth=1
	v_dual_mov_b32 v98, 0 :: v_dual_mov_b32 v101, 0
	s_mov_b32 s11, exec_lo
	v_cmpx_gt_i32_e64 s10, v20
	s_cbranch_execz .LBB137_79
; %bb.78:                               ;   in Loop: Header=BB137_76 Depth=1
	flat_load_b32 v101, v[1:2]
.LBB137_79:                             ;   in Loop: Header=BB137_76 Depth=1
	s_or_b32 exec_lo, exec_lo, s11
	s_delay_alu instid0(SALU_CYCLE_1)
	s_mov_b32 s11, exec_lo
	v_cmpx_gt_i32_e64 s10, v30
	s_cbranch_execz .LBB137_81
; %bb.80:                               ;   in Loop: Header=BB137_76 Depth=1
	v_add_co_u32 v6, vcc_lo, v55, v51
	v_add_co_ci_u32_e32 v7, vcc_lo, v56, v52, vcc_lo
	flat_load_b32 v98, v[6:7]
.LBB137_81:                             ;   in Loop: Header=BB137_76 Depth=1
	s_or_b32 exec_lo, exec_lo, s11
	v_dual_mov_b32 v99, 0 :: v_dual_mov_b32 v100, 0
	s_mov_b32 s11, exec_lo
	v_cmpx_gt_i32_e64 s10, v31
	s_cbranch_execz .LBB137_83
; %bb.82:                               ;   in Loop: Header=BB137_76 Depth=1
	v_add_co_u32 v6, vcc_lo, v57, v51
	v_add_co_ci_u32_e32 v7, vcc_lo, v58, v52, vcc_lo
	flat_load_b32 v100, v[6:7]
.LBB137_83:                             ;   in Loop: Header=BB137_76 Depth=1
	s_or_b32 exec_lo, exec_lo, s11
	s_delay_alu instid0(SALU_CYCLE_1)
	s_mov_b32 s11, exec_lo
	v_cmpx_gt_i32_e64 s10, v32
	s_cbranch_execz .LBB137_85
; %bb.84:                               ;   in Loop: Header=BB137_76 Depth=1
	v_add_co_u32 v6, vcc_lo, v59, v51
	v_add_co_ci_u32_e32 v7, vcc_lo, v60, v52, vcc_lo
	flat_load_b32 v99, v[6:7]
.LBB137_85:                             ;   in Loop: Header=BB137_76 Depth=1
	s_or_b32 exec_lo, exec_lo, s11
	s_branch .LBB137_87
.LBB137_86:                             ;   in Loop: Header=BB137_76 Depth=1
	v_add_co_u32 v6, vcc_lo, v55, v51
	v_add_co_ci_u32_e32 v7, vcc_lo, v56, v52, vcc_lo
	v_add_co_u32 v8, vcc_lo, v49, v51
	v_add_co_ci_u32_e32 v9, vcc_lo, v50, v52, vcc_lo
	;; [unrolled: 2-line block ×3, first 2 shown]
	s_waitcnt vmcnt(0) lgkmcnt(0)
	flat_load_b32 v101, v[1:2]
	flat_load_b32 v98, v[6:7]
	;; [unrolled: 1-line block ×4, first 2 shown]
.LBB137_87:                             ;   in Loop: Header=BB137_76 Depth=1
	ds_load_b32 v1, v26
	ds_load_b32 v105, v33
	v_add_co_u32 v8, vcc_lo, v67, v51
	v_cndmask_b32_e64 v16, 0, 1, s1
	v_add_co_ci_u32_e32 v9, vcc_lo, v68, v52, vcc_lo
	s_and_not1_b32 vcc_lo, exec_lo, s1
	s_waitcnt vmcnt(0) lgkmcnt(1)
	v_mul_f32_e32 v2, v101, v1
	v_mul_f32_e32 v6, v98, v1
	;; [unrolled: 1-line block ×4, first 2 shown]
	ds_store_b32 v34, v2
	ds_load_b32 v104, v33 offset:4
	ds_store_b32 v34, v6 offset:268
	ds_load_b32 v103, v33 offset:8
	ds_store_b32 v34, v7 offset:536
	;; [unrolled: 2-line block ×3, first 2 shown]
	s_waitcnt lgkmcnt(0)
	s_barrier
	buffer_gl0_inv
	ds_load_2addr_b32 v[6:7], v29 offset1:1
	ds_load_2addr_b32 v[1:2], v29 offset0:2 offset1:3
	s_waitcnt lgkmcnt(0)
	s_barrier
	buffer_gl0_inv
	s_cbranch_vccnz .LBB137_125
; %bb.88:                               ;   in Loop: Header=BB137_76 Depth=1
	v_dual_mov_b32 v106, 0 :: v_dual_mov_b32 v107, 0
	s_mov_b32 s1, exec_lo
	v_cmpx_gt_i32_e64 s10, v35
	s_cbranch_execz .LBB137_90
; %bb.89:                               ;   in Loop: Header=BB137_76 Depth=1
	flat_load_b32 v107, v[8:9]
.LBB137_90:                             ;   in Loop: Header=BB137_76 Depth=1
	s_or_b32 exec_lo, exec_lo, s1
	s_delay_alu instid0(SALU_CYCLE_1)
	s_mov_b32 s1, exec_lo
	v_cmpx_gt_i32_e64 s10, v36
	s_cbranch_execz .LBB137_92
; %bb.91:                               ;   in Loop: Header=BB137_76 Depth=1
	v_add_co_u32 v10, vcc_lo, v65, v51
	v_add_co_ci_u32_e32 v11, vcc_lo, v66, v52, vcc_lo
	flat_load_b32 v106, v[10:11]
.LBB137_92:                             ;   in Loop: Header=BB137_76 Depth=1
	s_or_b32 exec_lo, exec_lo, s1
	v_dual_mov_b32 v108, 0 :: v_dual_mov_b32 v109, 0
	s_mov_b32 s1, exec_lo
	v_cmpx_gt_i32_e64 s10, v37
	s_cbranch_execz .LBB137_94
; %bb.93:                               ;   in Loop: Header=BB137_76 Depth=1
	v_add_co_u32 v10, vcc_lo, v69, v51
	v_add_co_ci_u32_e32 v11, vcc_lo, v70, v52, vcc_lo
	flat_load_b32 v109, v[10:11]
.LBB137_94:                             ;   in Loop: Header=BB137_76 Depth=1
	s_or_b32 exec_lo, exec_lo, s1
	s_delay_alu instid0(SALU_CYCLE_1)
	s_mov_b32 s1, exec_lo
	v_cmpx_gt_i32_e64 s10, v38
	s_cbranch_execz .LBB137_96
; %bb.95:                               ;   in Loop: Header=BB137_76 Depth=1
	v_add_co_u32 v10, vcc_lo, v71, v51
	v_add_co_ci_u32_e32 v11, vcc_lo, v72, v52, vcc_lo
	flat_load_b32 v108, v[10:11]
.LBB137_96:                             ;   in Loop: Header=BB137_76 Depth=1
	s_or_b32 exec_lo, exec_lo, s1
	s_branch .LBB137_98
.LBB137_97:                             ;   in Loop: Header=BB137_76 Depth=1
	v_add_co_u32 v10, vcc_lo, v65, v51
	v_add_co_ci_u32_e32 v11, vcc_lo, v66, v52, vcc_lo
	v_add_co_u32 v12, vcc_lo, v61, v51
	v_add_co_ci_u32_e32 v13, vcc_lo, v62, v52, vcc_lo
	;; [unrolled: 2-line block ×3, first 2 shown]
	s_waitcnt vmcnt(0) lgkmcnt(0)
	flat_load_b32 v107, v[8:9]
	flat_load_b32 v106, v[10:11]
	;; [unrolled: 1-line block ×4, first 2 shown]
.LBB137_98:                             ;   in Loop: Header=BB137_76 Depth=1
	ds_load_b32 v8, v26
	ds_load_b32 v110, v33 offset:64
	v_cmp_ne_u32_e32 vcc_lo, 1, v16
	v_add_co_u32 v12, s1, v79, v51
	s_delay_alu instid0(VALU_DEP_1)
	v_add_co_ci_u32_e64 v13, s1, v80, v52, s1
	s_and_b32 vcc_lo, exec_lo, vcc_lo
	s_waitcnt vmcnt(0) lgkmcnt(1)
	v_mul_f32_e32 v9, v107, v8
	v_mul_f32_e32 v10, v106, v8
	;; [unrolled: 1-line block ×4, first 2 shown]
	ds_store_b32 v34, v9
	ds_load_b32 v113, v33 offset:68
	ds_store_b32 v34, v10 offset:268
	ds_load_b32 v112, v33 offset:72
	ds_store_b32 v34, v11 offset:536
	;; [unrolled: 2-line block ×3, first 2 shown]
	s_waitcnt lgkmcnt(0)
	s_barrier
	buffer_gl0_inv
	ds_load_2addr_b32 v[10:11], v29 offset1:1
	ds_load_2addr_b32 v[8:9], v29 offset0:2 offset1:3
	s_waitcnt lgkmcnt(0)
	s_barrier
	buffer_gl0_inv
	s_cbranch_vccnz .LBB137_126
; %bb.99:                               ;   in Loop: Header=BB137_76 Depth=1
	v_dual_mov_b32 v114, 0 :: v_dual_mov_b32 v115, 0
	s_mov_b32 s1, exec_lo
	v_cmpx_gt_i32_e64 s10, v39
	s_cbranch_execz .LBB137_101
; %bb.100:                              ;   in Loop: Header=BB137_76 Depth=1
	flat_load_b32 v115, v[12:13]
.LBB137_101:                            ;   in Loop: Header=BB137_76 Depth=1
	s_or_b32 exec_lo, exec_lo, s1
	s_delay_alu instid0(SALU_CYCLE_1)
	s_mov_b32 s1, exec_lo
	v_cmpx_gt_i32_e64 s10, v40
	s_cbranch_execz .LBB137_103
; %bb.102:                              ;   in Loop: Header=BB137_76 Depth=1
	v_add_co_u32 v14, vcc_lo, v77, v51
	v_add_co_ci_u32_e32 v15, vcc_lo, v78, v52, vcc_lo
	flat_load_b32 v114, v[14:15]
.LBB137_103:                            ;   in Loop: Header=BB137_76 Depth=1
	s_or_b32 exec_lo, exec_lo, s1
	v_dual_mov_b32 v116, 0 :: v_dual_mov_b32 v117, 0
	s_mov_b32 s1, exec_lo
	v_cmpx_gt_i32_e64 s10, v41
	s_cbranch_execz .LBB137_105
; %bb.104:                              ;   in Loop: Header=BB137_76 Depth=1
	v_add_co_u32 v14, vcc_lo, v81, v51
	v_add_co_ci_u32_e32 v15, vcc_lo, v82, v52, vcc_lo
	flat_load_b32 v117, v[14:15]
.LBB137_105:                            ;   in Loop: Header=BB137_76 Depth=1
	s_or_b32 exec_lo, exec_lo, s1
	s_delay_alu instid0(SALU_CYCLE_1)
	s_mov_b32 s1, exec_lo
	v_cmpx_gt_i32_e64 s10, v42
	s_cbranch_execz .LBB137_107
; %bb.106:                              ;   in Loop: Header=BB137_76 Depth=1
	v_add_co_u32 v14, vcc_lo, v83, v51
	v_add_co_ci_u32_e32 v15, vcc_lo, v84, v52, vcc_lo
	flat_load_b32 v116, v[14:15]
.LBB137_107:                            ;   in Loop: Header=BB137_76 Depth=1
	s_or_b32 exec_lo, exec_lo, s1
	s_branch .LBB137_109
.LBB137_108:                            ;   in Loop: Header=BB137_76 Depth=1
	v_add_co_u32 v14, vcc_lo, v77, v51
	v_add_co_ci_u32_e32 v15, vcc_lo, v78, v52, vcc_lo
	s_waitcnt vmcnt(0) lgkmcnt(0)
	v_add_co_u32 v116, vcc_lo, v73, v51
	v_add_co_ci_u32_e32 v117, vcc_lo, v74, v52, vcc_lo
	v_add_co_u32 v118, vcc_lo, v75, v47
	v_add_co_ci_u32_e32 v119, vcc_lo, v76, v48, vcc_lo
	flat_load_b32 v115, v[12:13]
	flat_load_b32 v114, v[14:15]
	;; [unrolled: 1-line block ×4, first 2 shown]
.LBB137_109:                            ;   in Loop: Header=BB137_76 Depth=1
	ds_load_b32 v12, v26
	ds_load_b32 v118, v33 offset:128
	v_cmp_ne_u32_e32 vcc_lo, 1, v16
	v_add_co_u32 v16, s1, v91, v47
	s_delay_alu instid0(VALU_DEP_1)
	v_add_co_ci_u32_e64 v17, s1, v92, v48, s1
	s_and_b32 vcc_lo, exec_lo, vcc_lo
	s_waitcnt vmcnt(0) lgkmcnt(1)
	v_mul_f32_e32 v13, v115, v12
	v_mul_f32_e32 v14, v114, v12
	;; [unrolled: 1-line block ×4, first 2 shown]
	ds_store_b32 v34, v13
	ds_load_b32 v121, v33 offset:132
	ds_store_b32 v34, v14 offset:268
	ds_load_b32 v120, v33 offset:136
	ds_store_b32 v34, v15 offset:536
	;; [unrolled: 2-line block ×3, first 2 shown]
	s_waitcnt lgkmcnt(0)
	s_barrier
	buffer_gl0_inv
	ds_load_2addr_b32 v[14:15], v29 offset1:1
	ds_load_2addr_b32 v[12:13], v29 offset0:2 offset1:3
	s_waitcnt lgkmcnt(0)
	s_barrier
	buffer_gl0_inv
	s_cbranch_vccnz .LBB137_127
; %bb.110:                              ;   in Loop: Header=BB137_76 Depth=1
	v_dual_mov_b32 v122, 0 :: v_dual_mov_b32 v123, 0
	s_mov_b32 s1, exec_lo
	v_cmpx_gt_i32_e64 s10, v43
	s_cbranch_execz .LBB137_112
; %bb.111:                              ;   in Loop: Header=BB137_76 Depth=1
	flat_load_b32 v123, v[16:17]
.LBB137_112:                            ;   in Loop: Header=BB137_76 Depth=1
	s_or_b32 exec_lo, exec_lo, s1
	s_delay_alu instid0(SALU_CYCLE_1)
	s_mov_b32 s1, exec_lo
	v_cmpx_gt_i32_e64 s10, v44
	s_cbranch_execz .LBB137_114
; %bb.113:                              ;   in Loop: Header=BB137_76 Depth=1
	v_add_co_u32 v124, vcc_lo, v89, v47
	v_add_co_ci_u32_e32 v125, vcc_lo, v90, v48, vcc_lo
	flat_load_b32 v122, v[124:125]
.LBB137_114:                            ;   in Loop: Header=BB137_76 Depth=1
	s_or_b32 exec_lo, exec_lo, s1
	v_dual_mov_b32 v124, 0 :: v_dual_mov_b32 v125, 0
	s_mov_b32 s1, exec_lo
	v_cmpx_gt_i32_e64 s10, v45
	s_cbranch_execz .LBB137_116
; %bb.115:                              ;   in Loop: Header=BB137_76 Depth=1
	v_add_co_u32 v125, vcc_lo, v93, v47
	v_add_co_ci_u32_e32 v126, vcc_lo, v94, v48, vcc_lo
	flat_load_b32 v125, v[125:126]
.LBB137_116:                            ;   in Loop: Header=BB137_76 Depth=1
	s_or_b32 exec_lo, exec_lo, s1
	s_delay_alu instid0(SALU_CYCLE_1)
	s_mov_b32 s1, exec_lo
	v_cmpx_gt_i32_e64 s10, v46
	s_cbranch_execz .LBB137_118
; %bb.117:                              ;   in Loop: Header=BB137_76 Depth=1
	v_add_co_u32 v126, vcc_lo, v95, v47
	v_add_co_ci_u32_e32 v127, vcc_lo, v96, v48, vcc_lo
	flat_load_b32 v124, v[126:127]
.LBB137_118:                            ;   in Loop: Header=BB137_76 Depth=1
	s_or_b32 exec_lo, exec_lo, s1
	s_branch .LBB137_120
.LBB137_119:                            ;   in Loop: Header=BB137_76 Depth=1
	s_waitcnt vmcnt(0) lgkmcnt(0)
	v_add_co_u32 v124, vcc_lo, v89, v47
	v_add_co_ci_u32_e32 v125, vcc_lo, v90, v48, vcc_lo
	v_add_co_u32 v126, vcc_lo, v85, v47
	v_add_co_ci_u32_e32 v127, vcc_lo, v86, v48, vcc_lo
	v_add_co_u32 v128, vcc_lo, v87, v47
	v_add_co_ci_u32_e32 v129, vcc_lo, v88, v48, vcc_lo
	flat_load_b32 v123, v[16:17]
	flat_load_b32 v122, v[124:125]
	;; [unrolled: 1-line block ×4, first 2 shown]
.LBB137_120:                            ;   in Loop: Header=BB137_76 Depth=1
	ds_load_b32 v17, v26
	ds_load_b32 v16, v33 offset:192
	v_add_f32_e32 v10, 0, v10
	v_cmp_gt_i32_e32 vcc_lo, s10, v5
	v_add_f32_e32 v14, 0, v14
	s_delay_alu instid0(VALU_DEP_3) | instskip(SKIP_1) | instid1(VALU_DEP_2)
	v_add_f32_e32 v10, v10, v11
	s_or_b32 s1, s5, vcc_lo
	v_add_f32_e32 v14, v14, v15
	s_and_b32 s5, s0, s1
	s_delay_alu instid0(VALU_DEP_2) | instskip(NEXT) | instid1(VALU_DEP_2)
	v_add_f32_e32 v8, v10, v8
	v_dual_add_f32 v11, v14, v12 :: v_dual_add_f32 v6, 0, v6
	s_delay_alu instid0(VALU_DEP_2)
	v_add_f32_e32 v8, v8, v9
	s_waitcnt vmcnt(0) lgkmcnt(1)
	v_mul_f32_e32 v129, v125, v17
	v_mul_f32_e32 v126, v123, v17
	;; [unrolled: 1-line block ×3, first 2 shown]
	v_add_f32_e32 v6, v6, v7
	ds_store_b32 v34, v126
	ds_load_b32 v127, v33 offset:196
	v_add_f32_e32 v1, v6, v1
	s_delay_alu instid0(VALU_DEP_1)
	v_dual_mul_f32 v128, v122, v17 :: v_dual_add_f32 v1, v1, v2
	ds_store_b32 v34, v128 offset:268
	ds_load_b32 v126, v33 offset:200
	ds_store_b32 v34, v129 offset:536
	ds_load_b32 v17, v33 offset:204
	ds_store_b32 v34, v130 offset:804
	s_waitcnt lgkmcnt(0)
	s_barrier
	buffer_gl0_inv
	ds_load_2addr_b32 v[128:129], v29 offset1:1
	ds_load_2addr_b32 v[130:131], v29 offset0:2 offset1:3
	s_waitcnt lgkmcnt(0)
	s_barrier
	buffer_gl0_inv
	v_add_f32_e32 v128, 0, v128
	s_delay_alu instid0(VALU_DEP_1) | instskip(NEXT) | instid1(VALU_DEP_1)
	v_add_f32_e32 v7, v128, v129
	v_add_f32_e32 v6, v7, v130
	s_delay_alu instid0(VALU_DEP_1)
	v_dual_add_f32 v7, v11, v13 :: v_dual_add_f32 v2, v6, v131
	ds_store_2addr_b32 v97, v1, v8 offset1:16
	ds_store_2addr_b32 v97, v7, v2 offset0:32 offset1:48
	s_waitcnt lgkmcnt(0)
	s_barrier
	buffer_gl0_inv
	s_and_saveexec_b32 s1, s5
	s_cbranch_execz .LBB137_122
; %bb.121:                              ;   in Loop: Header=BB137_76 Depth=1
	ds_load_2addr_b32 v[1:2], v27 offset1:1
	ds_load_2addr_b32 v[6:7], v27 offset0:2 offset1:3
	ds_load_2addr_b32 v[8:9], v27 offset0:4 offset1:5
	ds_load_2addr_b32 v[10:11], v27 offset0:6 offset1:7
	s_waitcnt lgkmcnt(3)
	v_add_f32_e32 v1, v1, v2
	s_waitcnt lgkmcnt(2)
	s_delay_alu instid0(VALU_DEP_1) | instskip(NEXT) | instid1(VALU_DEP_1)
	v_add_f32_e32 v1, v1, v6
	v_add_f32_e32 v1, v1, v7
	s_waitcnt lgkmcnt(1)
	s_delay_alu instid0(VALU_DEP_1) | instskip(SKIP_3) | instid1(VALU_DEP_1)
	v_add_f32_e32 v6, v1, v8
	ds_load_2addr_b32 v[1:2], v27 offset0:8 offset1:9
	v_add_f32_e32 v6, v6, v9
	s_waitcnt lgkmcnt(1)
	v_add_f32_e32 v8, v6, v10
	ds_load_2addr_b32 v[6:7], v27 offset0:10 offset1:11
	v_add_f32_e32 v10, v8, v11
	ds_load_2addr_b32 v[8:9], v27 offset0:12 offset1:13
	ds_load_b32 v11, v27 offset:56
	s_waitcnt lgkmcnt(3)
	v_add_f32_e32 v1, v10, v1
	s_delay_alu instid0(VALU_DEP_1) | instskip(SKIP_1) | instid1(VALU_DEP_1)
	v_add_f32_e32 v1, v1, v2
	s_waitcnt lgkmcnt(2)
	v_add_f32_e32 v1, v1, v6
	ds_load_b32 v6, v28
	v_add_f32_e32 v1, v1, v7
	s_waitcnt lgkmcnt(2)
	s_delay_alu instid0(VALU_DEP_1) | instskip(NEXT) | instid1(VALU_DEP_1)
	v_add_f32_e32 v1, v1, v8
	v_add_f32_e32 v2, v1, v9
	v_ashrrev_i32_e32 v1, 31, v0
	s_waitcnt lgkmcnt(1)
	s_delay_alu instid0(VALU_DEP_2) | instskip(NEXT) | instid1(VALU_DEP_2)
	v_add_f32_e32 v7, v2, v11
	v_lshlrev_b64 v[1:2], 2, v[0:1]
	s_waitcnt lgkmcnt(0)
	s_delay_alu instid0(VALU_DEP_2) | instskip(NEXT) | instid1(VALU_DEP_2)
	v_add_f32_e32 v6, v7, v6
	v_add_co_u32 v1, vcc_lo, s3, v1
	s_delay_alu instid0(VALU_DEP_3)
	v_add_co_ci_u32_e32 v2, vcc_lo, s9, v2, vcc_lo
	global_store_b32 v[1:2], v6, off
.LBB137_122:                            ;   in Loop: Header=BB137_76 Depth=1
	s_or_b32 exec_lo, exec_lo, s1
	v_dual_fmac_f32 v19, v101, v105 :: v_dual_add_nc_u32 v0, 64, v0
	v_add_co_u32 v49, vcc_lo, v49, s6
	v_add_co_ci_u32_e32 v50, vcc_lo, s7, v50, vcc_lo
	s_delay_alu instid0(VALU_DEP_3) | instskip(SKIP_2) | instid1(VALU_DEP_3)
	v_fmac_f32_e32 v19, v98, v104
	v_add_co_u32 v53, vcc_lo, v53, s6
	v_add_co_ci_u32_e32 v54, vcc_lo, s7, v54, vcc_lo
	v_fmac_f32_e32 v19, v100, v103
	v_add_co_u32 v55, vcc_lo, v55, s6
	v_add_co_ci_u32_e32 v56, vcc_lo, s7, v56, vcc_lo
	v_add_co_u32 v23, vcc_lo, v23, s6
	s_delay_alu instid0(VALU_DEP_4)
	v_fmac_f32_e32 v19, v99, v102
	v_add_co_ci_u32_e32 v24, vcc_lo, s7, v24, vcc_lo
	v_add_co_u32 v57, vcc_lo, v57, s6
	v_add_co_ci_u32_e32 v58, vcc_lo, s7, v58, vcc_lo
	v_add_co_u32 v59, vcc_lo, v59, s6
	v_fmac_f32_e32 v19, v107, v110
	v_add_co_ci_u32_e32 v60, vcc_lo, s7, v60, vcc_lo
	v_add_co_u32 v61, vcc_lo, v61, s6
	v_add_co_ci_u32_e32 v62, vcc_lo, s7, v62, vcc_lo
	s_delay_alu instid0(VALU_DEP_4) | instskip(SKIP_3) | instid1(VALU_DEP_4)
	v_fmac_f32_e32 v19, v106, v113
	v_add_co_u32 v63, vcc_lo, v63, s6
	v_add_co_ci_u32_e32 v64, vcc_lo, s7, v64, vcc_lo
	v_add_co_u32 v65, vcc_lo, v65, s6
	v_fmac_f32_e32 v19, v109, v112
	v_add_co_ci_u32_e32 v66, vcc_lo, s7, v66, vcc_lo
	v_add_co_u32 v67, vcc_lo, v67, s6
	v_add_co_ci_u32_e32 v68, vcc_lo, s7, v68, vcc_lo
	v_add_co_u32 v69, vcc_lo, v69, s6
	v_fmac_f32_e32 v19, v108, v111
	v_add_co_ci_u32_e32 v70, vcc_lo, s7, v70, vcc_lo
	v_add_co_u32 v71, vcc_lo, v71, s6
	v_add_co_ci_u32_e32 v72, vcc_lo, s7, v72, vcc_lo
	s_delay_alu instid0(VALU_DEP_4) | instskip(SKIP_3) | instid1(VALU_DEP_4)
	v_fmac_f32_e32 v19, v115, v118
	v_add_co_u32 v73, vcc_lo, v73, s6
	v_add_co_ci_u32_e32 v74, vcc_lo, s7, v74, vcc_lo
	v_add_co_u32 v75, vcc_lo, v75, s6
	;; [unrolled: 14-line block ×4, first 2 shown]
	v_fmac_f32_e32 v19, v124, v17
	v_add_co_ci_u32_e32 v96, vcc_lo, s7, v96, vcc_lo
	s_add_i32 s5, s14, 2
	s_add_i32 s1, s14, 1
	;; [unrolled: 1-line block ×3, first 2 shown]
	s_cmp_ge_u32 s5, s15
	s_waitcnt_vscnt null, 0x0
	s_barrier
	buffer_gl0_inv
	s_cbranch_scc1 .LBB137_128
; %bb.123:                              ;   in Loop: Header=BB137_76 Depth=1
	s_mov_b32 s14, s1
	s_delay_alu instid0(SALU_CYCLE_1)
	s_cmp_eq_u32 s30, s14
	s_cselect_b32 s10, s28, 0
	s_and_saveexec_b32 s1, s2
	s_cbranch_execnz .LBB137_73
	s_branch .LBB137_76
.LBB137_124:                            ;   in Loop: Header=BB137_76 Depth=1
                                        ; implicit-def: $vgpr99
                                        ; implicit-def: $vgpr100
                                        ; implicit-def: $vgpr98
                                        ; implicit-def: $vgpr101
	s_cbranch_execnz .LBB137_86
	s_branch .LBB137_87
.LBB137_125:                            ;   in Loop: Header=BB137_76 Depth=1
                                        ; implicit-def: $vgpr108
                                        ; implicit-def: $vgpr109
                                        ; implicit-def: $vgpr106
                                        ; implicit-def: $vgpr107
	s_cbranch_execnz .LBB137_97
	s_branch .LBB137_98
.LBB137_126:                            ;   in Loop: Header=BB137_76 Depth=1
                                        ; implicit-def: $vgpr116
                                        ; implicit-def: $vgpr117
                                        ; implicit-def: $vgpr114
                                        ; implicit-def: $vgpr115
	s_cbranch_execnz .LBB137_108
	s_branch .LBB137_109
.LBB137_127:                            ;   in Loop: Header=BB137_76 Depth=1
                                        ; implicit-def: $vgpr124
                                        ; implicit-def: $vgpr125
                                        ; implicit-def: $vgpr122
                                        ; implicit-def: $vgpr123
	s_cbranch_execnz .LBB137_119
	s_branch .LBB137_120
.LBB137_128:
	v_cmp_gt_i32_e32 vcc_lo, s8, v5
	v_mad_u32_u24 v0, 0x10c, v18, v3
	s_or_b32 s0, s29, vcc_lo
	ds_store_b32 v0, v19
	s_and_b32 s0, s2, s0
	s_waitcnt lgkmcnt(0)
	s_barrier
	buffer_gl0_inv
	s_and_saveexec_b32 s1, s0
	s_cbranch_execz .LBB137_130
; %bb.129:
	ds_load_2addr_b32 v[0:1], v3 offset1:67
	ds_load_2addr_b32 v[2:3], v3 offset0:134 offset1:201
	v_ashrrev_i32_e32 v5, 31, v4
	s_waitcnt lgkmcnt(1)
	v_add_f32_e32 v0, v0, v1
	s_waitcnt lgkmcnt(0)
	s_delay_alu instid0(VALU_DEP_1) | instskip(SKIP_1) | instid1(VALU_DEP_2)
	v_add_f32_e32 v2, v0, v2
	v_lshlrev_b64 v[0:1], 2, v[4:5]
	v_add_f32_e32 v2, v2, v3
	s_delay_alu instid0(VALU_DEP_2) | instskip(NEXT) | instid1(VALU_DEP_3)
	v_add_co_u32 v0, vcc_lo, s3, v0
	v_add_co_ci_u32_e32 v1, vcc_lo, s9, v1, vcc_lo
	global_store_b32 v[0:1], v2, off
.LBB137_130:
	s_nop 0
	s_sendmsg sendmsg(MSG_DEALLOC_VGPRS)
	s_endpgm
	.section	.rodata,"a",@progbits
	.p2align	6, 0x0
	.amdhsa_kernel _ZL26rocblas_hemvn_kernel_upperILb0ELi64ELi4ELi33ELi32ELi16EiPKfPKS1_PfEviT6_lT7_lT5_lS6_lS7_lS5_lT8_i
		.amdhsa_group_segment_fixed_size 4800
		.amdhsa_private_segment_fixed_size 0
		.amdhsa_kernarg_size 376
		.amdhsa_user_sgpr_count 14
		.amdhsa_user_sgpr_dispatch_ptr 0
		.amdhsa_user_sgpr_queue_ptr 0
		.amdhsa_user_sgpr_kernarg_segment_ptr 1
		.amdhsa_user_sgpr_dispatch_id 0
		.amdhsa_user_sgpr_private_segment_size 0
		.amdhsa_wavefront_size32 1
		.amdhsa_uses_dynamic_stack 0
		.amdhsa_enable_private_segment 0
		.amdhsa_system_sgpr_workgroup_id_x 1
		.amdhsa_system_sgpr_workgroup_id_y 0
		.amdhsa_system_sgpr_workgroup_id_z 1
		.amdhsa_system_sgpr_workgroup_info 0
		.amdhsa_system_vgpr_workitem_id 1
		.amdhsa_next_free_vgpr 132
		.amdhsa_next_free_sgpr 45
		.amdhsa_reserve_vcc 1
		.amdhsa_float_round_mode_32 0
		.amdhsa_float_round_mode_16_64 0
		.amdhsa_float_denorm_mode_32 3
		.amdhsa_float_denorm_mode_16_64 3
		.amdhsa_dx10_clamp 1
		.amdhsa_ieee_mode 1
		.amdhsa_fp16_overflow 0
		.amdhsa_workgroup_processor_mode 1
		.amdhsa_memory_ordered 1
		.amdhsa_forward_progress 0
		.amdhsa_shared_vgpr_count 0
		.amdhsa_exception_fp_ieee_invalid_op 0
		.amdhsa_exception_fp_denorm_src 0
		.amdhsa_exception_fp_ieee_div_zero 0
		.amdhsa_exception_fp_ieee_overflow 0
		.amdhsa_exception_fp_ieee_underflow 0
		.amdhsa_exception_fp_ieee_inexact 0
		.amdhsa_exception_int_div_zero 0
	.end_amdhsa_kernel
	.section	.text._ZL26rocblas_hemvn_kernel_upperILb0ELi64ELi4ELi33ELi32ELi16EiPKfPKS1_PfEviT6_lT7_lT5_lS6_lS7_lS5_lT8_i,"axG",@progbits,_ZL26rocblas_hemvn_kernel_upperILb0ELi64ELi4ELi33ELi32ELi16EiPKfPKS1_PfEviT6_lT7_lT5_lS6_lS7_lS5_lT8_i,comdat
.Lfunc_end137:
	.size	_ZL26rocblas_hemvn_kernel_upperILb0ELi64ELi4ELi33ELi32ELi16EiPKfPKS1_PfEviT6_lT7_lT5_lS6_lS7_lS5_lT8_i, .Lfunc_end137-_ZL26rocblas_hemvn_kernel_upperILb0ELi64ELi4ELi33ELi32ELi16EiPKfPKS1_PfEviT6_lT7_lT5_lS6_lS7_lS5_lT8_i
                                        ; -- End function
	.section	.AMDGPU.csdata,"",@progbits
; Kernel info:
; codeLenInByte = 7992
; NumSgprs: 47
; NumVgprs: 132
; ScratchSize: 0
; MemoryBound: 0
; FloatMode: 240
; IeeeMode: 1
; LDSByteSize: 4800 bytes/workgroup (compile time only)
; SGPRBlocks: 5
; VGPRBlocks: 16
; NumSGPRsForWavesPerEU: 47
; NumVGPRsForWavesPerEU: 132
; Occupancy: 10
; WaveLimiterHint : 1
; COMPUTE_PGM_RSRC2:SCRATCH_EN: 0
; COMPUTE_PGM_RSRC2:USER_SGPR: 14
; COMPUTE_PGM_RSRC2:TRAP_HANDLER: 0
; COMPUTE_PGM_RSRC2:TGID_X_EN: 1
; COMPUTE_PGM_RSRC2:TGID_Y_EN: 0
; COMPUTE_PGM_RSRC2:TGID_Z_EN: 1
; COMPUTE_PGM_RSRC2:TIDIG_COMP_CNT: 1
	.section	.text._ZL36rocblas_hemvn_kernel_upper_block_sumILi64EiPKfPKPffEviT1_lS5_lT2_lT0_lPT3_i,"axG",@progbits,_ZL36rocblas_hemvn_kernel_upper_block_sumILi64EiPKfPKPffEviT1_lS5_lT2_lT0_lPT3_i,comdat
	.globl	_ZL36rocblas_hemvn_kernel_upper_block_sumILi64EiPKfPKPffEviT1_lS5_lT2_lT0_lPT3_i ; -- Begin function _ZL36rocblas_hemvn_kernel_upper_block_sumILi64EiPKfPKPffEviT1_lS5_lT2_lT0_lPT3_i
	.p2align	8
	.type	_ZL36rocblas_hemvn_kernel_upper_block_sumILi64EiPKfPKPffEviT1_lS5_lT2_lT0_lPT3_i,@function
_ZL36rocblas_hemvn_kernel_upper_block_sumILi64EiPKfPKPffEviT1_lS5_lT2_lT0_lPT3_i: ; @_ZL36rocblas_hemvn_kernel_upper_block_sumILi64EiPKfPKPffEviT1_lS5_lT2_lT0_lPT3_i
; %bb.0:
	s_load_b256 s[16:23], s[0:1], 0x8
	s_waitcnt lgkmcnt(0)
	s_mul_i32 s3, s15, s19
	s_mul_hi_u32 s5, s15, s18
	s_mul_i32 s2, s15, s18
	s_add_i32 s3, s5, s3
	s_mul_i32 s5, s15, s23
	s_lshl_b64 s[2:3], s[2:3], 2
	s_mul_hi_u32 s6, s15, s22
	s_add_u32 s2, s16, s2
	s_addc_u32 s3, s17, s3
	s_add_i32 s7, s6, s5
	s_mul_i32 s6, s15, s22
	s_mov_b32 s5, 0
	s_lshl_b64 s[6:7], s[6:7], 2
	s_delay_alu instid0(SALU_CYCLE_1)
	s_add_u32 s6, s20, s6
	s_addc_u32 s7, s21, s7
	s_load_b32 s9, s[2:3], 0x0
	s_load_b32 s10, s[6:7], 0x0
	s_waitcnt lgkmcnt(0)
	v_cmp_eq_f32_e64 s2, s9, 0
	v_cmp_eq_f32_e64 s3, s10, 1.0
	s_delay_alu instid0(VALU_DEP_1) | instskip(NEXT) | instid1(SALU_CYCLE_1)
	s_and_b32 s2, s2, s3
	s_and_b32 vcc_lo, exec_lo, s2
	s_cbranch_vccnz .LBB138_19
; %bb.1:
	s_clause 0x1
	s_load_b128 s[16:19], s[0:1], 0x28
	s_load_b32 s11, s[0:1], 0x38
	s_mov_b32 s4, s15
	s_load_b32 s6, s[0:1], 0x0
	s_lshl_b64 s[2:3], s[4:5], 3
	v_lshl_or_b32 v0, s14, 6, v0
	s_waitcnt lgkmcnt(0)
	s_add_u32 s2, s16, s2
	s_addc_u32 s3, s17, s3
	s_lshl_b64 s[16:17], s[18:19], 2
	s_load_b64 s[12:13], s[2:3], 0x0
	v_cmp_neq_f32_e64 s2, s9, 0
	s_waitcnt lgkmcnt(0)
	s_add_u32 s3, s12, s16
	s_addc_u32 s8, s13, s17
	s_delay_alu instid0(VALU_DEP_1)
	s_and_b32 vcc_lo, exec_lo, s2
	v_cmp_gt_i32_e64 s2, s6, v0
	s_cbranch_vccnz .LBB138_6
; %bb.2:
	s_mov_b32 s7, 0
                                        ; implicit-def: $vgpr4
                                        ; implicit-def: $vgpr2_vgpr3
	s_delay_alu instid0(VALU_DEP_1)
	s_and_saveexec_b32 s12, s2
	s_cbranch_execz .LBB138_7
; %bb.3:
	v_mul_lo_u32 v2, v0, s11
	v_cmp_eq_f32_e64 s2, s10, 0
	v_mov_b32_e32 v4, 0
	s_delay_alu instid0(VALU_DEP_2) | instskip(NEXT) | instid1(VALU_DEP_3)
	s_and_b32 vcc_lo, exec_lo, s2
	v_ashrrev_i32_e32 v3, 31, v2
	s_cbranch_vccnz .LBB138_5
; %bb.4:
	s_delay_alu instid0(VALU_DEP_1) | instskip(NEXT) | instid1(VALU_DEP_1)
	v_lshlrev_b64 v[4:5], 2, v[2:3]
	v_add_co_u32 v4, vcc_lo, s3, v4
	s_delay_alu instid0(VALU_DEP_2)
	v_add_co_ci_u32_e32 v5, vcc_lo, s8, v5, vcc_lo
	global_load_b32 v1, v[4:5], off
	s_waitcnt vmcnt(0)
	v_mul_f32_e32 v4, s10, v1
.LBB138_5:
	s_mov_b32 s5, exec_lo
	s_or_b32 exec_lo, exec_lo, s12
	s_delay_alu instid0(SALU_CYCLE_1)
	s_and_b32 vcc_lo, exec_lo, s7
	s_cbranch_vccnz .LBB138_8
	s_branch .LBB138_17
.LBB138_6:
                                        ; implicit-def: $vgpr4
                                        ; implicit-def: $vgpr2_vgpr3
	s_cbranch_execnz .LBB138_8
	s_branch .LBB138_17
.LBB138_7:
	s_or_b32 exec_lo, exec_lo, s12
	s_delay_alu instid0(SALU_CYCLE_1)
	s_and_b32 vcc_lo, exec_lo, s7
	s_cbranch_vccz .LBB138_17
.LBB138_8:
	s_mov_b32 s2, exec_lo
                                        ; implicit-def: $vgpr4
                                        ; implicit-def: $vgpr2_vgpr3
	v_cmpx_gt_i32_e64 s6, v0
	s_cbranch_execz .LBB138_16
; %bb.9:
	v_mov_b32_e32 v1, 0
	s_cmp_lt_i32 s14, 0
	s_cbranch_scc1 .LBB138_12
; %bb.10:
	s_clause 0x1
	s_load_b32 s12, s[0:1], 0x58
	s_load_b64 s[0:1], s[0:1], 0x48
	s_ashr_i32 s7, s6, 31
	s_mul_hi_u32 s13, s6, s4
	s_mul_i32 s15, s7, s4
	v_mov_b32_e32 v1, 0
	s_mul_i32 s4, s6, s4
	s_add_i32 s13, s13, s15
	s_delay_alu instid0(VALU_DEP_1)
	v_lshlrev_b64 v[2:3], 2, v[0:1]
	s_waitcnt lgkmcnt(0)
	s_mul_i32 s13, s13, s12
	s_mul_hi_u32 s15, s4, s12
	s_mul_i32 s12, s4, s12
	s_add_i32 s13, s15, s13
	s_delay_alu instid0(SALU_CYCLE_1) | instskip(NEXT) | instid1(SALU_CYCLE_1)
	s_lshl_b64 s[12:13], s[12:13], 2
	s_add_u32 s0, s0, s12
	s_addc_u32 s1, s1, s13
	v_add_co_u32 v2, vcc_lo, s0, v2
	v_add_co_ci_u32_e32 v3, vcc_lo, s1, v3, vcc_lo
	s_add_i32 s4, s14, 1
	s_lshl_b64 s[0:1], s[6:7], 2
.LBB138_11:                             ; =>This Inner Loop Header: Depth=1
	global_load_b32 v4, v[2:3], off
	v_add_co_u32 v2, vcc_lo, v2, s0
	v_add_co_ci_u32_e32 v3, vcc_lo, s1, v3, vcc_lo
	s_add_i32 s4, s4, -1
	s_delay_alu instid0(SALU_CYCLE_1)
	s_cmp_eq_u32 s4, 0
	s_waitcnt vmcnt(0)
	v_add_f32_e32 v1, v1, v4
	s_cbranch_scc0 .LBB138_11
.LBB138_12:
	v_mul_lo_u32 v2, v0, s11
	v_cmp_eq_f32_e64 s0, s10, 0
	s_delay_alu instid0(VALU_DEP_1) | instskip(SKIP_1) | instid1(VALU_DEP_2)
	s_and_b32 vcc_lo, exec_lo, s0
	s_mov_b32 s0, 0
	v_ashrrev_i32_e32 v3, 31, v2
	s_cbranch_vccz .LBB138_20
; %bb.13:
	v_mul_f32_e32 v4, s9, v1
	s_and_not1_b32 vcc_lo, exec_lo, s0
	s_cbranch_vccnz .LBB138_15
.LBB138_14:
	s_delay_alu instid0(VALU_DEP_1) | instskip(NEXT) | instid1(VALU_DEP_1)
	v_lshlrev_b64 v[4:5], 2, v[2:3]
	v_add_co_u32 v4, vcc_lo, s3, v4
	s_delay_alu instid0(VALU_DEP_2) | instskip(SKIP_3) | instid1(VALU_DEP_1)
	v_add_co_ci_u32_e32 v5, vcc_lo, s8, v5, vcc_lo
	global_load_b32 v0, v[4:5], off
	s_waitcnt vmcnt(0)
	v_mul_f32_e32 v4, s10, v0
	v_fmac_f32_e32 v4, s9, v1
.LBB138_15:
	s_or_b32 s5, s5, exec_lo
.LBB138_16:
	s_or_b32 exec_lo, exec_lo, s2
.LBB138_17:
	s_and_saveexec_b32 s0, s5
	s_cbranch_execz .LBB138_19
; %bb.18:
	v_lshlrev_b64 v[0:1], 2, v[2:3]
	s_delay_alu instid0(VALU_DEP_1) | instskip(NEXT) | instid1(VALU_DEP_2)
	v_add_co_u32 v0, vcc_lo, s3, v0
	v_add_co_ci_u32_e32 v1, vcc_lo, s8, v1, vcc_lo
	global_store_b32 v[0:1], v4, off
.LBB138_19:
	s_nop 0
	s_sendmsg sendmsg(MSG_DEALLOC_VGPRS)
	s_endpgm
.LBB138_20:
                                        ; implicit-def: $vgpr4
	s_branch .LBB138_14
	.section	.rodata,"a",@progbits
	.p2align	6, 0x0
	.amdhsa_kernel _ZL36rocblas_hemvn_kernel_upper_block_sumILi64EiPKfPKPffEviT1_lS5_lT2_lT0_lPT3_i
		.amdhsa_group_segment_fixed_size 0
		.amdhsa_private_segment_fixed_size 0
		.amdhsa_kernarg_size 344
		.amdhsa_user_sgpr_count 14
		.amdhsa_user_sgpr_dispatch_ptr 0
		.amdhsa_user_sgpr_queue_ptr 0
		.amdhsa_user_sgpr_kernarg_segment_ptr 1
		.amdhsa_user_sgpr_dispatch_id 0
		.amdhsa_user_sgpr_private_segment_size 0
		.amdhsa_wavefront_size32 1
		.amdhsa_uses_dynamic_stack 0
		.amdhsa_enable_private_segment 0
		.amdhsa_system_sgpr_workgroup_id_x 1
		.amdhsa_system_sgpr_workgroup_id_y 0
		.amdhsa_system_sgpr_workgroup_id_z 1
		.amdhsa_system_sgpr_workgroup_info 0
		.amdhsa_system_vgpr_workitem_id 0
		.amdhsa_next_free_vgpr 6
		.amdhsa_next_free_sgpr 24
		.amdhsa_reserve_vcc 1
		.amdhsa_float_round_mode_32 0
		.amdhsa_float_round_mode_16_64 0
		.amdhsa_float_denorm_mode_32 3
		.amdhsa_float_denorm_mode_16_64 3
		.amdhsa_dx10_clamp 1
		.amdhsa_ieee_mode 1
		.amdhsa_fp16_overflow 0
		.amdhsa_workgroup_processor_mode 1
		.amdhsa_memory_ordered 1
		.amdhsa_forward_progress 0
		.amdhsa_shared_vgpr_count 0
		.amdhsa_exception_fp_ieee_invalid_op 0
		.amdhsa_exception_fp_denorm_src 0
		.amdhsa_exception_fp_ieee_div_zero 0
		.amdhsa_exception_fp_ieee_overflow 0
		.amdhsa_exception_fp_ieee_underflow 0
		.amdhsa_exception_fp_ieee_inexact 0
		.amdhsa_exception_int_div_zero 0
	.end_amdhsa_kernel
	.section	.text._ZL36rocblas_hemvn_kernel_upper_block_sumILi64EiPKfPKPffEviT1_lS5_lT2_lT0_lPT3_i,"axG",@progbits,_ZL36rocblas_hemvn_kernel_upper_block_sumILi64EiPKfPKPffEviT1_lS5_lT2_lT0_lPT3_i,comdat
.Lfunc_end138:
	.size	_ZL36rocblas_hemvn_kernel_upper_block_sumILi64EiPKfPKPffEviT1_lS5_lT2_lT0_lPT3_i, .Lfunc_end138-_ZL36rocblas_hemvn_kernel_upper_block_sumILi64EiPKfPKPffEviT1_lS5_lT2_lT0_lPT3_i
                                        ; -- End function
	.section	.AMDGPU.csdata,"",@progbits
; Kernel info:
; codeLenInByte = 724
; NumSgprs: 26
; NumVgprs: 6
; ScratchSize: 0
; MemoryBound: 0
; FloatMode: 240
; IeeeMode: 1
; LDSByteSize: 0 bytes/workgroup (compile time only)
; SGPRBlocks: 3
; VGPRBlocks: 0
; NumSGPRsForWavesPerEU: 26
; NumVGPRsForWavesPerEU: 6
; Occupancy: 16
; WaveLimiterHint : 1
; COMPUTE_PGM_RSRC2:SCRATCH_EN: 0
; COMPUTE_PGM_RSRC2:USER_SGPR: 14
; COMPUTE_PGM_RSRC2:TRAP_HANDLER: 0
; COMPUTE_PGM_RSRC2:TGID_X_EN: 1
; COMPUTE_PGM_RSRC2:TGID_Y_EN: 0
; COMPUTE_PGM_RSRC2:TGID_Z_EN: 1
; COMPUTE_PGM_RSRC2:TIDIG_COMP_CNT: 0
	.section	.text._ZL26rocblas_hemvn_kernel_upperILb0ELi64ELi4ELi33ELi32ELi16ElfPKPKfPfEviT6_lT7_lT5_lS6_lS7_lS5_lT8_i,"axG",@progbits,_ZL26rocblas_hemvn_kernel_upperILb0ELi64ELi4ELi33ELi32ELi16ElfPKPKfPfEviT6_lT7_lT5_lS6_lS7_lS5_lT8_i,comdat
	.globl	_ZL26rocblas_hemvn_kernel_upperILb0ELi64ELi4ELi33ELi32ELi16ElfPKPKfPfEviT6_lT7_lT5_lS6_lS7_lS5_lT8_i ; -- Begin function _ZL26rocblas_hemvn_kernel_upperILb0ELi64ELi4ELi33ELi32ELi16ElfPKPKfPfEviT6_lT7_lT5_lS6_lS7_lS5_lT8_i
	.p2align	8
	.type	_ZL26rocblas_hemvn_kernel_upperILb0ELi64ELi4ELi33ELi32ELi16ElfPKPKfPfEviT6_lT7_lT5_lS6_lS7_lS5_lT8_i,@function
_ZL26rocblas_hemvn_kernel_upperILb0ELi64ELi4ELi33ELi32ELi16ElfPKPKfPfEviT6_lT7_lT5_lS6_lS7_lS5_lT8_i: ; @_ZL26rocblas_hemvn_kernel_upperILb0ELi64ELi4ELi33ELi32ELi16ElfPKPKfPfEviT6_lT7_lT5_lS6_lS7_lS5_lT8_i
; %bb.0:
	s_load_b64 s[4:5], s[0:1], 0x7c
	s_add_u32 s2, s0, 0x70
	s_addc_u32 s3, s1, 0
	s_waitcnt lgkmcnt(0)
	s_lshr_b32 s6, s4, 16
	s_and_b32 s4, s4, 0xffff
	s_and_b32 s5, s5, 0xffff
	s_mul_i32 s4, s6, s4
	s_delay_alu instid0(SALU_CYCLE_1) | instskip(NEXT) | instid1(SALU_CYCLE_1)
	s_mul_i32 s4, s4, s5
	s_cmpk_lg_i32 s4, 0x100
	s_cbranch_scc1 .LBB139_130
; %bb.1:
	s_clause 0x1
	s_load_b64 s[22:23], s[0:1], 0x0
	s_load_b32 s4, s[0:1], 0x50
	s_waitcnt lgkmcnt(0)
	v_cmp_eq_f32_e64 s8, s23, 0
	v_cmp_eq_f32_e64 s4, s4, 1.0
	s_delay_alu instid0(VALU_DEP_1) | instskip(NEXT) | instid1(SALU_CYCLE_1)
	s_and_b32 s4, s8, s4
	s_and_b32 vcc_lo, exec_lo, s4
	s_cbranch_vccnz .LBB139_130
; %bb.2:
	s_clause 0x1
	s_load_b128 s[4:7], s[0:1], 0x10
	s_load_b64 s[16:17], s[0:1], 0x20
	s_mov_b32 s20, s15
	v_cmp_neq_f32_e64 s15, s23, 0
	s_mov_b64 s[12:13], 0
	s_and_b32 vcc_lo, exec_lo, s8
	s_mov_b64 s[8:9], 0
	s_cbranch_vccnz .LBB139_4
; %bb.3:
	s_mov_b32 s21, 0
	s_delay_alu instid0(SALU_CYCLE_1)
	s_lshl_b64 s[8:9], s[20:21], 3
	s_waitcnt lgkmcnt(0)
	s_add_u32 s4, s4, s8
	s_addc_u32 s5, s5, s9
	s_lshl_b64 s[6:7], s[6:7], 2
	s_load_b64 s[4:5], s[4:5], 0x0
	s_waitcnt lgkmcnt(0)
	s_add_u32 s8, s4, s6
	s_addc_u32 s9, s5, s7
.LBB139_4:
	s_waitcnt lgkmcnt(0)
	s_clause 0x1
	s_load_b128 s[4:7], s[0:1], 0x30
	s_load_b64 s[10:11], s[0:1], 0x40
	v_cndmask_b32_e64 v1, 0, 1, s15
	s_and_not1_b32 vcc_lo, exec_lo, s15
	s_cbranch_vccnz .LBB139_6
; %bb.5:
	s_mov_b32 s21, 0
	s_delay_alu instid0(SALU_CYCLE_1)
	s_lshl_b64 s[12:13], s[20:21], 3
	s_waitcnt lgkmcnt(0)
	s_add_u32 s4, s4, s12
	s_addc_u32 s5, s5, s13
	s_lshl_b64 s[6:7], s[6:7], 2
	s_load_b64 s[4:5], s[4:5], 0x0
	s_waitcnt lgkmcnt(0)
	s_add_u32 s12, s4, s6
	s_addc_u32 s13, s5, s7
.LBB139_6:
	s_delay_alu instid0(VALU_DEP_1)
	v_cmp_ne_u32_e32 vcc_lo, 1, v1
	s_cbranch_vccnz .LBB139_130
; %bb.7:
	v_and_b32_e32 v16, 0x3ff, v0
	s_lshl_b32 s18, s14, 6
	s_load_b32 s15, s[2:3], 0x0
	s_ashr_i32 s23, s22, 31
	v_bfe_u32 v17, v0, 10, 10
	v_add_nc_u32_e32 v4, s18, v16
	s_lshr_b32 s2, s23, 26
	s_delay_alu instid0(SALU_CYCLE_1) | instskip(NEXT) | instid1(SALU_CYCLE_1)
	s_add_i32 s2, s22, s2
	s_and_not1_b32 s2, s2, 63
	s_delay_alu instid0(VALU_DEP_1)
	v_ashrrev_i32_e32 v5, 31, v4
	s_waitcnt lgkmcnt(0)
	v_mul_lo_u32 v3, v4, s11
	v_mad_u64_u32 v[1:2], null, v4, s10, 0
	s_sub_i32 s21, s22, s2
	v_mul_lo_u32 v6, v5, s10
	v_cmp_eq_u32_e64 s2, 0, v17
	s_add_i32 s3, s15, -1
	s_delay_alu instid0(VALU_DEP_2) | instskip(SKIP_1) | instid1(VALU_DEP_1)
	v_add3_u32 v2, v2, v3, v6
	s_cmp_eq_u32 s14, s3
	v_lshlrev_b64 v[1:2], 2, v[1:2]
	s_delay_alu instid0(VALU_DEP_1) | instskip(NEXT) | instid1(VALU_DEP_2)
	v_add_co_u32 v8, vcc_lo, s12, v1
	v_add_co_ci_u32_e32 v9, vcc_lo, s13, v2, vcc_lo
	s_cselect_b32 s12, s21, 0
	s_and_saveexec_b32 s3, s2
	s_cbranch_execz .LBB139_11
; %bb.8:
	v_cmp_gt_i32_e32 vcc_lo, s12, v16
	s_cmp_eq_u32 s12, 0
	v_mov_b32_e32 v0, 0
	s_cselect_b32 s4, -1, 0
	s_delay_alu instid0(SALU_CYCLE_1) | instskip(NEXT) | instid1(SALU_CYCLE_1)
	s_or_b32 s5, s4, vcc_lo
	s_and_saveexec_b32 s4, s5
	s_cbranch_execz .LBB139_10
; %bb.9:
	flat_load_b32 v0, v[8:9]
.LBB139_10:
	s_or_b32 exec_lo, exec_lo, s4
	v_lshlrev_b32_e32 v1, 2, v16
	s_waitcnt vmcnt(0) lgkmcnt(0)
	ds_store_b32 v1, v0 offset:4544
.LBB139_11:
	s_or_b32 exec_lo, exec_lo, s3
	v_lshl_add_u32 v14, v17, 6, v16
	v_dual_mov_b32 v1, 0 :: v_dual_and_b32 v0, 31, v16
	s_ashr_i32 s19, s18, 31
	s_mul_i32 s3, s18, s17
	s_delay_alu instid0(VALU_DEP_2)
	v_lshrrev_b32_e32 v15, 5, v14
	s_lshl_b64 s[4:5], s[18:19], 2
	s_mul_hi_u32 s6, s18, s16
	s_add_u32 s8, s8, s4
	s_mul_i32 s7, s19, s16
	v_mad_u64_u32 v[2:3], null, v15, s16, v[0:1]
	s_addc_u32 s9, s9, s5
	s_add_i32 s3, s6, s3
	s_mul_i32 s4, s18, s16
	s_add_i32 s5, s3, s7
	v_cmp_gt_i32_e64 s3, s12, v0
	s_lshl_b64 s[4:5], s[4:5], 2
	s_delay_alu instid0(VALU_DEP_2)
	v_mad_u64_u32 v[6:7], null, v15, s17, v[3:4]
	s_add_u32 s4, s4, s8
	s_addc_u32 s5, s5, s9
	s_cmp_eq_u32 s12, 0
	v_lshlrev_b32_e32 v19, 2, v0
	s_cselect_b32 s9, -1, 0
	s_cmp_lg_u32 s12, 0
	s_delay_alu instid0(VALU_DEP_2) | instskip(SKIP_1) | instid1(SALU_CYCLE_1)
	v_mov_b32_e32 v3, v6
	s_cselect_b32 s28, -1, 0
	s_and_b32 vcc_lo, exec_lo, s28
	s_delay_alu instid0(VALU_DEP_1) | instskip(NEXT) | instid1(VALU_DEP_1)
	v_lshlrev_b64 v[6:7], 2, v[2:3]
	v_add_co_u32 v10, s4, s4, v6
	s_delay_alu instid0(VALU_DEP_1)
	v_add_co_ci_u32_e64 v11, s4, s5, v7, s4
	s_cbranch_vccz .LBB139_21
; %bb.12:
	s_delay_alu instid0(VALU_DEP_2) | instskip(SKIP_1) | instid1(VALU_DEP_2)
	v_sub_co_u32 v2, vcc_lo, v10, v19
	s_ashr_i32 s13, s12, 31
	v_subrev_co_ci_u32_e32 v3, vcc_lo, 0, v11, vcc_lo
	s_lshl_b64 s[4:5], s[12:13], 2
	s_mov_b32 s6, exec_lo
	v_add_co_u32 v2, vcc_lo, v2, s4
	s_delay_alu instid0(VALU_DEP_2) | instskip(NEXT) | instid1(VALU_DEP_2)
	v_add_co_ci_u32_e32 v3, vcc_lo, s5, v3, vcc_lo
	v_add_co_u32 v2, vcc_lo, v2, -4
	s_delay_alu instid0(VALU_DEP_2) | instskip(NEXT) | instid1(VALU_DEP_2)
	v_add_co_ci_u32_e32 v3, vcc_lo, -1, v3, vcc_lo
	v_cndmask_b32_e64 v2, v2, v10, s3
	s_delay_alu instid0(VALU_DEP_2)
	v_cndmask_b32_e64 v3, v3, v11, s3
	v_cmpx_gt_i32_e64 s12, v15
	s_cbranch_execz .LBB139_14
; %bb.13:
	flat_load_b32 v1, v[2:3]
.LBB139_14:
	s_or_b32 exec_lo, exec_lo, s6
	v_mul_u32_u24_e32 v12, 33, v15
	v_dual_mov_b32 v18, 0 :: v_dual_add_nc_u32 v13, 8, v15
	s_delay_alu instid0(VALU_DEP_2) | instskip(NEXT) | instid1(VALU_DEP_2)
	v_add_lshl_u32 v12, v12, v0, 2
	v_cmp_gt_i32_e32 vcc_lo, s12, v13
	v_mov_b32_e32 v13, 0
	s_waitcnt vmcnt(0) lgkmcnt(0)
	ds_store_b32 v12, v1
	s_and_saveexec_b32 s6, vcc_lo
	s_cbranch_execz .LBB139_16
; %bb.15:
	s_lshl_b64 s[24:25], s[16:17], 5
	s_delay_alu instid0(SALU_CYCLE_1)
	v_add_co_u32 v20, vcc_lo, v2, s24
	v_add_co_ci_u32_e32 v21, vcc_lo, s25, v3, vcc_lo
	flat_load_b32 v18, v[20:21]
.LBB139_16:
	s_or_b32 exec_lo, exec_lo, s6
	v_add_nc_u32_e32 v1, 16, v15
	s_mov_b32 s6, exec_lo
	s_waitcnt vmcnt(0) lgkmcnt(0)
	ds_store_b32 v12, v18 offset:1056
	v_cmpx_gt_i32_e64 s12, v1
	s_cbranch_execz .LBB139_18
; %bb.17:
	s_lshl_b64 s[24:25], s[16:17], 6
	s_delay_alu instid0(SALU_CYCLE_1)
	v_add_co_u32 v20, vcc_lo, v2, s24
	v_add_co_ci_u32_e32 v21, vcc_lo, s25, v3, vcc_lo
	flat_load_b32 v13, v[20:21]
.LBB139_18:
	s_or_b32 exec_lo, exec_lo, s6
	v_dual_mov_b32 v18, 0 :: v_dual_add_nc_u32 v1, 24, v15
	s_mov_b32 s6, exec_lo
	s_waitcnt vmcnt(0) lgkmcnt(0)
	ds_store_b32 v12, v13 offset:2112
	v_cmpx_gt_i32_e64 s12, v1
	s_cbranch_execz .LBB139_20
; %bb.19:
	v_mad_u64_u32 v[20:21], null, 0x60, s16, v[2:3]
	s_delay_alu instid0(VALU_DEP_1) | instskip(NEXT) | instid1(VALU_DEP_1)
	v_mov_b32_e32 v1, v21
	v_mad_u64_u32 v[21:22], null, 0x60, s17, v[1:2]
	flat_load_b32 v18, v[20:21]
.LBB139_20:
	s_or_b32 exec_lo, exec_lo, s6
	v_add_co_u32 v1, vcc_lo, v2, v19
	v_add_co_ci_u32_e32 v2, vcc_lo, 0, v3, vcc_lo
	s_waitcnt vmcnt(0) lgkmcnt(0)
	ds_store_b32 v12, v18 offset:3168
	v_sub_co_u32 v1, vcc_lo, v1, s4
	v_subrev_co_ci_u32_e32 v2, vcc_lo, s5, v2, vcc_lo
	s_delay_alu instid0(VALU_DEP_2) | instskip(NEXT) | instid1(VALU_DEP_2)
	v_add_co_u32 v1, vcc_lo, v1, 4
	v_add_co_ci_u32_e32 v2, vcc_lo, 0, v2, vcc_lo
	s_delay_alu instid0(VALU_DEP_2) | instskip(NEXT) | instid1(VALU_DEP_2)
	v_cndmask_b32_e64 v1, v1, v10, s3
	v_cndmask_b32_e64 v2, v2, v11, s3
	v_mul_u32_u24_e32 v22, 33, v15
	s_branch .LBB139_23
.LBB139_21:
                                        ; implicit-def: $vgpr1_vgpr2
	v_mul_u32_u24_e32 v22, 33, v15
	s_cbranch_execz .LBB139_23
; %bb.22:
	flat_load_b32 v3, v[10:11]
	s_lshl_b64 s[4:5], s[16:17], 5
	v_add_lshl_u32 v18, v22, v0, 2
	v_add_co_u32 v1, vcc_lo, v10, s4
	v_add_co_ci_u32_e32 v2, vcc_lo, s5, v11, vcc_lo
	s_waitcnt vmcnt(0) lgkmcnt(0)
	ds_store_b32 v18, v3
	flat_load_b32 v3, v[1:2]
	v_add_co_u32 v1, vcc_lo, v1, s4
	v_add_co_ci_u32_e32 v2, vcc_lo, s5, v2, vcc_lo
	s_waitcnt vmcnt(0) lgkmcnt(0)
	ds_store_b32 v18, v3 offset:1056
	flat_load_b32 v3, v[1:2]
	v_mad_u64_u32 v[1:2], null, 0x60, s16, v[10:11]
	s_waitcnt vmcnt(0) lgkmcnt(0)
	s_delay_alu instid0(VALU_DEP_1)
	v_mad_u64_u32 v[12:13], null, 0x60, s17, v[2:3]
	ds_store_b32 v18, v3 offset:2112
	v_mov_b32_e32 v2, v12
	flat_load_b32 v3, v[1:2]
	v_dual_mov_b32 v1, v10 :: v_dual_mov_b32 v2, v11
	s_waitcnt vmcnt(0) lgkmcnt(0)
	ds_store_b32 v18, v3 offset:3168
.LBB139_23:
	v_lshlrev_b32_e32 v20, 2, v15
	v_mul_u32_u24_e32 v3, 33, v0
	v_mul_u32_u24_e32 v10, 0x84, v15
	s_waitcnt lgkmcnt(0)
	s_barrier
	v_cmp_gt_u32_e64 s4, v20, v0
	v_add_lshl_u32 v27, v20, v3, 2
	buffer_gl0_inv
	s_and_saveexec_b32 s3, s4
	s_cbranch_execz .LBB139_25
; %bb.24:
	v_add_lshl_u32 v11, v10, v0, 2
	ds_load_b32 v11, v11
	s_waitcnt lgkmcnt(0)
	ds_store_b32 v27, v11
.LBB139_25:
	s_or_b32 exec_lo, exec_lo, s3
	v_cmp_ge_u32_e64 s5, v20, v0
	s_delay_alu instid0(VALU_DEP_1)
	s_and_saveexec_b32 s3, s5
	s_cbranch_execz .LBB139_27
; %bb.26:
	v_or_b32_e32 v11, 1, v20
	s_delay_alu instid0(VALU_DEP_1) | instskip(NEXT) | instid1(VALU_DEP_1)
	v_mul_u32_u24_e32 v11, 33, v11
	v_add_lshl_u32 v11, v11, v0, 2
	ds_load_b32 v11, v11
	s_waitcnt lgkmcnt(0)
	ds_store_b32 v27, v11 offset:4
.LBB139_27:
	s_or_b32 exec_lo, exec_lo, s3
	v_or_b32_e32 v11, 2, v20
	s_delay_alu instid0(VALU_DEP_1) | instskip(NEXT) | instid1(VALU_DEP_1)
	v_cmp_gt_u32_e64 s6, v11, v0
	s_and_saveexec_b32 s3, s6
	s_cbranch_execz .LBB139_29
; %bb.28:
	v_mul_u32_u24_e32 v11, 33, v11
	s_delay_alu instid0(VALU_DEP_1)
	v_add_lshl_u32 v11, v11, v0, 2
	ds_load_b32 v11, v11
	s_waitcnt lgkmcnt(0)
	ds_store_b32 v27, v11 offset:8
.LBB139_29:
	s_or_b32 exec_lo, exec_lo, s3
	v_or_b32_e32 v11, 3, v20
	s_delay_alu instid0(VALU_DEP_1) | instskip(SKIP_1) | instid1(VALU_DEP_2)
	v_mad_u32_u24 v12, v11, 33, v0
	v_cmp_gt_u32_e64 s7, v11, v0
	v_lshlrev_b32_e32 v24, 2, v12
	s_delay_alu instid0(VALU_DEP_2)
	s_and_saveexec_b32 s3, s7
	s_cbranch_execz .LBB139_31
; %bb.30:
	ds_load_b32 v11, v24
	s_waitcnt lgkmcnt(0)
	ds_store_b32 v27, v11 offset:12
.LBB139_31:
	s_or_b32 exec_lo, exec_lo, s3
	v_add_lshl_u32 v25, v10, v0, 2
	v_lshlrev_b32_e32 v28, 2, v20
	v_add_nc_u32_e32 v26, 0xfffffef8, v24
	s_waitcnt lgkmcnt(0)
	s_barrier
	buffer_gl0_inv
	ds_load_b32 v18, v25
	ds_load_b128 v[10:13], v28 offset:4544
	ds_load_2addr_b32 v[29:30], v26 offset1:33
	ds_load_b32 v21, v24
	v_add_lshl_u32 v23, v15, v3, 2
	v_cmp_gt_u32_e64 s3, 32, v14
	s_waitcnt lgkmcnt(0)
	s_barrier
	buffer_gl0_inv
	v_fma_f32 v10, v18, v10, 0
	v_mov_b32_e32 v18, 0
	s_delay_alu instid0(VALU_DEP_2) | instskip(NEXT) | instid1(VALU_DEP_1)
	v_fmac_f32_e32 v10, v29, v11
	v_fmac_f32_e32 v10, v30, v12
	s_delay_alu instid0(VALU_DEP_1)
	v_dual_fmac_f32 v10, v21, v13 :: v_dual_lshlrev_b32 v21, 2, v3
	ds_store_b32 v23, v10
	s_waitcnt lgkmcnt(0)
	s_barrier
	buffer_gl0_inv
	s_and_saveexec_b32 s8, s3
	s_cbranch_execz .LBB139_33
; %bb.32:
	ds_load_2addr_b32 v[10:11], v21 offset1:1
	ds_load_2addr_b32 v[12:13], v21 offset0:2 offset1:3
	ds_load_2addr_b32 v[29:30], v21 offset0:4 offset1:5
	;; [unrolled: 1-line block ×3, first 2 shown]
	s_waitcnt lgkmcnt(3)
	v_add_f32_e32 v10, v10, v11
	s_waitcnt lgkmcnt(2)
	s_delay_alu instid0(VALU_DEP_1) | instskip(NEXT) | instid1(VALU_DEP_1)
	v_add_f32_e32 v10, v10, v12
	v_add_f32_e32 v10, v10, v13
	s_waitcnt lgkmcnt(1)
	s_delay_alu instid0(VALU_DEP_1) | instskip(NEXT) | instid1(VALU_DEP_1)
	v_add_f32_e32 v10, v10, v29
	v_add_f32_e32 v10, v10, v30
	s_waitcnt lgkmcnt(0)
	s_delay_alu instid0(VALU_DEP_1) | instskip(NEXT) | instid1(VALU_DEP_1)
	v_add_f32_e32 v10, v10, v31
	v_add_f32_e32 v18, v10, v32
.LBB139_33:
	s_or_b32 exec_lo, exec_lo, s8
	s_lshl_b64 s[24:25], s[16:17], 7
	s_delay_alu instid0(SALU_CYCLE_1) | instskip(SKIP_2) | instid1(VALU_DEP_2)
	v_add_co_u32 v10, vcc_lo, v1, s24
	v_add_co_ci_u32_e32 v11, vcc_lo, s25, v2, vcc_lo
	s_lshl_b64 s[24:25], s[16:17], 5
	v_add_co_u32 v1, vcc_lo, 0x80, v10
	s_delay_alu instid0(VALU_DEP_2)
	v_add_co_ci_u32_e32 v2, vcc_lo, 0, v11, vcc_lo
	s_and_b32 vcc_lo, exec_lo, s28
	s_barrier
	buffer_gl0_inv
	s_cbranch_vccz .LBB139_43
; %bb.34:
	v_or_b32_e32 v12, 32, v0
	s_ashr_i32 s13, s12, 31
	v_mov_b32_e32 v31, 0
	s_lshl_b64 s[26:27], s[12:13], 2
	s_sub_i32 s13, s12, 32
	v_lshlrev_b32_e32 v13, 2, v12
	s_mov_b32 s29, exec_lo
	s_delay_alu instid0(VALU_DEP_1) | instskip(SKIP_1) | instid1(VALU_DEP_2)
	v_sub_co_u32 v13, vcc_lo, v1, v13
	v_subrev_co_ci_u32_e32 v29, vcc_lo, 0, v2, vcc_lo
	v_add_co_u32 v13, vcc_lo, v13, s26
	s_delay_alu instid0(VALU_DEP_2) | instskip(NEXT) | instid1(VALU_DEP_2)
	v_add_co_ci_u32_e32 v29, vcc_lo, s27, v29, vcc_lo
	v_add_co_u32 v30, vcc_lo, v13, -4
	s_delay_alu instid0(VALU_DEP_2) | instskip(SKIP_1) | instid1(VALU_DEP_2)
	v_add_co_ci_u32_e32 v13, vcc_lo, -1, v29, vcc_lo
	v_cmp_gt_i32_e32 vcc_lo, s12, v12
	v_dual_cndmask_b32 v12, v30, v1 :: v_dual_cndmask_b32 v13, v13, v2
	v_mov_b32_e32 v30, 0
	v_cmpx_gt_i32_e64 s13, v15
	s_cbranch_execz .LBB139_36
; %bb.35:
	flat_load_b32 v30, v[12:13]
.LBB139_36:
	s_or_b32 exec_lo, exec_lo, s29
	v_add_nc_u32_e32 v32, 8, v15
	v_add_lshl_u32 v29, v22, v0, 2
	s_mov_b32 s29, exec_lo
	s_waitcnt vmcnt(0) lgkmcnt(0)
	ds_store_b32 v29, v30
	v_cmpx_gt_i32_e64 s13, v32
	s_cbranch_execz .LBB139_38
; %bb.37:
	v_add_co_u32 v30, s8, v12, s24
	s_delay_alu instid0(VALU_DEP_1)
	v_add_co_ci_u32_e64 v31, s8, s25, v13, s8
	flat_load_b32 v31, v[30:31]
.LBB139_38:
	s_or_b32 exec_lo, exec_lo, s29
	v_add_nc_u32_e32 v32, 16, v15
	v_mov_b32_e32 v30, 0
	s_waitcnt vmcnt(0) lgkmcnt(0)
	ds_store_b32 v29, v31 offset:1056
	v_cmp_gt_i32_e64 s8, s13, v32
	v_mov_b32_e32 v32, 0
	s_delay_alu instid0(VALU_DEP_2)
	s_and_saveexec_b32 s29, s8
	s_cbranch_execz .LBB139_40
; %bb.39:
	s_lshl_b64 s[30:31], s[16:17], 6
	s_delay_alu instid0(SALU_CYCLE_1) | instskip(NEXT) | instid1(VALU_DEP_1)
	v_add_co_u32 v31, s8, v12, s30
	v_add_co_ci_u32_e64 v32, s8, s31, v13, s8
	flat_load_b32 v32, v[31:32]
.LBB139_40:
	s_or_b32 exec_lo, exec_lo, s29
	v_add_nc_u32_e32 v31, 24, v15
	s_waitcnt vmcnt(0) lgkmcnt(0)
	ds_store_b32 v29, v32 offset:2112
	v_cmp_gt_i32_e64 s8, s13, v31
	s_delay_alu instid0(VALU_DEP_1)
	s_and_saveexec_b32 s13, s8
	s_cbranch_execz .LBB139_42
; %bb.41:
	v_mad_u64_u32 v[30:31], null, 0x60, s16, v[12:13]
	s_delay_alu instid0(VALU_DEP_1) | instskip(NEXT) | instid1(VALU_DEP_1)
	v_mad_u64_u32 v[32:33], null, 0x60, s17, v[31:32]
	v_mov_b32_e32 v31, v32
	flat_load_b32 v30, v[30:31]
.LBB139_42:
	s_or_b32 exec_lo, exec_lo, s13
	v_add_co_u32 v12, s8, v12, v19
	s_delay_alu instid0(VALU_DEP_1) | instskip(SKIP_3) | instid1(VALU_DEP_1)
	v_add_co_ci_u32_e64 v13, s8, 0, v13, s8
	s_waitcnt vmcnt(0) lgkmcnt(0)
	ds_store_b32 v29, v30 offset:3168
	v_sub_co_u32 v12, s8, v12, s26
	v_subrev_co_ci_u32_e64 v13, s8, s27, v13, s8
	s_delay_alu instid0(VALU_DEP_2) | instskip(NEXT) | instid1(VALU_DEP_1)
	v_add_co_u32 v12, s8, 0x84, v12
	v_add_co_ci_u32_e64 v13, s8, 0, v13, s8
	s_delay_alu instid0(VALU_DEP_1)
	v_dual_cndmask_b32 v12, v12, v1 :: v_dual_cndmask_b32 v13, v13, v2
	s_branch .LBB139_45
.LBB139_43:
                                        ; implicit-def: $vgpr12_vgpr13
	s_cbranch_execz .LBB139_45
; %bb.44:
	flat_load_b32 v29, v[10:11] offset:128
	v_add_co_u32 v12, vcc_lo, v10, s24
	v_add_lshl_u32 v31, v22, v0, 2
	v_add_co_ci_u32_e32 v13, vcc_lo, s25, v11, vcc_lo
	s_waitcnt vmcnt(0) lgkmcnt(0)
	ds_store_b32 v31, v29
	flat_load_b32 v29, v[12:13] offset:128
	v_add_co_u32 v12, vcc_lo, v12, s24
	v_add_co_ci_u32_e32 v13, vcc_lo, s25, v13, vcc_lo
	s_waitcnt vmcnt(0) lgkmcnt(0)
	ds_store_b32 v31, v29 offset:1056
	flat_load_b32 v32, v[12:13] offset:128
	v_mad_u64_u32 v[12:13], null, 0x60, s16, v[10:11]
	s_delay_alu instid0(VALU_DEP_1) | instskip(NEXT) | instid1(VALU_DEP_1)
	v_mov_b32_e32 v10, v13
	v_mad_u64_u32 v[29:30], null, 0x60, s17, v[10:11]
	s_delay_alu instid0(VALU_DEP_1)
	v_mov_b32_e32 v13, v29
	s_waitcnt vmcnt(0) lgkmcnt(0)
	ds_store_b32 v31, v32 offset:2112
	flat_load_b32 v10, v[12:13] offset:128
	v_dual_mov_b32 v13, v2 :: v_dual_mov_b32 v12, v1
	s_waitcnt vmcnt(0) lgkmcnt(0)
	ds_store_b32 v31, v10 offset:3168
.LBB139_45:
	s_waitcnt lgkmcnt(0)
	s_barrier
	buffer_gl0_inv
	s_and_saveexec_b32 s8, s4
	s_cbranch_execnz .LBB139_62
; %bb.46:
	s_or_b32 exec_lo, exec_lo, s8
	s_and_saveexec_b32 s4, s5
	s_cbranch_execnz .LBB139_63
.LBB139_47:
	s_or_b32 exec_lo, exec_lo, s4
	s_and_saveexec_b32 s4, s6
	s_cbranch_execnz .LBB139_64
.LBB139_48:
	s_or_b32 exec_lo, exec_lo, s4
	v_add_nc_u32_e32 v28, 0x11c0, v28
	s_and_saveexec_b32 s4, s7
	s_cbranch_execz .LBB139_50
.LBB139_49:
	ds_load_b32 v1, v24
	s_waitcnt lgkmcnt(0)
	ds_store_b32 v27, v1 offset:12
.LBB139_50:
	s_or_b32 exec_lo, exec_lo, s4
	s_waitcnt lgkmcnt(0)
	s_barrier
	buffer_gl0_inv
	ds_load_b32 v10, v25
	ds_load_b128 v[29:32], v28 offset:128
	ds_load_2addr_b32 v[1:2], v26 offset1:33
	ds_load_b32 v11, v24
	v_cmp_eq_u32_e64 s4, 1, v15
	s_waitcnt lgkmcnt(0)
	s_barrier
	buffer_gl0_inv
	v_fma_f32 v10, v10, v29, 0
	s_delay_alu instid0(VALU_DEP_1) | instskip(NEXT) | instid1(VALU_DEP_1)
	v_fmac_f32_e32 v10, v1, v30
	v_fmac_f32_e32 v10, v2, v31
	s_delay_alu instid0(VALU_DEP_1)
	v_fmac_f32_e32 v10, v11, v32
	ds_store_b32 v23, v10
	s_waitcnt lgkmcnt(0)
	s_barrier
	buffer_gl0_inv
	s_and_saveexec_b32 s5, s4
	s_cbranch_execz .LBB139_52
; %bb.51:
	ds_load_2addr_b32 v[1:2], v21 offset1:1
	ds_load_2addr_b32 v[10:11], v21 offset0:2 offset1:3
	ds_load_2addr_b32 v[29:30], v21 offset0:4 offset1:5
	;; [unrolled: 1-line block ×3, first 2 shown]
	s_waitcnt lgkmcnt(3)
	v_add_f32_e32 v1, v1, v2
	s_waitcnt lgkmcnt(2)
	s_delay_alu instid0(VALU_DEP_1) | instskip(NEXT) | instid1(VALU_DEP_1)
	v_add_f32_e32 v1, v1, v10
	v_add_f32_e32 v1, v1, v11
	s_waitcnt lgkmcnt(1)
	s_delay_alu instid0(VALU_DEP_1) | instskip(NEXT) | instid1(VALU_DEP_1)
	v_add_f32_e32 v1, v1, v29
	;; [unrolled: 4-line block ×3, first 2 shown]
	v_add_f32_e32 v18, v1, v32
.LBB139_52:
	s_or_b32 exec_lo, exec_lo, s5
	v_add_co_u32 v1, vcc_lo, 0xffffff80, v12
	v_add_co_ci_u32_e32 v2, vcc_lo, -1, v13, vcc_lo
	s_and_b32 vcc_lo, exec_lo, s28
	s_barrier
	buffer_gl0_inv
	s_cbranch_vccz .LBB139_65
; %bb.53:
	v_sub_co_u32 v10, vcc_lo, v1, v19
	s_ashr_i32 s13, s12, 31
	v_subrev_co_ci_u32_e32 v11, vcc_lo, 0, v2, vcc_lo
	s_lshl_b64 s[6:7], s[12:13], 2
	v_mov_b32_e32 v13, 0
	v_add_co_u32 v10, vcc_lo, v10, s6
	s_delay_alu instid0(VALU_DEP_3) | instskip(SKIP_1) | instid1(VALU_DEP_2)
	v_add_co_ci_u32_e32 v11, vcc_lo, s7, v11, vcc_lo
	s_sub_i32 s8, s12, 32
	v_add_co_u32 v10, vcc_lo, v10, -4
	s_delay_alu instid0(VALU_DEP_2) | instskip(SKIP_3) | instid1(VALU_DEP_3)
	v_add_co_ci_u32_e32 v11, vcc_lo, -1, v11, vcc_lo
	v_cmp_gt_i32_e32 vcc_lo, s12, v0
	v_mov_b32_e32 v27, 0
	s_mov_b32 s13, exec_lo
	v_dual_cndmask_b32 v10, v10, v1 :: v_dual_cndmask_b32 v11, v11, v2
	v_cmpx_gt_i32_e64 s8, v15
	s_cbranch_execz .LBB139_55
; %bb.54:
	flat_load_b32 v13, v[10:11]
.LBB139_55:
	s_or_b32 exec_lo, exec_lo, s13
	v_add_nc_u32_e32 v12, 8, v15
	v_add_lshl_u32 v29, v22, v0, 2
	s_mov_b32 s13, exec_lo
	s_waitcnt vmcnt(0) lgkmcnt(0)
	ds_store_b32 v29, v13
	v_cmpx_gt_i32_e64 s8, v12
	s_cbranch_execz .LBB139_57
; %bb.56:
	v_add_co_u32 v30, s5, v10, s24
	s_delay_alu instid0(VALU_DEP_1)
	v_add_co_ci_u32_e64 v31, s5, s25, v11, s5
	flat_load_b32 v27, v[30:31]
.LBB139_57:
	s_or_b32 exec_lo, exec_lo, s13
	v_dual_mov_b32 v30, 0 :: v_dual_add_nc_u32 v13, 16, v15
	v_mov_b32_e32 v31, 0
	s_mov_b32 s13, exec_lo
	s_waitcnt vmcnt(0) lgkmcnt(0)
	ds_store_b32 v29, v27 offset:1056
	v_cmpx_gt_i32_e64 s8, v13
	s_cbranch_execz .LBB139_59
; %bb.58:
	s_lshl_b64 s[26:27], s[16:17], 6
	s_delay_alu instid0(SALU_CYCLE_1) | instskip(NEXT) | instid1(VALU_DEP_1)
	v_add_co_u32 v31, s5, v10, s26
	v_add_co_ci_u32_e64 v32, s5, s27, v11, s5
	flat_load_b32 v31, v[31:32]
.LBB139_59:
	s_or_b32 exec_lo, exec_lo, s13
	v_add_nc_u32_e32 v27, 24, v15
	s_waitcnt vmcnt(0) lgkmcnt(0)
	ds_store_b32 v29, v31 offset:2112
	v_cmp_gt_i32_e64 s5, s8, v27
	s_delay_alu instid0(VALU_DEP_1)
	s_and_saveexec_b32 s8, s5
	s_cbranch_execz .LBB139_61
; %bb.60:
	v_mad_u64_u32 v[30:31], null, 0x60, s16, v[10:11]
	s_delay_alu instid0(VALU_DEP_1) | instskip(NEXT) | instid1(VALU_DEP_1)
	v_mad_u64_u32 v[32:33], null, 0x60, s17, v[31:32]
	v_mov_b32_e32 v31, v32
	flat_load_b32 v30, v[30:31]
.LBB139_61:
	s_or_b32 exec_lo, exec_lo, s8
	v_add_co_u32 v10, s5, v10, v19
	s_delay_alu instid0(VALU_DEP_1) | instskip(SKIP_3) | instid1(VALU_DEP_1)
	v_add_co_ci_u32_e64 v11, s5, 0, v11, s5
	s_waitcnt vmcnt(0) lgkmcnt(0)
	ds_store_b32 v29, v30 offset:3168
	v_sub_co_u32 v10, s5, v10, s6
	v_subrev_co_ci_u32_e64 v11, s5, s7, v11, s5
	s_delay_alu instid0(VALU_DEP_2) | instskip(NEXT) | instid1(VALU_DEP_1)
	v_add_co_u32 v10, s5, v10, 4
	v_add_co_ci_u32_e64 v11, s5, 0, v11, s5
	s_delay_alu instid0(VALU_DEP_1)
	v_dual_cndmask_b32 v10, v10, v1 :: v_dual_cndmask_b32 v11, v11, v2
	s_branch .LBB139_67
.LBB139_62:
	ds_load_b32 v1, v25
	s_waitcnt lgkmcnt(0)
	ds_store_b32 v27, v1
	s_or_b32 exec_lo, exec_lo, s8
	s_and_saveexec_b32 s4, s5
	s_cbranch_execz .LBB139_47
.LBB139_63:
	ds_load_b32 v1, v26
	s_waitcnt lgkmcnt(0)
	ds_store_b32 v27, v1 offset:4
	s_or_b32 exec_lo, exec_lo, s4
	s_and_saveexec_b32 s4, s6
	s_cbranch_execz .LBB139_48
.LBB139_64:
	ds_load_b32 v1, v26 offset:132
	s_waitcnt lgkmcnt(0)
	ds_store_b32 v27, v1 offset:8
	s_or_b32 exec_lo, exec_lo, s4
	v_add_nc_u32_e32 v28, 0x11c0, v28
	s_and_saveexec_b32 s4, s7
	s_cbranch_execnz .LBB139_49
	s_branch .LBB139_50
.LBB139_65:
                                        ; implicit-def: $vgpr10_vgpr11
                                        ; implicit-def: $vgpr12
                                        ; implicit-def: $vgpr13
                                        ; implicit-def: $vgpr27
	s_cbranch_execz .LBB139_67
; %bb.66:
	flat_load_b32 v12, v[1:2]
	v_add_co_u32 v10, vcc_lo, v1, s24
	v_add_lshl_u32 v19, v22, v0, 2
	v_add_co_ci_u32_e32 v11, vcc_lo, s25, v2, vcc_lo
	v_add_nc_u32_e32 v27, 24, v15
	s_waitcnt vmcnt(0) lgkmcnt(0)
	ds_store_b32 v19, v12
	flat_load_b32 v0, v[10:11]
	v_add_co_u32 v10, vcc_lo, v10, s24
	v_add_co_ci_u32_e32 v11, vcc_lo, s25, v11, vcc_lo
	s_waitcnt vmcnt(0) lgkmcnt(0)
	ds_store_b32 v19, v0 offset:1056
	flat_load_b32 v13, v[10:11]
	v_mad_u64_u32 v[10:11], null, 0x60, s16, v[1:2]
	s_delay_alu instid0(VALU_DEP_1)
	v_mov_b32_e32 v0, v11
	s_waitcnt vmcnt(0) lgkmcnt(0)
	ds_store_b32 v19, v13 offset:2112
	v_add_nc_u32_e32 v13, 16, v15
	v_mad_u64_u32 v[11:12], null, 0x60, s17, v[0:1]
	v_add_nc_u32_e32 v12, 8, v15
	flat_load_b32 v0, v[10:11]
	v_dual_mov_b32 v11, v2 :: v_dual_mov_b32 v10, v1
	s_waitcnt vmcnt(0) lgkmcnt(0)
	ds_store_b32 v19, v0 offset:3168
.LBB139_67:
	s_waitcnt lgkmcnt(0)
	s_barrier
	buffer_gl0_inv
	ds_load_b32 v19, v23
	ds_load_b32 v20, v20 offset:4544
	v_add_lshl_u32 v0, v12, v3, 2
	v_add_lshl_u32 v2, v13, v3, 2
	s_waitcnt lgkmcnt(0)
	v_fma_f32 v20, v19, v20, 0
	v_lshlrev_b32_e32 v1, 2, v12
	ds_load_b32 v22, v0
	ds_load_b32 v29, v1 offset:4544
	v_lshlrev_b32_e32 v12, 2, v13
	v_add_lshl_u32 v0, v27, v3, 2
	s_waitcnt lgkmcnt(0)
	v_dual_fmac_f32 v20, v22, v29 :: v_dual_lshlrev_b32 v1, 2, v27
	ds_load_b32 v27, v2
	ds_load_b32 v30, v12 offset:4544
	ds_load_b32 v31, v0
	ds_load_b32 v32, v1 offset:4544
	ds_load_b32 v15, v25
	ds_load_b128 v[0:3], v28 offset:128
	ds_load_2addr_b32 v[12:13], v26 offset1:33
	ds_load_b32 v19, v24
	s_waitcnt lgkmcnt(0)
	s_barrier
	buffer_gl0_inv
	v_fmac_f32_e32 v20, v27, v30
	s_delay_alu instid0(VALU_DEP_1)
	v_fmac_f32_e32 v20, v31, v32
	ds_store_b32 v23, v20
	s_waitcnt lgkmcnt(0)
	s_barrier
	buffer_gl0_inv
	s_and_saveexec_b32 s5, s4
	s_cbranch_execz .LBB139_69
; %bb.68:
	ds_load_2addr_b32 v[24:25], v21 offset1:1
	ds_load_2addr_b32 v[26:27], v21 offset0:2 offset1:3
	ds_load_2addr_b32 v[28:29], v21 offset0:4 offset1:5
	;; [unrolled: 1-line block ×3, first 2 shown]
	s_waitcnt lgkmcnt(3)
	v_add_f32_e32 v18, v18, v24
	s_delay_alu instid0(VALU_DEP_1) | instskip(SKIP_1) | instid1(VALU_DEP_1)
	v_add_f32_e32 v18, v18, v25
	s_waitcnt lgkmcnt(2)
	v_add_f32_e32 v18, v18, v26
	s_delay_alu instid0(VALU_DEP_1) | instskip(SKIP_1) | instid1(VALU_DEP_1)
	v_add_f32_e32 v18, v18, v27
	;; [unrolled: 4-line block ×3, first 2 shown]
	s_waitcnt lgkmcnt(0)
	v_add_f32_e32 v18, v18, v30
	s_delay_alu instid0(VALU_DEP_1)
	v_add_f32_e32 v18, v18, v31
.LBB139_69:
	s_or_b32 exec_lo, exec_lo, s5
	v_fma_f32 v0, v15, v0, 0
	s_barrier
	buffer_gl0_inv
	v_fmac_f32_e32 v0, v12, v1
	s_delay_alu instid0(VALU_DEP_1) | instskip(NEXT) | instid1(VALU_DEP_1)
	v_fmac_f32_e32 v0, v13, v2
	v_fmac_f32_e32 v0, v19, v3
	ds_store_b32 v23, v0
	s_waitcnt lgkmcnt(0)
	s_barrier
	buffer_gl0_inv
	s_and_saveexec_b32 s4, s3
	s_cbranch_execz .LBB139_71
; %bb.70:
	ds_load_2addr_b32 v[0:1], v21 offset1:1
	ds_load_2addr_b32 v[2:3], v21 offset0:2 offset1:3
	ds_load_2addr_b32 v[12:13], v21 offset0:4 offset1:5
	;; [unrolled: 1-line block ×3, first 2 shown]
	s_waitcnt lgkmcnt(3)
	v_add_f32_e32 v0, v18, v0
	s_delay_alu instid0(VALU_DEP_1) | instskip(SKIP_1) | instid1(VALU_DEP_1)
	v_add_f32_e32 v0, v0, v1
	s_waitcnt lgkmcnt(2)
	v_add_f32_e32 v0, v0, v2
	s_delay_alu instid0(VALU_DEP_1) | instskip(SKIP_1) | instid1(VALU_DEP_1)
	v_add_f32_e32 v0, v0, v3
	s_waitcnt lgkmcnt(1)
	v_add_f32_e32 v0, v0, v12
	s_delay_alu instid0(VALU_DEP_1) | instskip(SKIP_1) | instid1(VALU_DEP_1)
	v_add_f32_e32 v0, v0, v13
	s_waitcnt lgkmcnt(0)
	v_add_f32_e32 v0, v0, v19
	s_delay_alu instid0(VALU_DEP_1)
	v_add_f32_e32 v18, v0, v20
.LBB139_71:
	s_or_b32 exec_lo, exec_lo, s4
	s_load_b64 s[0:1], s[0:1], 0x60
	s_mul_hi_u32 s3, s22, s20
	s_mul_i32 s23, s23, s20
	s_mul_i32 s4, s22, s20
	s_add_i32 s3, s3, s23
	s_mul_hi_u32 s5, s4, s15
	s_mul_i32 s3, s3, s15
	s_mul_i32 s4, s4, s15
	s_add_i32 s5, s5, s3
	s_mul_hi_i32 s7, s22, s14
	s_lshl_b64 s[4:5], s[4:5], 2
	s_mul_i32 s6, s22, s14
	v_lshlrev_b32_e32 v19, 2, v16
	s_waitcnt lgkmcnt(0)
	s_barrier
	buffer_gl0_inv
	s_add_u32 s3, s0, s4
	s_addc_u32 s4, s1, s5
	s_lshl_b64 s[0:1], s[6:7], 2
	s_delay_alu instid0(SALU_CYCLE_1) | instskip(SKIP_2) | instid1(SALU_CYCLE_1)
	s_add_u32 s3, s3, s0
	s_addc_u32 s6, s4, s1
	s_add_i32 s0, s14, 1
	s_cmp_ge_u32 s0, s15
	s_cbranch_scc1 .LBB139_128
; %bb.72:
	v_lshlrev_b32_e32 v20, 2, v17
	s_lshl_b64 s[4:5], s[24:25], 2
	s_mul_i32 s1, s18, s11
	s_mul_hi_u32 s7, s18, s10
	s_mul_i32 s8, s19, s10
	v_mad_u64_u32 v[0:1], null, v20, s16, 0
	s_add_i32 s1, s7, s1
	v_lshlrev_b32_e32 v68, 4, v17
	s_mul_i32 s0, s18, s10
	s_add_i32 s1, s1, s8
	v_lshrrev_b32_e32 v13, 4, v14
	s_lshl_b64 s[0:1], s[0:1], 2
	s_delay_alu instid0(VALU_DEP_3)
	v_mad_u64_u32 v[2:3], null, v20, s17, v[1:2]
	v_add_co_u32 v3, vcc_lo, v10, s4
	v_add_co_ci_u32_e32 v22, vcc_lo, s5, v11, vcc_lo
	v_add_nc_u32_e32 v48, 0x88, v68
	v_and_b32_e32 v15, 48, v16
	v_mov_b32_e32 v1, v2
	v_sub_co_u32 v2, vcc_lo, v3, v6
	v_sub_co_ci_u32_e32 v3, vcc_lo, v22, v7, vcc_lo
	s_delay_alu instid0(VALU_DEP_3) | instskip(SKIP_3) | instid1(VALU_DEP_4)
	v_lshlrev_b64 v[0:1], 2, v[0:1]
	v_sub_co_u32 v22, vcc_lo, v8, s0
	v_subrev_co_ci_u32_e32 v23, vcc_lo, s1, v9, vcc_lo
	v_cmp_gt_u32_e64 s0, 64, v14
	v_add_co_u32 v24, vcc_lo, v2, v0
	v_add_co_ci_u32_e32 v25, vcc_lo, v3, v1, vcc_lo
	v_and_b32_e32 v0, 0x1fff0, v14
	v_add_nc_u32_e32 v14, 0x8c, v68
	v_mad_u64_u32 v[2:3], null, s16, v48, 0
	v_and_b32_e32 v12, 15, v16
	v_or_b32_e32 v28, 60, v19
	v_lshlrev_b32_e32 v27, 2, v15
	v_mul_i32_i24_e32 v78, -12, v13
	v_add_nc_u32_e32 v52, 0xc8, v68
	v_mad_u32_u24 v29, 0x10c, v12, v0
	v_mad_u64_u32 v[0:1], null, s16, v14, 0
	v_or_b32_e32 v30, 1, v20
	v_or_b32_e32 v31, 2, v20
	;; [unrolled: 1-line block ×3, first 2 shown]
	v_mad_u32_u24 v34, 0x430, v17, v19
	v_add_nc_u32_e32 v41, 34, v20
	v_add_nc_u32_e32 v43, 48, v20
	v_mad_u64_u32 v[8:9], null, s17, v14, v[1:2]
	v_mov_b32_e32 v1, v3
	v_add_nc_u32_e32 v3, 0x84, v68
	v_add_nc_u32_e32 v21, 0x10c0, v19
	v_mad_u32_u24 v27, 0x10c, v12, v27
	v_mad_u32_u24 v28, 0x10c, v12, v28
	v_or_b32_e32 v47, v15, v12
	v_mov_b32_e32 v14, v8
	v_mad_u64_u32 v[8:9], null, s17, v48, v[1:2]
	v_mad_u64_u32 v[12:13], null, s16, v3, 0
	v_sub_co_u32 v0, vcc_lo, v0, v6
	s_delay_alu instid0(VALU_DEP_4) | instskip(SKIP_1) | instid1(VALU_DEP_3)
	v_sub_co_ci_u32_e32 v1, vcc_lo, v14, v7, vcc_lo
	v_add_nc_u32_e32 v15, 0xcc, v68
	v_add_co_u32 v48, vcc_lo, v10, v0
	v_add_nc_u32_e32 v26, 0x11c0, v19
	s_delay_alu instid0(VALU_DEP_4) | instskip(SKIP_3) | instid1(VALU_DEP_3)
	v_add_co_ci_u32_e32 v49, vcc_lo, v11, v1, vcc_lo
	v_dual_mov_b32 v1, v8 :: v_dual_mov_b32 v0, v13
	v_mad_u64_u32 v[8:9], null, s16, v15, 0
	v_sub_co_u32 v13, vcc_lo, v2, v6
	v_sub_co_ci_u32_e32 v14, vcc_lo, v1, v7, vcc_lo
	s_delay_alu instid0(VALU_DEP_4) | instskip(NEXT) | instid1(VALU_DEP_4)
	v_mad_u64_u32 v[1:2], null, s17, v3, v[0:1]
	v_mov_b32_e32 v0, v9
	v_mad_u64_u32 v[2:3], null, s16, v52, 0
	v_add_co_u32 v50, vcc_lo, v10, v13
	v_add_co_ci_u32_e32 v51, vcc_lo, v11, v14, vcc_lo
	s_delay_alu instid0(VALU_DEP_4) | instskip(NEXT) | instid1(VALU_DEP_4)
	v_mad_u64_u32 v[13:14], null, s17, v15, v[0:1]
	v_dual_mov_b32 v0, v3 :: v_dual_add_nc_u32 v35, 16, v20
	v_sub_co_u32 v3, vcc_lo, v12, v6
	v_sub_co_ci_u32_e32 v9, vcc_lo, v1, v7, vcc_lo
	s_delay_alu instid0(VALU_DEP_4) | instskip(NEXT) | instid1(VALU_DEP_4)
	v_mov_b32_e32 v15, v13
	v_mad_u64_u32 v[12:13], null, s17, v52, v[0:1]
	s_delay_alu instid0(VALU_DEP_4) | instskip(NEXT) | instid1(VALU_DEP_4)
	v_add_co_u32 v52, vcc_lo, v10, v3
	v_add_co_ci_u32_e32 v53, vcc_lo, v11, v9, vcc_lo
	v_sub_co_u32 v13, vcc_lo, v8, v6
	s_delay_alu instid0(VALU_DEP_4) | instskip(SKIP_3) | instid1(VALU_DEP_4)
	v_dual_mov_b32 v3, v12 :: v_dual_add_nc_u32 v14, 0xc4, v68
	v_add_nc_u32_e32 v58, 0xc0, v68
	v_sub_co_ci_u32_e32 v15, vcc_lo, v15, v7, vcc_lo
	v_sub_co_u32 v12, vcc_lo, v2, v6
	v_mad_u64_u32 v[0:1], null, s16, v14, 0
	s_delay_alu instid0(VALU_DEP_4) | instskip(SKIP_2) | instid1(VALU_DEP_4)
	v_mad_u64_u32 v[8:9], null, s16, v58, 0
	v_sub_co_ci_u32_e32 v57, vcc_lo, v3, v7, vcc_lo
	v_add_co_u32 v54, vcc_lo, v10, v13
	v_mad_u64_u32 v[2:3], null, s17, v14, v[1:2]
	v_add_co_ci_u32_e32 v55, vcc_lo, v11, v15, vcc_lo
	v_add_co_u32 v56, vcc_lo, v10, v12
	v_mov_b32_e32 v1, v9
	v_add_nc_u32_e32 v9, 0x10c, v68
	v_add_co_ci_u32_e32 v57, vcc_lo, v11, v57, vcc_lo
	v_sub_co_u32 v0, vcc_lo, v0, v6
	v_sub_co_ci_u32_e32 v14, vcc_lo, v2, v7, vcc_lo
	s_delay_alu instid0(VALU_DEP_4)
	v_mad_u64_u32 v[2:3], null, s16, v9, 0
	v_add_nc_u32_e32 v33, 0x10c0, v68
	v_add_nc_u32_e32 v66, 0x100, v68
	v_add_nc_u32_e32 v67, 0x14c, v68
	v_add_nc_u32_e32 v72, 0x144, v68
	v_add_nc_u32_e32 v73, 0x140, v68
	v_add_nc_u32_e32 v45, 50, v20
	v_mad_u64_u32 v[12:13], null, s17, v58, v[1:2]
	v_add_nc_u32_e32 v1, 0x108, v68
	v_add_co_u32 v58, vcc_lo, v10, v0
	v_mov_b32_e32 v0, v3
	v_add_nc_u32_e32 v36, 17, v20
	v_add_co_ci_u32_e32 v59, vcc_lo, v11, v14, vcc_lo
	v_mov_b32_e32 v3, v12
	s_delay_alu instid0(VALU_DEP_4) | instskip(SKIP_1) | instid1(VALU_DEP_3)
	v_mad_u64_u32 v[62:63], null, s17, v9, v[0:1]
	v_sub_co_u32 v8, vcc_lo, v8, v6
	v_sub_co_ci_u32_e32 v3, vcc_lo, v3, v7, vcc_lo
	v_mad_u64_u32 v[13:14], null, s16, v1, 0
	s_delay_alu instid0(VALU_DEP_3) | instskip(SKIP_1) | instid1(VALU_DEP_4)
	v_add_co_u32 v60, vcc_lo, v10, v8
	v_add_nc_u32_e32 v38, 19, v20
	v_add_co_ci_u32_e32 v61, vcc_lo, v11, v3, vcc_lo
	v_mov_b32_e32 v3, v62
	v_sub_co_u32 v2, vcc_lo, v2, v6
	v_dual_mov_b32 v0, v14 :: v_dual_add_nc_u32 v37, 18, v20
	v_add_nc_u32_e32 v12, 0x104, v68
	s_delay_alu instid0(VALU_DEP_4) | instskip(NEXT) | instid1(VALU_DEP_4)
	v_sub_co_ci_u32_e32 v3, vcc_lo, v3, v7, vcc_lo
	v_add_co_u32 v62, vcc_lo, v10, v2
	s_delay_alu instid0(VALU_DEP_4) | instskip(NEXT) | instid1(VALU_DEP_4)
	v_mad_u64_u32 v[8:9], null, s17, v1, v[0:1]
	v_mad_u64_u32 v[0:1], null, s16, v12, 0
	s_delay_alu instid0(VALU_DEP_4) | instskip(SKIP_4) | instid1(VALU_DEP_3)
	v_add_co_ci_u32_e32 v63, vcc_lo, v11, v3, vcc_lo
	v_mad_u64_u32 v[2:3], null, s16, v66, 0
	v_sub_co_u32 v14, vcc_lo, v13, v6
	v_sub_co_ci_u32_e32 v15, vcc_lo, v8, v7, vcc_lo
	v_add_nc_u32_e32 v40, 33, v20
	v_add_co_u32 v64, vcc_lo, v10, v14
	v_mad_u64_u32 v[8:9], null, s17, v12, v[1:2]
	v_mov_b32_e32 v1, v3
	v_mad_u64_u32 v[12:13], null, s16, v67, 0
	v_add_co_ci_u32_e32 v65, vcc_lo, v11, v15, vcc_lo
	s_delay_alu instid0(VALU_DEP_3) | instskip(SKIP_1) | instid1(VALU_DEP_4)
	v_mad_u64_u32 v[14:15], null, s17, v66, v[1:2]
	v_dual_mov_b32 v3, v8 :: v_dual_add_nc_u32 v42, 35, v20
	v_mov_b32_e32 v1, v13
	v_add_nc_u32_e32 v15, 0x148, v68
	v_sub_co_u32 v13, vcc_lo, v0, v6
	s_delay_alu instid0(VALU_DEP_4) | instskip(NEXT) | instid1(VALU_DEP_4)
	v_sub_co_ci_u32_e32 v3, vcc_lo, v3, v7, vcc_lo
	v_mad_u64_u32 v[8:9], null, s17, v67, v[1:2]
	s_delay_alu instid0(VALU_DEP_4) | instskip(NEXT) | instid1(VALU_DEP_4)
	v_mad_u64_u32 v[0:1], null, s16, v15, 0
	v_add_co_u32 v66, vcc_lo, v10, v13
	s_delay_alu instid0(VALU_DEP_4)
	v_add_co_ci_u32_e32 v67, vcc_lo, v11, v3, vcc_lo
	v_sub_co_u32 v69, vcc_lo, v2, v6
	v_dual_mov_b32 v71, v8 :: v_dual_add_nc_u32 v44, 49, v20
	v_sub_co_ci_u32_e32 v70, vcc_lo, v14, v7, vcc_lo
	v_mad_u64_u32 v[2:3], null, s17, v15, v[1:2]
	v_mad_u64_u32 v[8:9], null, s16, v72, 0
	;; [unrolled: 1-line block ×3, first 2 shown]
	v_add_co_u32 v68, vcc_lo, v10, v69
	v_add_co_ci_u32_e32 v69, vcc_lo, v11, v70, vcc_lo
	v_add_nc_u32_e32 v39, 32, v20
	v_dual_mov_b32 v15, v2 :: v_dual_add_nc_u32 v46, 51, v20
	v_sub_co_u32 v3, vcc_lo, v12, v6
	v_dual_mov_b32 v1, v9 :: v_dual_mov_b32 v2, v14
	v_sub_co_ci_u32_e32 v12, vcc_lo, v71, v7, vcc_lo
	v_sub_co_u32 v9, vcc_lo, v0, v6
	v_sub_co_ci_u32_e32 v74, vcc_lo, v15, v7, vcc_lo
	s_delay_alu instid0(VALU_DEP_4)
	v_mad_u64_u32 v[14:15], null, s17, v72, v[1:2]
	v_add_co_u32 v70, vcc_lo, v10, v3
	v_mad_u64_u32 v[0:1], null, s17, v73, v[2:3]
	v_add_co_ci_u32_e32 v71, vcc_lo, v11, v12, vcc_lo
	v_add_co_u32 v72, vcc_lo, v10, v9
	v_mov_b32_e32 v1, v14
	v_add_co_ci_u32_e32 v73, vcc_lo, v11, v74, vcc_lo
	v_sub_co_u32 v2, vcc_lo, v8, v6
	s_delay_alu instid0(VALU_DEP_3) | instskip(SKIP_2) | instid1(VALU_DEP_4)
	v_sub_co_ci_u32_e32 v1, vcc_lo, v1, v7, vcc_lo
	v_sub_co_u32 v3, vcc_lo, v13, v6
	v_sub_co_ci_u32_e32 v0, vcc_lo, v0, v7, vcc_lo
	v_add_co_u32 v74, vcc_lo, v10, v2
	s_delay_alu instid0(VALU_DEP_4) | instskip(NEXT) | instid1(VALU_DEP_4)
	v_add_co_ci_u32_e32 v75, vcc_lo, v11, v1, vcc_lo
	v_add_co_u32 v76, vcc_lo, v10, v3
	s_delay_alu instid0(VALU_DEP_4)
	v_add_co_ci_u32_e32 v77, vcc_lo, v11, v0, vcc_lo
	v_add_nc_u32_e32 v78, v29, v78
	s_add_i32 s7, s15, -2
	s_add_i32 s8, s18, 64
	s_lshl_b64 s[4:5], s[16:17], 8
	s_cmp_eq_u32 s7, s14
	s_cselect_b32 s13, s21, 0
	s_and_saveexec_b32 s1, s2
	s_cbranch_execz .LBB139_76
.LBB139_73:
	v_cmp_gt_i32_e32 vcc_lo, s13, v16
	s_cmp_eq_u32 s13, 0
	v_mov_b32_e32 v0, 0
	s_cselect_b32 s16, -1, 0
	s_delay_alu instid0(SALU_CYCLE_1) | instskip(NEXT) | instid1(SALU_CYCLE_1)
	s_or_b32 s17, s16, vcc_lo
	s_and_saveexec_b32 s16, s17
	s_cbranch_execz .LBB139_75
; %bb.74:
	s_mul_i32 s17, s8, s11
	s_mul_hi_u32 s18, s8, s10
	s_ashr_i32 s19, s8, 31
	s_add_i32 s17, s18, s17
	s_mul_i32 s19, s19, s10
	s_mul_i32 s18, s8, s10
	s_add_i32 s19, s17, s19
	s_delay_alu instid0(SALU_CYCLE_1) | instskip(NEXT) | instid1(SALU_CYCLE_1)
	s_lshl_b64 s[18:19], s[18:19], 2
	v_add_co_u32 v0, vcc_lo, v22, s18
	v_add_co_ci_u32_e32 v1, vcc_lo, s19, v23, vcc_lo
	flat_load_b32 v0, v[0:1]
.LBB139_75:
	s_or_b32 exec_lo, exec_lo, s16
	s_waitcnt vmcnt(0) lgkmcnt(0)
	ds_store_b32 v21, v0
.LBB139_76:                             ; =>This Inner Loop Header: Depth=1
	s_or_b32 exec_lo, exec_lo, s1
	s_cmp_eq_u32 s13, 0
	v_add_co_u32 v0, vcc_lo, v24, v19
	s_cselect_b32 s16, -1, 0
	s_cmp_lg_u32 s13, 0
	v_add_co_ci_u32_e32 v1, vcc_lo, 0, v25, vcc_lo
	s_cselect_b32 s1, -1, 0
	s_waitcnt lgkmcnt(0)
	s_and_b32 vcc_lo, exec_lo, s1
	s_barrier
	buffer_gl0_inv
	s_cbranch_vccz .LBB139_124
; %bb.77:                               ;   in Loop: Header=BB139_76 Depth=1
	v_dual_mov_b32 v79, 0 :: v_dual_mov_b32 v82, 0
	s_mov_b32 s17, exec_lo
	v_cmpx_gt_i32_e64 s13, v20
	s_cbranch_execz .LBB139_79
; %bb.78:                               ;   in Loop: Header=BB139_76 Depth=1
	flat_load_b32 v82, v[0:1]
.LBB139_79:                             ;   in Loop: Header=BB139_76 Depth=1
	s_or_b32 exec_lo, exec_lo, s17
	s_delay_alu instid0(SALU_CYCLE_1)
	s_mov_b32 s17, exec_lo
	v_cmpx_gt_i32_e64 s13, v30
	s_cbranch_execz .LBB139_81
; %bb.80:                               ;   in Loop: Header=BB139_76 Depth=1
	v_add_co_u32 v2, vcc_lo, v52, v19
	v_add_co_ci_u32_e32 v3, vcc_lo, 0, v53, vcc_lo
	flat_load_b32 v79, v[2:3]
.LBB139_81:                             ;   in Loop: Header=BB139_76 Depth=1
	s_or_b32 exec_lo, exec_lo, s17
	v_dual_mov_b32 v80, 0 :: v_dual_mov_b32 v81, 0
	s_mov_b32 s17, exec_lo
	v_cmpx_gt_i32_e64 s13, v31
	s_cbranch_execz .LBB139_83
; %bb.82:                               ;   in Loop: Header=BB139_76 Depth=1
	v_add_co_u32 v2, vcc_lo, v50, v19
	v_add_co_ci_u32_e32 v3, vcc_lo, 0, v51, vcc_lo
	flat_load_b32 v81, v[2:3]
.LBB139_83:                             ;   in Loop: Header=BB139_76 Depth=1
	s_or_b32 exec_lo, exec_lo, s17
	s_delay_alu instid0(SALU_CYCLE_1)
	s_mov_b32 s17, exec_lo
	v_cmpx_gt_i32_e64 s13, v32
	s_cbranch_execz .LBB139_85
; %bb.84:                               ;   in Loop: Header=BB139_76 Depth=1
	v_add_co_u32 v2, vcc_lo, v48, v19
	v_add_co_ci_u32_e32 v3, vcc_lo, 0, v49, vcc_lo
	flat_load_b32 v80, v[2:3]
.LBB139_85:                             ;   in Loop: Header=BB139_76 Depth=1
	s_or_b32 exec_lo, exec_lo, s17
	s_branch .LBB139_87
.LBB139_86:                             ;   in Loop: Header=BB139_76 Depth=1
	v_add_co_u32 v2, vcc_lo, v52, v19
	v_add_co_ci_u32_e32 v3, vcc_lo, 0, v53, vcc_lo
	v_add_co_u32 v6, vcc_lo, v50, v19
	v_add_co_ci_u32_e32 v7, vcc_lo, 0, v51, vcc_lo
	;; [unrolled: 2-line block ×3, first 2 shown]
	s_waitcnt vmcnt(0) lgkmcnt(0)
	flat_load_b32 v82, v[0:1]
	flat_load_b32 v79, v[2:3]
	;; [unrolled: 1-line block ×4, first 2 shown]
.LBB139_87:                             ;   in Loop: Header=BB139_76 Depth=1
	ds_load_b32 v0, v26
	ds_load_b32 v86, v33
	v_add_co_u32 v6, vcc_lo, v60, v19
	v_cndmask_b32_e64 v14, 0, 1, s1
	v_add_co_ci_u32_e32 v7, vcc_lo, 0, v61, vcc_lo
	s_and_not1_b32 vcc_lo, exec_lo, s1
	s_waitcnt vmcnt(0) lgkmcnt(1)
	v_mul_f32_e32 v1, v82, v0
	v_mul_f32_e32 v2, v79, v0
	;; [unrolled: 1-line block ×4, first 2 shown]
	ds_store_b32 v34, v1
	ds_load_b32 v85, v33 offset:4
	ds_store_b32 v34, v2 offset:268
	ds_load_b32 v84, v33 offset:8
	ds_store_b32 v34, v3 offset:536
	;; [unrolled: 2-line block ×3, first 2 shown]
	s_waitcnt lgkmcnt(0)
	s_barrier
	buffer_gl0_inv
	ds_load_2addr_b32 v[2:3], v29 offset1:1
	ds_load_2addr_b32 v[0:1], v29 offset0:2 offset1:3
	s_waitcnt lgkmcnt(0)
	s_barrier
	buffer_gl0_inv
	s_cbranch_vccnz .LBB139_125
; %bb.88:                               ;   in Loop: Header=BB139_76 Depth=1
	v_dual_mov_b32 v87, 0 :: v_dual_mov_b32 v88, 0
	s_mov_b32 s1, exec_lo
	v_cmpx_gt_i32_e64 s13, v35
	s_cbranch_execz .LBB139_90
; %bb.89:                               ;   in Loop: Header=BB139_76 Depth=1
	flat_load_b32 v88, v[6:7]
.LBB139_90:                             ;   in Loop: Header=BB139_76 Depth=1
	s_or_b32 exec_lo, exec_lo, s1
	s_delay_alu instid0(SALU_CYCLE_1)
	s_mov_b32 s1, exec_lo
	v_cmpx_gt_i32_e64 s13, v36
	s_cbranch_execz .LBB139_92
; %bb.91:                               ;   in Loop: Header=BB139_76 Depth=1
	v_add_co_u32 v8, vcc_lo, v58, v19
	v_add_co_ci_u32_e32 v9, vcc_lo, 0, v59, vcc_lo
	flat_load_b32 v87, v[8:9]
.LBB139_92:                             ;   in Loop: Header=BB139_76 Depth=1
	s_or_b32 exec_lo, exec_lo, s1
	v_dual_mov_b32 v89, 0 :: v_dual_mov_b32 v90, 0
	s_mov_b32 s1, exec_lo
	v_cmpx_gt_i32_e64 s13, v37
	s_cbranch_execz .LBB139_94
; %bb.93:                               ;   in Loop: Header=BB139_76 Depth=1
	v_add_co_u32 v8, vcc_lo, v56, v19
	v_add_co_ci_u32_e32 v9, vcc_lo, 0, v57, vcc_lo
	flat_load_b32 v90, v[8:9]
.LBB139_94:                             ;   in Loop: Header=BB139_76 Depth=1
	s_or_b32 exec_lo, exec_lo, s1
	s_delay_alu instid0(SALU_CYCLE_1)
	s_mov_b32 s1, exec_lo
	v_cmpx_gt_i32_e64 s13, v38
	s_cbranch_execz .LBB139_96
; %bb.95:                               ;   in Loop: Header=BB139_76 Depth=1
	v_add_co_u32 v8, vcc_lo, v54, v19
	v_add_co_ci_u32_e32 v9, vcc_lo, 0, v55, vcc_lo
	flat_load_b32 v89, v[8:9]
.LBB139_96:                             ;   in Loop: Header=BB139_76 Depth=1
	s_or_b32 exec_lo, exec_lo, s1
	s_branch .LBB139_98
.LBB139_97:                             ;   in Loop: Header=BB139_76 Depth=1
	v_add_co_u32 v8, vcc_lo, v58, v19
	v_add_co_ci_u32_e32 v9, vcc_lo, 0, v59, vcc_lo
	v_add_co_u32 v10, vcc_lo, v56, v19
	v_add_co_ci_u32_e32 v11, vcc_lo, 0, v57, vcc_lo
	;; [unrolled: 2-line block ×3, first 2 shown]
	s_waitcnt vmcnt(0) lgkmcnt(0)
	flat_load_b32 v88, v[6:7]
	flat_load_b32 v87, v[8:9]
	;; [unrolled: 1-line block ×4, first 2 shown]
.LBB139_98:                             ;   in Loop: Header=BB139_76 Depth=1
	ds_load_b32 v6, v26
	ds_load_b32 v91, v33 offset:64
	v_cmp_ne_u32_e32 vcc_lo, 1, v14
	v_add_co_u32 v10, s1, v68, v19
	s_delay_alu instid0(VALU_DEP_1)
	v_add_co_ci_u32_e64 v11, s1, 0, v69, s1
	s_and_b32 vcc_lo, exec_lo, vcc_lo
	s_waitcnt vmcnt(0) lgkmcnt(1)
	v_mul_f32_e32 v7, v88, v6
	v_mul_f32_e32 v8, v87, v6
	;; [unrolled: 1-line block ×4, first 2 shown]
	ds_store_b32 v34, v7
	ds_load_b32 v94, v33 offset:68
	ds_store_b32 v34, v8 offset:268
	ds_load_b32 v93, v33 offset:72
	ds_store_b32 v34, v9 offset:536
	;; [unrolled: 2-line block ×3, first 2 shown]
	s_waitcnt lgkmcnt(0)
	s_barrier
	buffer_gl0_inv
	ds_load_2addr_b32 v[8:9], v29 offset1:1
	ds_load_2addr_b32 v[6:7], v29 offset0:2 offset1:3
	s_waitcnt lgkmcnt(0)
	s_barrier
	buffer_gl0_inv
	s_cbranch_vccnz .LBB139_126
; %bb.99:                               ;   in Loop: Header=BB139_76 Depth=1
	v_dual_mov_b32 v95, 0 :: v_dual_mov_b32 v96, 0
	s_mov_b32 s1, exec_lo
	v_cmpx_gt_i32_e64 s13, v39
	s_cbranch_execz .LBB139_101
; %bb.100:                              ;   in Loop: Header=BB139_76 Depth=1
	flat_load_b32 v96, v[10:11]
.LBB139_101:                            ;   in Loop: Header=BB139_76 Depth=1
	s_or_b32 exec_lo, exec_lo, s1
	s_delay_alu instid0(SALU_CYCLE_1)
	s_mov_b32 s1, exec_lo
	v_cmpx_gt_i32_e64 s13, v40
	s_cbranch_execz .LBB139_103
; %bb.102:                              ;   in Loop: Header=BB139_76 Depth=1
	v_add_co_u32 v12, vcc_lo, v66, v19
	v_add_co_ci_u32_e32 v13, vcc_lo, 0, v67, vcc_lo
	flat_load_b32 v95, v[12:13]
.LBB139_103:                            ;   in Loop: Header=BB139_76 Depth=1
	s_or_b32 exec_lo, exec_lo, s1
	v_dual_mov_b32 v97, 0 :: v_dual_mov_b32 v98, 0
	s_mov_b32 s1, exec_lo
	v_cmpx_gt_i32_e64 s13, v41
	s_cbranch_execz .LBB139_105
; %bb.104:                              ;   in Loop: Header=BB139_76 Depth=1
	v_add_co_u32 v12, vcc_lo, v64, v19
	v_add_co_ci_u32_e32 v13, vcc_lo, 0, v65, vcc_lo
	flat_load_b32 v98, v[12:13]
.LBB139_105:                            ;   in Loop: Header=BB139_76 Depth=1
	s_or_b32 exec_lo, exec_lo, s1
	s_delay_alu instid0(SALU_CYCLE_1)
	s_mov_b32 s1, exec_lo
	v_cmpx_gt_i32_e64 s13, v42
	s_cbranch_execz .LBB139_107
; %bb.106:                              ;   in Loop: Header=BB139_76 Depth=1
	v_add_co_u32 v12, vcc_lo, v62, v19
	v_add_co_ci_u32_e32 v13, vcc_lo, 0, v63, vcc_lo
	flat_load_b32 v97, v[12:13]
.LBB139_107:                            ;   in Loop: Header=BB139_76 Depth=1
	s_or_b32 exec_lo, exec_lo, s1
	s_branch .LBB139_109
.LBB139_108:                            ;   in Loop: Header=BB139_76 Depth=1
	v_add_co_u32 v12, vcc_lo, v66, v19
	v_add_co_ci_u32_e32 v13, vcc_lo, 0, v67, vcc_lo
	s_waitcnt vmcnt(0) lgkmcnt(0)
	v_add_co_u32 v97, vcc_lo, v64, v19
	v_add_co_ci_u32_e32 v98, vcc_lo, 0, v65, vcc_lo
	v_add_co_u32 v99, vcc_lo, v62, v19
	v_add_co_ci_u32_e32 v100, vcc_lo, 0, v63, vcc_lo
	flat_load_b32 v96, v[10:11]
	flat_load_b32 v95, v[12:13]
	;; [unrolled: 1-line block ×4, first 2 shown]
.LBB139_109:                            ;   in Loop: Header=BB139_76 Depth=1
	ds_load_b32 v10, v26
	ds_load_b32 v99, v33 offset:128
	v_cmp_ne_u32_e32 vcc_lo, 1, v14
	v_add_co_u32 v14, s1, v76, v19
	s_delay_alu instid0(VALU_DEP_1)
	v_add_co_ci_u32_e64 v15, s1, 0, v77, s1
	s_and_b32 vcc_lo, exec_lo, vcc_lo
	s_waitcnt vmcnt(0) lgkmcnt(1)
	v_mul_f32_e32 v11, v96, v10
	v_mul_f32_e32 v12, v95, v10
	;; [unrolled: 1-line block ×4, first 2 shown]
	ds_store_b32 v34, v11
	ds_load_b32 v102, v33 offset:132
	ds_store_b32 v34, v12 offset:268
	ds_load_b32 v101, v33 offset:136
	ds_store_b32 v34, v13 offset:536
	;; [unrolled: 2-line block ×3, first 2 shown]
	s_waitcnt lgkmcnt(0)
	s_barrier
	buffer_gl0_inv
	ds_load_2addr_b32 v[12:13], v29 offset1:1
	ds_load_2addr_b32 v[10:11], v29 offset0:2 offset1:3
	s_waitcnt lgkmcnt(0)
	s_barrier
	buffer_gl0_inv
	s_cbranch_vccnz .LBB139_127
; %bb.110:                              ;   in Loop: Header=BB139_76 Depth=1
	v_dual_mov_b32 v103, 0 :: v_dual_mov_b32 v104, 0
	s_mov_b32 s1, exec_lo
	v_cmpx_gt_i32_e64 s13, v43
	s_cbranch_execz .LBB139_112
; %bb.111:                              ;   in Loop: Header=BB139_76 Depth=1
	flat_load_b32 v104, v[14:15]
.LBB139_112:                            ;   in Loop: Header=BB139_76 Depth=1
	s_or_b32 exec_lo, exec_lo, s1
	s_delay_alu instid0(SALU_CYCLE_1)
	s_mov_b32 s1, exec_lo
	v_cmpx_gt_i32_e64 s13, v44
	s_cbranch_execz .LBB139_114
; %bb.113:                              ;   in Loop: Header=BB139_76 Depth=1
	v_add_co_u32 v105, vcc_lo, v74, v19
	v_add_co_ci_u32_e32 v106, vcc_lo, 0, v75, vcc_lo
	flat_load_b32 v103, v[105:106]
.LBB139_114:                            ;   in Loop: Header=BB139_76 Depth=1
	s_or_b32 exec_lo, exec_lo, s1
	v_dual_mov_b32 v105, 0 :: v_dual_mov_b32 v106, 0
	s_mov_b32 s1, exec_lo
	v_cmpx_gt_i32_e64 s13, v45
	s_cbranch_execz .LBB139_116
; %bb.115:                              ;   in Loop: Header=BB139_76 Depth=1
	v_add_co_u32 v106, vcc_lo, v72, v19
	v_add_co_ci_u32_e32 v107, vcc_lo, 0, v73, vcc_lo
	flat_load_b32 v106, v[106:107]
.LBB139_116:                            ;   in Loop: Header=BB139_76 Depth=1
	s_or_b32 exec_lo, exec_lo, s1
	s_delay_alu instid0(SALU_CYCLE_1)
	s_mov_b32 s1, exec_lo
	v_cmpx_gt_i32_e64 s13, v46
	s_cbranch_execz .LBB139_118
; %bb.117:                              ;   in Loop: Header=BB139_76 Depth=1
	v_add_co_u32 v107, vcc_lo, v70, v19
	v_add_co_ci_u32_e32 v108, vcc_lo, 0, v71, vcc_lo
	flat_load_b32 v105, v[107:108]
.LBB139_118:                            ;   in Loop: Header=BB139_76 Depth=1
	s_or_b32 exec_lo, exec_lo, s1
	s_branch .LBB139_120
.LBB139_119:                            ;   in Loop: Header=BB139_76 Depth=1
	s_waitcnt vmcnt(0) lgkmcnt(0)
	v_add_co_u32 v105, vcc_lo, v74, v19
	v_add_co_ci_u32_e32 v106, vcc_lo, 0, v75, vcc_lo
	v_add_co_u32 v107, vcc_lo, v72, v19
	v_add_co_ci_u32_e32 v108, vcc_lo, 0, v73, vcc_lo
	;; [unrolled: 2-line block ×3, first 2 shown]
	flat_load_b32 v104, v[14:15]
	flat_load_b32 v103, v[105:106]
	;; [unrolled: 1-line block ×4, first 2 shown]
.LBB139_120:                            ;   in Loop: Header=BB139_76 Depth=1
	ds_load_b32 v15, v26
	ds_load_b32 v14, v33 offset:192
	v_cmp_gt_i32_e32 vcc_lo, s13, v16
	v_add_f32_e32 v12, 0, v12
	v_add_f32_e32 v8, 0, v8
	v_add_f32_e32 v2, 0, v2
	s_or_b32 s1, s16, vcc_lo
	s_delay_alu instid0(SALU_CYCLE_1) | instskip(NEXT) | instid1(VALU_DEP_2)
	s_and_b32 s13, s0, s1
	v_add_f32_e32 v8, v8, v9
	s_waitcnt vmcnt(0) lgkmcnt(1)
	v_mul_f32_e32 v107, v104, v15
	v_mul_f32_e32 v109, v103, v15
	;; [unrolled: 1-line block ×4, first 2 shown]
	ds_store_b32 v34, v107
	ds_load_b32 v108, v33 offset:196
	ds_store_b32 v34, v109 offset:268
	ds_load_b32 v107, v33 offset:200
	ds_store_b32 v34, v110 offset:536
	;; [unrolled: 2-line block ×3, first 2 shown]
	s_waitcnt lgkmcnt(0)
	s_barrier
	buffer_gl0_inv
	ds_load_2addr_b32 v[109:110], v29 offset1:1
	ds_load_2addr_b32 v[111:112], v29 offset0:2 offset1:3
	s_waitcnt lgkmcnt(0)
	s_barrier
	buffer_gl0_inv
	v_add_f32_e32 v109, 0, v109
	v_add_f32_e32 v12, v12, v13
	s_delay_alu instid0(VALU_DEP_2) | instskip(NEXT) | instid1(VALU_DEP_1)
	v_dual_add_f32 v2, v2, v3 :: v_dual_add_f32 v3, v109, v110
	v_dual_add_f32 v9, v12, v10 :: v_dual_add_f32 v0, v2, v0
	s_delay_alu instid0(VALU_DEP_2) | instskip(NEXT) | instid1(VALU_DEP_2)
	v_add_f32_e32 v2, v3, v111
	v_dual_add_f32 v3, v9, v11 :: v_dual_add_f32 v6, v8, v6
	s_delay_alu instid0(VALU_DEP_2) | instskip(NEXT) | instid1(VALU_DEP_2)
	v_dual_add_f32 v0, v0, v1 :: v_dual_add_f32 v1, v2, v112
	v_add_f32_e32 v6, v6, v7
	ds_store_2addr_b32 v78, v0, v6 offset1:16
	ds_store_2addr_b32 v78, v3, v1 offset0:32 offset1:48
	s_waitcnt lgkmcnt(0)
	s_barrier
	buffer_gl0_inv
	s_and_saveexec_b32 s1, s13
	s_cbranch_execz .LBB139_122
; %bb.121:                              ;   in Loop: Header=BB139_76 Depth=1
	ds_load_2addr_b32 v[0:1], v27 offset1:1
	ds_load_2addr_b32 v[2:3], v27 offset0:2 offset1:3
	ds_load_2addr_b32 v[6:7], v27 offset0:4 offset1:5
	;; [unrolled: 1-line block ×3, first 2 shown]
	s_waitcnt lgkmcnt(3)
	v_add_f32_e32 v0, v0, v1
	s_waitcnt lgkmcnt(2)
	s_delay_alu instid0(VALU_DEP_1) | instskip(NEXT) | instid1(VALU_DEP_1)
	v_add_f32_e32 v0, v0, v2
	v_add_f32_e32 v0, v0, v3
	s_waitcnt lgkmcnt(1)
	s_delay_alu instid0(VALU_DEP_1) | instskip(SKIP_3) | instid1(VALU_DEP_1)
	v_add_f32_e32 v2, v0, v6
	ds_load_2addr_b32 v[0:1], v27 offset0:8 offset1:9
	v_add_f32_e32 v2, v2, v7
	s_waitcnt lgkmcnt(1)
	v_add_f32_e32 v6, v2, v8
	ds_load_2addr_b32 v[2:3], v27 offset0:10 offset1:11
	v_add_f32_e32 v8, v6, v9
	ds_load_2addr_b32 v[6:7], v27 offset0:12 offset1:13
	ds_load_b32 v9, v27 offset:56
	s_waitcnt lgkmcnt(3)
	v_add_f32_e32 v0, v8, v0
	s_delay_alu instid0(VALU_DEP_1) | instskip(SKIP_1) | instid1(VALU_DEP_1)
	v_add_f32_e32 v0, v0, v1
	s_waitcnt lgkmcnt(2)
	v_add_f32_e32 v0, v0, v2
	ds_load_b32 v2, v28
	v_add_f32_e32 v0, v0, v3
	s_waitcnt lgkmcnt(2)
	s_delay_alu instid0(VALU_DEP_1) | instskip(NEXT) | instid1(VALU_DEP_1)
	v_dual_add_f32 v1, v0, v6 :: v_dual_add_nc_u32 v0, s8, v47
	v_add_f32_e32 v3, v1, v7
	s_delay_alu instid0(VALU_DEP_2) | instskip(SKIP_1) | instid1(VALU_DEP_2)
	v_ashrrev_i32_e32 v1, 31, v0
	s_waitcnt lgkmcnt(1)
	v_add_f32_e32 v3, v3, v9
	s_delay_alu instid0(VALU_DEP_2) | instskip(SKIP_1) | instid1(VALU_DEP_2)
	v_lshlrev_b64 v[0:1], 2, v[0:1]
	s_waitcnt lgkmcnt(0)
	v_add_f32_e32 v2, v3, v2
	s_delay_alu instid0(VALU_DEP_2) | instskip(NEXT) | instid1(VALU_DEP_3)
	v_add_co_u32 v0, vcc_lo, s3, v0
	v_add_co_ci_u32_e32 v1, vcc_lo, s6, v1, vcc_lo
	global_store_b32 v[0:1], v2, off
.LBB139_122:                            ;   in Loop: Header=BB139_76 Depth=1
	s_or_b32 exec_lo, exec_lo, s1
	v_fmac_f32_e32 v18, v82, v86
	v_add_co_u32 v48, vcc_lo, v48, s4
	v_add_co_ci_u32_e32 v49, vcc_lo, s5, v49, vcc_lo
	s_delay_alu instid0(VALU_DEP_3) | instskip(SKIP_2) | instid1(VALU_DEP_3)
	v_fmac_f32_e32 v18, v79, v85
	v_add_co_u32 v50, vcc_lo, v50, s4
	v_add_co_ci_u32_e32 v51, vcc_lo, s5, v51, vcc_lo
	v_fmac_f32_e32 v18, v81, v84
	v_add_co_u32 v52, vcc_lo, v52, s4
	v_add_co_ci_u32_e32 v53, vcc_lo, s5, v53, vcc_lo
	s_delay_alu instid0(VALU_DEP_3) | instskip(SKIP_2) | instid1(VALU_DEP_3)
	v_fmac_f32_e32 v18, v80, v83
	v_add_co_u32 v24, vcc_lo, v24, s4
	v_add_co_ci_u32_e32 v25, vcc_lo, s5, v25, vcc_lo
	;; [unrolled: 7-line block ×7, first 2 shown]
	v_fmac_f32_e32 v18, v106, v107
	v_add_co_u32 v74, vcc_lo, v74, s4
	v_add_co_ci_u32_e32 v75, vcc_lo, s5, v75, vcc_lo
	v_add_co_u32 v76, vcc_lo, v76, s4
	s_delay_alu instid0(VALU_DEP_4)
	v_fmac_f32_e32 v18, v105, v15
	v_add_co_ci_u32_e32 v77, vcc_lo, s5, v77, vcc_lo
	s_add_i32 s13, s14, 2
	s_add_i32 s1, s14, 1
	s_add_i32 s8, s8, 64
	s_cmp_ge_u32 s13, s15
	s_waitcnt_vscnt null, 0x0
	s_barrier
	buffer_gl0_inv
	s_cbranch_scc1 .LBB139_128
; %bb.123:                              ;   in Loop: Header=BB139_76 Depth=1
	s_mov_b32 s14, s1
	s_delay_alu instid0(SALU_CYCLE_1)
	s_cmp_eq_u32 s7, s14
	s_cselect_b32 s13, s21, 0
	s_and_saveexec_b32 s1, s2
	s_cbranch_execnz .LBB139_73
	s_branch .LBB139_76
.LBB139_124:                            ;   in Loop: Header=BB139_76 Depth=1
                                        ; implicit-def: $vgpr80
                                        ; implicit-def: $vgpr81
                                        ; implicit-def: $vgpr79
                                        ; implicit-def: $vgpr82
	s_cbranch_execnz .LBB139_86
	s_branch .LBB139_87
.LBB139_125:                            ;   in Loop: Header=BB139_76 Depth=1
                                        ; implicit-def: $vgpr89
                                        ; implicit-def: $vgpr90
                                        ; implicit-def: $vgpr87
                                        ; implicit-def: $vgpr88
	s_cbranch_execnz .LBB139_97
	s_branch .LBB139_98
.LBB139_126:                            ;   in Loop: Header=BB139_76 Depth=1
                                        ; implicit-def: $vgpr97
                                        ; implicit-def: $vgpr98
                                        ; implicit-def: $vgpr95
                                        ; implicit-def: $vgpr96
	s_cbranch_execnz .LBB139_108
	s_branch .LBB139_109
.LBB139_127:                            ;   in Loop: Header=BB139_76 Depth=1
                                        ; implicit-def: $vgpr105
                                        ; implicit-def: $vgpr106
                                        ; implicit-def: $vgpr103
                                        ; implicit-def: $vgpr104
	s_cbranch_execnz .LBB139_119
	s_branch .LBB139_120
.LBB139_128:
	v_cmp_gt_i32_e32 vcc_lo, s12, v16
	v_mad_u32_u24 v0, 0x10c, v17, v19
	s_or_b32 s0, s9, vcc_lo
	ds_store_b32 v0, v18
	s_and_b32 s0, s2, s0
	s_waitcnt lgkmcnt(0)
	s_barrier
	buffer_gl0_inv
	s_and_saveexec_b32 s1, s0
	s_cbranch_execz .LBB139_130
; %bb.129:
	ds_load_2addr_b32 v[0:1], v19 offset1:67
	ds_load_2addr_b32 v[2:3], v19 offset0:134 offset1:201
	s_waitcnt lgkmcnt(1)
	v_add_f32_e32 v0, v0, v1
	s_waitcnt lgkmcnt(0)
	s_delay_alu instid0(VALU_DEP_1) | instskip(SKIP_1) | instid1(VALU_DEP_2)
	v_add_f32_e32 v2, v0, v2
	v_lshlrev_b64 v[0:1], 2, v[4:5]
	v_add_f32_e32 v2, v2, v3
	s_delay_alu instid0(VALU_DEP_2) | instskip(NEXT) | instid1(VALU_DEP_3)
	v_add_co_u32 v0, vcc_lo, s3, v0
	v_add_co_ci_u32_e32 v1, vcc_lo, s6, v1, vcc_lo
	global_store_b32 v[0:1], v2, off
.LBB139_130:
	s_nop 0
	s_sendmsg sendmsg(MSG_DEALLOC_VGPRS)
	s_endpgm
	.section	.rodata,"a",@progbits
	.p2align	6, 0x0
	.amdhsa_kernel _ZL26rocblas_hemvn_kernel_upperILb0ELi64ELi4ELi33ELi32ELi16ElfPKPKfPfEviT6_lT7_lT5_lS6_lS7_lS5_lT8_i
		.amdhsa_group_segment_fixed_size 4800
		.amdhsa_private_segment_fixed_size 0
		.amdhsa_kernarg_size 368
		.amdhsa_user_sgpr_count 14
		.amdhsa_user_sgpr_dispatch_ptr 0
		.amdhsa_user_sgpr_queue_ptr 0
		.amdhsa_user_sgpr_kernarg_segment_ptr 1
		.amdhsa_user_sgpr_dispatch_id 0
		.amdhsa_user_sgpr_private_segment_size 0
		.amdhsa_wavefront_size32 1
		.amdhsa_uses_dynamic_stack 0
		.amdhsa_enable_private_segment 0
		.amdhsa_system_sgpr_workgroup_id_x 1
		.amdhsa_system_sgpr_workgroup_id_y 0
		.amdhsa_system_sgpr_workgroup_id_z 1
		.amdhsa_system_sgpr_workgroup_info 0
		.amdhsa_system_vgpr_workitem_id 1
		.amdhsa_next_free_vgpr 113
		.amdhsa_next_free_sgpr 32
		.amdhsa_reserve_vcc 1
		.amdhsa_float_round_mode_32 0
		.amdhsa_float_round_mode_16_64 0
		.amdhsa_float_denorm_mode_32 3
		.amdhsa_float_denorm_mode_16_64 3
		.amdhsa_dx10_clamp 1
		.amdhsa_ieee_mode 1
		.amdhsa_fp16_overflow 0
		.amdhsa_workgroup_processor_mode 1
		.amdhsa_memory_ordered 1
		.amdhsa_forward_progress 0
		.amdhsa_shared_vgpr_count 0
		.amdhsa_exception_fp_ieee_invalid_op 0
		.amdhsa_exception_fp_denorm_src 0
		.amdhsa_exception_fp_ieee_div_zero 0
		.amdhsa_exception_fp_ieee_overflow 0
		.amdhsa_exception_fp_ieee_underflow 0
		.amdhsa_exception_fp_ieee_inexact 0
		.amdhsa_exception_int_div_zero 0
	.end_amdhsa_kernel
	.section	.text._ZL26rocblas_hemvn_kernel_upperILb0ELi64ELi4ELi33ELi32ELi16ElfPKPKfPfEviT6_lT7_lT5_lS6_lS7_lS5_lT8_i,"axG",@progbits,_ZL26rocblas_hemvn_kernel_upperILb0ELi64ELi4ELi33ELi32ELi16ElfPKPKfPfEviT6_lT7_lT5_lS6_lS7_lS5_lT8_i,comdat
.Lfunc_end139:
	.size	_ZL26rocblas_hemvn_kernel_upperILb0ELi64ELi4ELi33ELi32ELi16ElfPKPKfPfEviT6_lT7_lT5_lS6_lS7_lS5_lT8_i, .Lfunc_end139-_ZL26rocblas_hemvn_kernel_upperILb0ELi64ELi4ELi33ELi32ELi16ElfPKPKfPfEviT6_lT7_lT5_lS6_lS7_lS5_lT8_i
                                        ; -- End function
	.section	.AMDGPU.csdata,"",@progbits
; Kernel info:
; codeLenInByte = 8056
; NumSgprs: 34
; NumVgprs: 113
; ScratchSize: 0
; MemoryBound: 0
; FloatMode: 240
; IeeeMode: 1
; LDSByteSize: 4800 bytes/workgroup (compile time only)
; SGPRBlocks: 4
; VGPRBlocks: 14
; NumSGPRsForWavesPerEU: 34
; NumVGPRsForWavesPerEU: 113
; Occupancy: 12
; WaveLimiterHint : 1
; COMPUTE_PGM_RSRC2:SCRATCH_EN: 0
; COMPUTE_PGM_RSRC2:USER_SGPR: 14
; COMPUTE_PGM_RSRC2:TRAP_HANDLER: 0
; COMPUTE_PGM_RSRC2:TGID_X_EN: 1
; COMPUTE_PGM_RSRC2:TGID_Y_EN: 0
; COMPUTE_PGM_RSRC2:TGID_Z_EN: 1
; COMPUTE_PGM_RSRC2:TIDIG_COMP_CNT: 1
	.section	.text._ZL36rocblas_hemvn_kernel_upper_block_sumILi64ElfPKPffEviT1_lS3_lT2_lT0_lPT3_i,"axG",@progbits,_ZL36rocblas_hemvn_kernel_upper_block_sumILi64ElfPKPffEviT1_lS3_lT2_lT0_lPT3_i,comdat
	.globl	_ZL36rocblas_hemvn_kernel_upper_block_sumILi64ElfPKPffEviT1_lS3_lT2_lT0_lPT3_i ; -- Begin function _ZL36rocblas_hemvn_kernel_upper_block_sumILi64ElfPKPffEviT1_lS3_lT2_lT0_lPT3_i
	.p2align	8
	.type	_ZL36rocblas_hemvn_kernel_upper_block_sumILi64ElfPKPffEviT1_lS3_lT2_lT0_lPT3_i,@function
_ZL36rocblas_hemvn_kernel_upper_block_sumILi64ElfPKPffEviT1_lS3_lT2_lT0_lPT3_i: ; @_ZL36rocblas_hemvn_kernel_upper_block_sumILi64ElfPKPffEviT1_lS3_lT2_lT0_lPT3_i
; %bb.0:
	s_clause 0x1
	s_load_b64 s[10:11], s[0:1], 0x0
	s_load_b32 s12, s[0:1], 0x10
	s_mov_b32 s9, 0
	s_waitcnt lgkmcnt(0)
	v_cmp_eq_f32_e64 s2, s11, 0
	v_cmp_eq_f32_e64 s3, s12, 1.0
	s_delay_alu instid0(VALU_DEP_1) | instskip(NEXT) | instid1(SALU_CYCLE_1)
	s_and_b32 s2, s2, s3
	s_and_b32 vcc_lo, exec_lo, s2
	s_cbranch_vccnz .LBB140_19
; %bb.1:
	s_clause 0x1
	s_load_b64 s[2:3], s[0:1], 0x20
	s_load_b128 s[4:7], s[0:1], 0x28
	s_mov_b32 s8, s15
	v_lshl_or_b32 v0, s14, 6, v0
	s_lshl_b64 s[16:17], s[8:9], 3
	s_waitcnt lgkmcnt(0)
	s_add_u32 s2, s2, s16
	s_addc_u32 s3, s3, s17
	s_lshl_b64 s[4:5], s[4:5], 2
	s_load_b64 s[16:17], s[2:3], 0x0
	v_cmp_neq_f32_e64 s2, s11, 0
	s_waitcnt lgkmcnt(0)
	s_add_u32 s3, s16, s4
	s_addc_u32 s4, s17, s5
	s_delay_alu instid0(VALU_DEP_1)
	s_and_b32 vcc_lo, exec_lo, s2
	v_cmp_gt_i32_e64 s2, s10, v0
	s_cbranch_vccnz .LBB140_6
; %bb.2:
	s_mov_b32 s5, 0
                                        ; implicit-def: $vgpr3
                                        ; implicit-def: $vgpr1_vgpr2
	s_delay_alu instid0(VALU_DEP_1)
	s_and_saveexec_b32 s13, s2
	s_cbranch_execz .LBB140_7
; %bb.3:
	v_ashrrev_i32_e32 v3, 31, v0
	v_mul_lo_u32 v4, v0, s7
	v_mad_u64_u32 v[1:2], null, v0, s6, 0
	v_cmp_eq_f32_e64 s2, s12, 0
	s_delay_alu instid0(VALU_DEP_4) | instskip(NEXT) | instid1(VALU_DEP_2)
	v_mul_lo_u32 v3, v3, s6
	s_and_b32 vcc_lo, exec_lo, s2
	s_delay_alu instid0(VALU_DEP_1)
	v_add3_u32 v2, v2, v4, v3
	v_mov_b32_e32 v3, 0
	s_cbranch_vccnz .LBB140_5
; %bb.4:
	s_delay_alu instid0(VALU_DEP_2) | instskip(NEXT) | instid1(VALU_DEP_1)
	v_lshlrev_b64 v[3:4], 2, v[1:2]
	v_add_co_u32 v3, vcc_lo, s3, v3
	s_delay_alu instid0(VALU_DEP_2)
	v_add_co_ci_u32_e32 v4, vcc_lo, s4, v4, vcc_lo
	global_load_b32 v3, v[3:4], off
	s_waitcnt vmcnt(0)
	v_mul_f32_e32 v3, s12, v3
.LBB140_5:
	s_mov_b32 s9, exec_lo
	s_or_b32 exec_lo, exec_lo, s13
	s_delay_alu instid0(SALU_CYCLE_1)
	s_and_b32 vcc_lo, exec_lo, s5
	s_cbranch_vccnz .LBB140_8
	s_branch .LBB140_17
.LBB140_6:
                                        ; implicit-def: $vgpr3
                                        ; implicit-def: $vgpr1_vgpr2
	s_cbranch_execnz .LBB140_8
	s_branch .LBB140_17
.LBB140_7:
	s_or_b32 exec_lo, exec_lo, s13
	s_delay_alu instid0(SALU_CYCLE_1)
	s_and_b32 vcc_lo, exec_lo, s5
	s_cbranch_vccz .LBB140_17
.LBB140_8:
	s_mov_b32 s2, exec_lo
                                        ; implicit-def: $vgpr3
                                        ; implicit-def: $vgpr1_vgpr2
	v_cmpx_gt_i32_e64 s10, v0
	s_cbranch_execz .LBB140_16
; %bb.9:
	v_ashrrev_i32_e32 v1, 31, v0
	v_mov_b32_e32 v4, 0
	s_cmp_lt_i32 s14, 0
	s_cbranch_scc1 .LBB140_12
; %bb.10:
	s_clause 0x1
	s_load_b32 s5, s[0:1], 0x50
	s_load_b64 s[0:1], s[0:1], 0x40
	s_ashr_i32 s17, s10, 31
	s_mul_hi_u32 s13, s10, s8
	s_mul_i32 s15, s17, s8
	s_mul_i32 s8, s10, s8
	s_add_i32 s13, s13, s15
	v_lshlrev_b64 v[2:3], 2, v[0:1]
	v_mov_b32_e32 v4, 0
	s_mov_b32 s16, s10
	s_waitcnt lgkmcnt(0)
	s_mul_i32 s13, s13, s5
	s_mul_hi_u32 s15, s8, s5
	s_mul_i32 s18, s8, s5
	s_add_i32 s19, s15, s13
	s_delay_alu instid0(SALU_CYCLE_1) | instskip(NEXT) | instid1(SALU_CYCLE_1)
	s_lshl_b64 s[18:19], s[18:19], 2
	s_add_u32 s0, s0, s18
	s_addc_u32 s1, s1, s19
	v_add_co_u32 v2, vcc_lo, s0, v2
	v_add_co_ci_u32_e32 v3, vcc_lo, s1, v3, vcc_lo
	s_add_i32 s5, s14, 1
	s_lshl_b64 s[0:1], s[16:17], 2
.LBB140_11:                             ; =>This Inner Loop Header: Depth=1
	global_load_b32 v5, v[2:3], off
	v_add_co_u32 v2, vcc_lo, v2, s0
	v_add_co_ci_u32_e32 v3, vcc_lo, s1, v3, vcc_lo
	s_add_i32 s5, s5, -1
	s_delay_alu instid0(SALU_CYCLE_1)
	s_cmp_eq_u32 s5, 0
	s_waitcnt vmcnt(0)
	v_add_f32_e32 v4, v4, v5
	s_cbranch_scc0 .LBB140_11
.LBB140_12:
	s_delay_alu instid0(VALU_DEP_2) | instskip(SKIP_2) | instid1(VALU_DEP_1)
	v_mul_lo_u32 v5, v1, s6
	v_mul_lo_u32 v6, v0, s7
	v_cmp_eq_f32_e64 s0, s12, 0
	s_and_b32 vcc_lo, exec_lo, s0
	s_mov_b32 s0, 0
	s_cbranch_vccz .LBB140_20
; %bb.13:
	v_mad_u64_u32 v[1:2], null, v0, s6, 0
	v_mul_f32_e32 v3, s11, v4
	s_delay_alu instid0(VALU_DEP_2)
	v_add3_u32 v2, v2, v6, v5
	s_and_not1_b32 vcc_lo, exec_lo, s0
	s_cbranch_vccnz .LBB140_15
.LBB140_14:
	v_mad_u64_u32 v[1:2], null, v0, s6, 0
	s_delay_alu instid0(VALU_DEP_1) | instskip(NEXT) | instid1(VALU_DEP_1)
	v_add3_u32 v2, v2, v6, v5
	v_lshlrev_b64 v[5:6], 2, v[1:2]
	s_delay_alu instid0(VALU_DEP_1) | instskip(NEXT) | instid1(VALU_DEP_2)
	v_add_co_u32 v5, vcc_lo, s3, v5
	v_add_co_ci_u32_e32 v6, vcc_lo, s4, v6, vcc_lo
	global_load_b32 v0, v[5:6], off
	s_waitcnt vmcnt(0)
	v_mul_f32_e32 v3, s12, v0
	s_delay_alu instid0(VALU_DEP_1)
	v_fmac_f32_e32 v3, s11, v4
.LBB140_15:
	s_or_b32 s9, s9, exec_lo
.LBB140_16:
	s_or_b32 exec_lo, exec_lo, s2
.LBB140_17:
	s_and_saveexec_b32 s0, s9
	s_cbranch_execz .LBB140_19
; %bb.18:
	v_lshlrev_b64 v[0:1], 2, v[1:2]
	s_delay_alu instid0(VALU_DEP_1) | instskip(NEXT) | instid1(VALU_DEP_2)
	v_add_co_u32 v0, vcc_lo, s3, v0
	v_add_co_ci_u32_e32 v1, vcc_lo, s4, v1, vcc_lo
	global_store_b32 v[0:1], v3, off
.LBB140_19:
	s_nop 0
	s_sendmsg sendmsg(MSG_DEALLOC_VGPRS)
	s_endpgm
.LBB140_20:
                                        ; implicit-def: $vgpr3
                                        ; implicit-def: $vgpr1_vgpr2
	s_branch .LBB140_14
	.section	.rodata,"a",@progbits
	.p2align	6, 0x0
	.amdhsa_kernel _ZL36rocblas_hemvn_kernel_upper_block_sumILi64ElfPKPffEviT1_lS3_lT2_lT0_lPT3_i
		.amdhsa_group_segment_fixed_size 0
		.amdhsa_private_segment_fixed_size 0
		.amdhsa_kernarg_size 336
		.amdhsa_user_sgpr_count 14
		.amdhsa_user_sgpr_dispatch_ptr 0
		.amdhsa_user_sgpr_queue_ptr 0
		.amdhsa_user_sgpr_kernarg_segment_ptr 1
		.amdhsa_user_sgpr_dispatch_id 0
		.amdhsa_user_sgpr_private_segment_size 0
		.amdhsa_wavefront_size32 1
		.amdhsa_uses_dynamic_stack 0
		.amdhsa_enable_private_segment 0
		.amdhsa_system_sgpr_workgroup_id_x 1
		.amdhsa_system_sgpr_workgroup_id_y 0
		.amdhsa_system_sgpr_workgroup_id_z 1
		.amdhsa_system_sgpr_workgroup_info 0
		.amdhsa_system_vgpr_workitem_id 0
		.amdhsa_next_free_vgpr 7
		.amdhsa_next_free_sgpr 20
		.amdhsa_reserve_vcc 1
		.amdhsa_float_round_mode_32 0
		.amdhsa_float_round_mode_16_64 0
		.amdhsa_float_denorm_mode_32 3
		.amdhsa_float_denorm_mode_16_64 3
		.amdhsa_dx10_clamp 1
		.amdhsa_ieee_mode 1
		.amdhsa_fp16_overflow 0
		.amdhsa_workgroup_processor_mode 1
		.amdhsa_memory_ordered 1
		.amdhsa_forward_progress 0
		.amdhsa_shared_vgpr_count 0
		.amdhsa_exception_fp_ieee_invalid_op 0
		.amdhsa_exception_fp_denorm_src 0
		.amdhsa_exception_fp_ieee_div_zero 0
		.amdhsa_exception_fp_ieee_overflow 0
		.amdhsa_exception_fp_ieee_underflow 0
		.amdhsa_exception_fp_ieee_inexact 0
		.amdhsa_exception_int_div_zero 0
	.end_amdhsa_kernel
	.section	.text._ZL36rocblas_hemvn_kernel_upper_block_sumILi64ElfPKPffEviT1_lS3_lT2_lT0_lPT3_i,"axG",@progbits,_ZL36rocblas_hemvn_kernel_upper_block_sumILi64ElfPKPffEviT1_lS3_lT2_lT0_lPT3_i,comdat
.Lfunc_end140:
	.size	_ZL36rocblas_hemvn_kernel_upper_block_sumILi64ElfPKPffEviT1_lS3_lT2_lT0_lPT3_i, .Lfunc_end140-_ZL36rocblas_hemvn_kernel_upper_block_sumILi64ElfPKPffEviT1_lS3_lT2_lT0_lPT3_i
                                        ; -- End function
	.section	.AMDGPU.csdata,"",@progbits
; Kernel info:
; codeLenInByte = 724
; NumSgprs: 22
; NumVgprs: 7
; ScratchSize: 0
; MemoryBound: 0
; FloatMode: 240
; IeeeMode: 1
; LDSByteSize: 0 bytes/workgroup (compile time only)
; SGPRBlocks: 2
; VGPRBlocks: 0
; NumSGPRsForWavesPerEU: 22
; NumVGPRsForWavesPerEU: 7
; Occupancy: 16
; WaveLimiterHint : 1
; COMPUTE_PGM_RSRC2:SCRATCH_EN: 0
; COMPUTE_PGM_RSRC2:USER_SGPR: 14
; COMPUTE_PGM_RSRC2:TRAP_HANDLER: 0
; COMPUTE_PGM_RSRC2:TGID_X_EN: 1
; COMPUTE_PGM_RSRC2:TGID_Y_EN: 0
; COMPUTE_PGM_RSRC2:TGID_Z_EN: 1
; COMPUTE_PGM_RSRC2:TIDIG_COMP_CNT: 0
	.section	.text._ZL26rocblas_hemvn_kernel_upperILb0ELi64ELi4ELi33ELi32ELi16EifPKPKfPfEviT6_lT7_lT5_lS6_lS7_lS5_lT8_i,"axG",@progbits,_ZL26rocblas_hemvn_kernel_upperILb0ELi64ELi4ELi33ELi32ELi16EifPKPKfPfEviT6_lT7_lT5_lS6_lS7_lS5_lT8_i,comdat
	.globl	_ZL26rocblas_hemvn_kernel_upperILb0ELi64ELi4ELi33ELi32ELi16EifPKPKfPfEviT6_lT7_lT5_lS6_lS7_lS5_lT8_i ; -- Begin function _ZL26rocblas_hemvn_kernel_upperILb0ELi64ELi4ELi33ELi32ELi16EifPKPKfPfEviT6_lT7_lT5_lS6_lS7_lS5_lT8_i
	.p2align	8
	.type	_ZL26rocblas_hemvn_kernel_upperILb0ELi64ELi4ELi33ELi32ELi16EifPKPKfPfEviT6_lT7_lT5_lS6_lS7_lS5_lT8_i,@function
_ZL26rocblas_hemvn_kernel_upperILb0ELi64ELi4ELi33ELi32ELi16EifPKPKfPfEviT6_lT7_lT5_lS6_lS7_lS5_lT8_i: ; @_ZL26rocblas_hemvn_kernel_upperILb0ELi64ELi4ELi33ELi32ELi16EifPKPKfPfEviT6_lT7_lT5_lS6_lS7_lS5_lT8_i
; %bb.0:
	s_load_b64 s[4:5], s[0:1], 0x7c
	s_add_u32 s2, s0, 0x70
	s_addc_u32 s3, s1, 0
	s_waitcnt lgkmcnt(0)
	s_lshr_b32 s6, s4, 16
	s_and_b32 s4, s4, 0xffff
	s_and_b32 s5, s5, 0xffff
	s_mul_i32 s4, s6, s4
	s_delay_alu instid0(SALU_CYCLE_1) | instskip(NEXT) | instid1(SALU_CYCLE_1)
	s_mul_i32 s4, s4, s5
	s_cmpk_lg_i32 s4, 0x100
	s_cbranch_scc1 .LBB141_130
; %bb.1:
	s_clause 0x1
	s_load_b64 s[20:21], s[0:1], 0x0
	s_load_b32 s5, s[0:1], 0x50
	s_waitcnt lgkmcnt(0)
	v_cmp_eq_f32_e64 s4, s21, 0
	v_cmp_eq_f32_e64 s5, s5, 1.0
	s_delay_alu instid0(VALU_DEP_1) | instskip(NEXT) | instid1(SALU_CYCLE_1)
	s_and_b32 s5, s4, s5
	s_and_b32 vcc_lo, exec_lo, s5
	s_cbranch_vccnz .LBB141_130
; %bb.2:
	v_cmp_neq_f32_e64 s8, s21, 0
	s_mov_b32 s18, s15
	s_mov_b64 s[6:7], 0
	s_and_b32 vcc_lo, exec_lo, s4
	s_mov_b64 s[4:5], 0
	s_cbranch_vccnz .LBB141_4
; %bb.3:
	s_load_b128 s[24:27], s[0:1], 0x10
	s_mov_b32 s19, 0
	s_delay_alu instid0(SALU_CYCLE_1)
	s_lshl_b64 s[4:5], s[18:19], 3
	s_waitcnt lgkmcnt(0)
	s_add_u32 s4, s24, s4
	s_addc_u32 s5, s25, s5
	s_lshl_b64 s[10:11], s[26:27], 2
	s_load_b64 s[4:5], s[4:5], 0x0
	s_waitcnt lgkmcnt(0)
	s_add_u32 s4, s4, s10
	s_addc_u32 s5, s5, s11
.LBB141_4:
	v_cndmask_b32_e64 v1, 0, 1, s8
	s_and_not1_b32 vcc_lo, exec_lo, s8
	s_cbranch_vccnz .LBB141_6
; %bb.5:
	s_load_b128 s[8:11], s[0:1], 0x30
	s_mov_b32 s19, 0
	s_delay_alu instid0(SALU_CYCLE_1)
	s_lshl_b64 s[6:7], s[18:19], 3
	s_waitcnt lgkmcnt(0)
	s_add_u32 s6, s8, s6
	s_addc_u32 s7, s9, s7
	s_lshl_b64 s[8:9], s[10:11], 2
	s_load_b64 s[6:7], s[6:7], 0x0
	s_waitcnt lgkmcnt(0)
	s_add_u32 s6, s6, s8
	s_addc_u32 s7, s7, s9
.LBB141_6:
	s_delay_alu instid0(VALU_DEP_1)
	v_cmp_ne_u32_e32 vcc_lo, 1, v1
	s_cbranch_vccnz .LBB141_130
; %bb.7:
	s_load_b32 s19, s[0:1], 0x40
	v_and_b32_e32 v5, 0x3ff, v0
	s_lshl_b32 s16, s14, 6
	s_load_b32 s15, s[2:3], 0x0
	s_ashr_i32 s9, s20, 31
	v_bfe_u32 v18, v0, 10, 10
	v_add_nc_u32_e32 v4, s16, v5
	s_lshr_b32 s2, s9, 26
	s_delay_alu instid0(SALU_CYCLE_1) | instskip(NEXT) | instid1(SALU_CYCLE_1)
	s_add_i32 s2, s20, s2
	s_and_not1_b32 s2, s2, 63
	s_delay_alu instid0(SALU_CYCLE_1) | instskip(SKIP_4) | instid1(SALU_CYCLE_1)
	s_sub_i32 s28, s20, s2
	v_cmp_eq_u32_e64 s2, 0, v18
	s_waitcnt lgkmcnt(0)
	v_mul_lo_u32 v1, v4, s19
	s_add_i32 s3, s15, -1
	s_cmp_eq_u32 s14, s3
	s_cselect_b32 s10, s28, 0
	s_delay_alu instid0(VALU_DEP_1) | instskip(NEXT) | instid1(VALU_DEP_1)
	v_ashrrev_i32_e32 v2, 31, v1
	v_lshlrev_b64 v[1:2], 2, v[1:2]
	s_delay_alu instid0(VALU_DEP_1) | instskip(NEXT) | instid1(VALU_DEP_2)
	v_add_co_u32 v8, vcc_lo, s6, v1
	v_add_co_ci_u32_e32 v9, vcc_lo, s7, v2, vcc_lo
	s_and_saveexec_b32 s3, s2
	s_cbranch_execz .LBB141_11
; %bb.8:
	v_cmp_gt_i32_e32 vcc_lo, s10, v5
	s_cmp_eq_u32 s10, 0
	v_mov_b32_e32 v0, 0
	s_cselect_b32 s6, -1, 0
	s_delay_alu instid0(SALU_CYCLE_1) | instskip(NEXT) | instid1(SALU_CYCLE_1)
	s_or_b32 s7, s6, vcc_lo
	s_and_saveexec_b32 s6, s7
	s_cbranch_execz .LBB141_10
; %bb.9:
	flat_load_b32 v0, v[8:9]
.LBB141_10:
	s_or_b32 exec_lo, exec_lo, s6
	v_lshlrev_b32_e32 v1, 2, v5
	s_waitcnt vmcnt(0) lgkmcnt(0)
	ds_store_b32 v1, v0 offset:4544
.LBB141_11:
	s_or_b32 exec_lo, exec_lo, s3
	s_load_b32 s12, s[0:1], 0x20
	v_lshl_add_u32 v14, v18, 6, v5
	v_and_b32_e32 v0, 31, v5
	s_ashr_i32 s17, s16, 31
	s_delay_alu instid0(SALU_CYCLE_1) | instskip(NEXT) | instid1(VALU_DEP_2)
	s_lshl_b64 s[6:7], s[16:17], 2
	v_lshrrev_b32_e32 v3, 5, v14
	s_add_u32 s3, s4, s6
	s_addc_u32 s6, s5, s7
	v_lshlrev_b32_e32 v15, 2, v0
	s_waitcnt lgkmcnt(0)
	v_mad_u64_u32 v[1:2], null, v3, s12, v[0:1]
	s_mul_i32 s4, s16, s12
	s_delay_alu instid0(SALU_CYCLE_1) | instskip(NEXT) | instid1(SALU_CYCLE_1)
	s_ashr_i32 s5, s4, 31
	s_lshl_b64 s[4:5], s[4:5], 2
	s_delay_alu instid0(SALU_CYCLE_1) | instskip(NEXT) | instid1(VALU_DEP_1)
	s_add_u32 s4, s4, s3
	v_ashrrev_i32_e32 v2, 31, v1
	s_addc_u32 s5, s5, s6
	s_cmp_eq_u32 s10, 0
	v_cmp_gt_i32_e64 s3, s10, v0
	s_cselect_b32 s29, -1, 0
	v_lshlrev_b64 v[6:7], 2, v[1:2]
	s_cmp_lg_u32 s10, 0
	s_cselect_b32 s17, -1, 0
	s_delay_alu instid0(SALU_CYCLE_1) | instskip(NEXT) | instid1(VALU_DEP_1)
	s_and_b32 vcc_lo, exec_lo, s17
	v_add_co_u32 v1, s4, s4, v6
	s_delay_alu instid0(VALU_DEP_1)
	v_add_co_ci_u32_e64 v2, s4, s5, v7, s4
	s_cbranch_vccz .LBB141_21
; %bb.12:
	s_delay_alu instid0(VALU_DEP_2) | instskip(SKIP_1) | instid1(VALU_DEP_2)
	v_sub_co_u32 v10, vcc_lo, v1, v15
	s_ashr_i32 s11, s10, 31
	v_subrev_co_ci_u32_e32 v11, vcc_lo, 0, v2, vcc_lo
	s_lshl_b64 s[4:5], s[10:11], 2
	v_dual_mov_b32 v16, 0 :: v_dual_mov_b32 v13, 0
	v_add_co_u32 v10, vcc_lo, v10, s4
	s_delay_alu instid0(VALU_DEP_3) | instskip(SKIP_1) | instid1(VALU_DEP_2)
	v_add_co_ci_u32_e32 v11, vcc_lo, s5, v11, vcc_lo
	s_mov_b32 s6, exec_lo
	v_add_co_u32 v10, vcc_lo, v10, -4
	s_delay_alu instid0(VALU_DEP_2) | instskip(NEXT) | instid1(VALU_DEP_2)
	v_add_co_ci_u32_e32 v11, vcc_lo, -1, v11, vcc_lo
	v_cndmask_b32_e64 v10, v10, v1, s3
	s_delay_alu instid0(VALU_DEP_2)
	v_cndmask_b32_e64 v11, v11, v2, s3
	v_cmpx_gt_i32_e64 s10, v3
	s_cbranch_execz .LBB141_14
; %bb.13:
	flat_load_b32 v13, v[10:11]
.LBB141_14:
	s_or_b32 exec_lo, exec_lo, s6
	v_mul_u32_u24_e32 v12, 33, v3
	v_add_nc_u32_e32 v17, 8, v3
	s_mov_b32 s6, exec_lo
	s_delay_alu instid0(VALU_DEP_2)
	v_add_lshl_u32 v12, v12, v0, 2
	s_waitcnt vmcnt(0) lgkmcnt(0)
	ds_store_b32 v12, v13
	v_cmpx_gt_i32_e64 s10, v17
	s_cbranch_execz .LBB141_16
; %bb.15:
	s_lshl_b32 s22, s12, 3
	s_delay_alu instid0(SALU_CYCLE_1) | instskip(NEXT) | instid1(SALU_CYCLE_1)
	s_ashr_i32 s23, s22, 31
	s_lshl_b64 s[22:23], s[22:23], 2
	s_delay_alu instid0(SALU_CYCLE_1)
	v_add_co_u32 v16, vcc_lo, v10, s22
	v_add_co_ci_u32_e32 v17, vcc_lo, s23, v11, vcc_lo
	flat_load_b32 v16, v[16:17]
.LBB141_16:
	s_or_b32 exec_lo, exec_lo, s6
	v_add_nc_u32_e32 v17, 16, v3
	v_mov_b32_e32 v13, 0
	s_waitcnt vmcnt(0) lgkmcnt(0)
	ds_store_b32 v12, v16 offset:1056
	v_cmp_gt_i32_e32 vcc_lo, s10, v17
	v_mov_b32_e32 v17, 0
	s_and_saveexec_b32 s6, vcc_lo
	s_cbranch_execz .LBB141_18
; %bb.17:
	s_lshl_b32 s22, s12, 4
	s_delay_alu instid0(SALU_CYCLE_1) | instskip(NEXT) | instid1(SALU_CYCLE_1)
	s_ashr_i32 s23, s22, 31
	s_lshl_b64 s[22:23], s[22:23], 2
	s_delay_alu instid0(SALU_CYCLE_1)
	v_add_co_u32 v16, vcc_lo, v10, s22
	v_add_co_ci_u32_e32 v17, vcc_lo, s23, v11, vcc_lo
	flat_load_b32 v17, v[16:17]
.LBB141_18:
	s_or_b32 exec_lo, exec_lo, s6
	v_add_nc_u32_e32 v16, 24, v3
	s_mov_b32 s6, exec_lo
	s_waitcnt vmcnt(0) lgkmcnt(0)
	ds_store_b32 v12, v17 offset:2112
	v_cmpx_gt_i32_e64 s10, v16
	s_cbranch_execz .LBB141_20
; %bb.19:
	s_mul_i32 s22, s12, 24
	s_delay_alu instid0(SALU_CYCLE_1) | instskip(NEXT) | instid1(SALU_CYCLE_1)
	s_ashr_i32 s23, s22, 31
	s_lshl_b64 s[22:23], s[22:23], 2
	s_delay_alu instid0(SALU_CYCLE_1)
	v_add_co_u32 v16, vcc_lo, v10, s22
	v_add_co_ci_u32_e32 v17, vcc_lo, s23, v11, vcc_lo
	flat_load_b32 v13, v[16:17]
.LBB141_20:
	s_or_b32 exec_lo, exec_lo, s6
	v_add_co_u32 v10, vcc_lo, v10, v15
	v_add_co_ci_u32_e32 v11, vcc_lo, 0, v11, vcc_lo
	s_waitcnt vmcnt(0) lgkmcnt(0)
	ds_store_b32 v12, v13 offset:3168
	v_sub_co_u32 v10, vcc_lo, v10, s4
	v_subrev_co_ci_u32_e32 v11, vcc_lo, s5, v11, vcc_lo
	s_delay_alu instid0(VALU_DEP_2) | instskip(NEXT) | instid1(VALU_DEP_2)
	v_add_co_u32 v10, vcc_lo, v10, 4
	v_add_co_ci_u32_e32 v11, vcc_lo, 0, v11, vcc_lo
	s_delay_alu instid0(VALU_DEP_2) | instskip(NEXT) | instid1(VALU_DEP_2)
	v_cndmask_b32_e64 v10, v10, v1, s3
	v_cndmask_b32_e64 v11, v11, v2, s3
	v_mul_u32_u24_e32 v20, 33, v3
	s_branch .LBB141_23
.LBB141_21:
                                        ; implicit-def: $vgpr10_vgpr11
	v_mul_u32_u24_e32 v20, 33, v3
	s_cbranch_execz .LBB141_23
; %bb.22:
	flat_load_b32 v12, v[1:2]
	s_lshl_b32 s4, s12, 3
	v_add_lshl_u32 v13, v20, v0, 2
	s_ashr_i32 s5, s4, 31
	s_ashr_i32 s13, s12, 31
	s_lshl_b64 s[4:5], s[4:5], 2
	s_delay_alu instid0(SALU_CYCLE_1)
	v_add_co_u32 v10, vcc_lo, v1, s4
	v_add_co_ci_u32_e32 v11, vcc_lo, s5, v2, vcc_lo
	s_lshl_b64 s[4:5], s[12:13], 5
	s_waitcnt vmcnt(0) lgkmcnt(0)
	ds_store_b32 v13, v12
	flat_load_b32 v12, v[10:11]
	v_add_co_u32 v10, vcc_lo, v10, s4
	v_add_co_ci_u32_e32 v11, vcc_lo, s5, v11, vcc_lo
	s_waitcnt vmcnt(0) lgkmcnt(0)
	ds_store_b32 v13, v12 offset:1056
	flat_load_b32 v12, v[10:11]
	v_add_co_u32 v10, vcc_lo, v10, s4
	v_add_co_ci_u32_e32 v11, vcc_lo, s5, v11, vcc_lo
	s_waitcnt vmcnt(0) lgkmcnt(0)
	ds_store_b32 v13, v12 offset:2112
	flat_load_b32 v12, v[10:11]
	v_dual_mov_b32 v11, v2 :: v_dual_mov_b32 v10, v1
	s_waitcnt vmcnt(0) lgkmcnt(0)
	ds_store_b32 v13, v12 offset:3168
.LBB141_23:
	v_lshlrev_b32_e32 v17, 2, v3
	v_mul_u32_u24_e32 v16, 33, v0
	v_mul_u32_u24_e32 v1, 0x84, v3
	s_waitcnt lgkmcnt(0)
	s_barrier
	v_cmp_gt_u32_e64 s4, v17, v0
	v_add_lshl_u32 v26, v17, v16, 2
	buffer_gl0_inv
	s_and_saveexec_b32 s3, s4
	s_cbranch_execz .LBB141_25
; %bb.24:
	v_add_lshl_u32 v2, v1, v0, 2
	ds_load_b32 v2, v2
	s_waitcnt lgkmcnt(0)
	ds_store_b32 v26, v2
.LBB141_25:
	s_or_b32 exec_lo, exec_lo, s3
	v_cmp_ge_u32_e64 s5, v17, v0
	s_delay_alu instid0(VALU_DEP_1)
	s_and_saveexec_b32 s3, s5
	s_cbranch_execz .LBB141_27
; %bb.26:
	v_or_b32_e32 v2, 1, v17
	s_delay_alu instid0(VALU_DEP_1) | instskip(NEXT) | instid1(VALU_DEP_1)
	v_mul_u32_u24_e32 v2, 33, v2
	v_add_lshl_u32 v2, v2, v0, 2
	ds_load_b32 v2, v2
	s_waitcnt lgkmcnt(0)
	ds_store_b32 v26, v2 offset:4
.LBB141_27:
	s_or_b32 exec_lo, exec_lo, s3
	v_or_b32_e32 v2, 2, v17
	s_delay_alu instid0(VALU_DEP_1) | instskip(NEXT) | instid1(VALU_DEP_1)
	v_cmp_gt_u32_e64 s6, v2, v0
	s_and_saveexec_b32 s3, s6
	s_cbranch_execz .LBB141_29
; %bb.28:
	v_mul_u32_u24_e32 v2, 33, v2
	s_delay_alu instid0(VALU_DEP_1)
	v_add_lshl_u32 v2, v2, v0, 2
	ds_load_b32 v2, v2
	s_waitcnt lgkmcnt(0)
	ds_store_b32 v26, v2 offset:8
.LBB141_29:
	s_or_b32 exec_lo, exec_lo, s3
	v_or_b32_e32 v2, 3, v17
	s_delay_alu instid0(VALU_DEP_1) | instskip(SKIP_1) | instid1(VALU_DEP_2)
	v_mad_u32_u24 v12, v2, 33, v0
	v_cmp_gt_u32_e64 s7, v2, v0
	v_lshlrev_b32_e32 v23, 2, v12
	s_delay_alu instid0(VALU_DEP_2)
	s_and_saveexec_b32 s3, s7
	s_cbranch_execz .LBB141_31
; %bb.30:
	ds_load_b32 v2, v23
	s_waitcnt lgkmcnt(0)
	ds_store_b32 v26, v2 offset:12
.LBB141_31:
	s_or_b32 exec_lo, exec_lo, s3
	v_add_lshl_u32 v24, v1, v0, 2
	v_lshlrev_b32_e32 v27, 2, v17
	v_add_nc_u32_e32 v25, 0xfffffef8, v23
	s_waitcnt lgkmcnt(0)
	s_barrier
	buffer_gl0_inv
	ds_load_b32 v12, v24
	ds_load_b128 v[28:31], v27 offset:4544
	ds_load_2addr_b32 v[1:2], v25 offset1:33
	ds_load_b32 v13, v23
	v_add_lshl_u32 v22, v3, v16, 2
	v_cmp_gt_u32_e64 s3, 32, v14
	v_lshlrev_b32_e32 v21, 2, v16
	s_waitcnt lgkmcnt(0)
	s_barrier
	buffer_gl0_inv
	v_fma_f32 v12, v12, v28, 0
	s_delay_alu instid0(VALU_DEP_1) | instskip(NEXT) | instid1(VALU_DEP_1)
	v_fmac_f32_e32 v12, v1, v29
	v_dual_fmac_f32 v12, v2, v30 :: v_dual_mov_b32 v19, 0
	s_delay_alu instid0(VALU_DEP_1)
	v_fmac_f32_e32 v12, v13, v31
	ds_store_b32 v22, v12
	s_waitcnt lgkmcnt(0)
	s_barrier
	buffer_gl0_inv
	s_and_saveexec_b32 s8, s3
	s_cbranch_execz .LBB141_33
; %bb.32:
	ds_load_2addr_b32 v[1:2], v21 offset1:1
	ds_load_2addr_b32 v[12:13], v21 offset0:2 offset1:3
	ds_load_2addr_b32 v[28:29], v21 offset0:4 offset1:5
	;; [unrolled: 1-line block ×3, first 2 shown]
	s_waitcnt lgkmcnt(3)
	v_add_f32_e32 v1, v1, v2
	s_waitcnt lgkmcnt(2)
	s_delay_alu instid0(VALU_DEP_1) | instskip(NEXT) | instid1(VALU_DEP_1)
	v_add_f32_e32 v1, v1, v12
	v_add_f32_e32 v1, v1, v13
	s_waitcnt lgkmcnt(1)
	s_delay_alu instid0(VALU_DEP_1) | instskip(NEXT) | instid1(VALU_DEP_1)
	v_add_f32_e32 v1, v1, v28
	;; [unrolled: 4-line block ×3, first 2 shown]
	v_add_f32_e32 v19, v1, v31
.LBB141_33:
	s_or_b32 exec_lo, exec_lo, s8
	s_lshl_b32 s24, s12, 5
	s_delay_alu instid0(SALU_CYCLE_1)
	s_ashr_i32 s25, s24, 31
	s_barrier
	s_lshl_b64 s[22:23], s[24:25], 2
	buffer_gl0_inv
	v_add_co_u32 v10, vcc_lo, v10, s22
	v_add_co_ci_u32_e32 v11, vcc_lo, s23, v11, vcc_lo
	s_delay_alu instid0(VALU_DEP_2) | instskip(NEXT) | instid1(VALU_DEP_2)
	v_add_co_u32 v1, vcc_lo, 0x80, v10
	v_add_co_ci_u32_e32 v2, vcc_lo, 0, v11, vcc_lo
	s_and_b32 vcc_lo, exec_lo, s17
	s_cbranch_vccz .LBB141_43
; %bb.34:
	v_or_b32_e32 v12, 32, v0
	s_ashr_i32 s11, s10, 31
	s_mov_b32 s13, exec_lo
	s_lshl_b64 s[26:27], s[10:11], 2
	s_sub_i32 s11, s10, 32
	v_dual_mov_b32 v30, 0 :: v_dual_lshlrev_b32 v13, 2, v12
	s_delay_alu instid0(VALU_DEP_1) | instskip(SKIP_1) | instid1(VALU_DEP_2)
	v_sub_co_u32 v13, vcc_lo, v1, v13
	v_subrev_co_ci_u32_e32 v28, vcc_lo, 0, v2, vcc_lo
	v_add_co_u32 v13, vcc_lo, v13, s26
	s_delay_alu instid0(VALU_DEP_2) | instskip(NEXT) | instid1(VALU_DEP_2)
	v_add_co_ci_u32_e32 v28, vcc_lo, s27, v28, vcc_lo
	v_add_co_u32 v29, vcc_lo, v13, -4
	s_delay_alu instid0(VALU_DEP_2) | instskip(SKIP_1) | instid1(VALU_DEP_2)
	v_add_co_ci_u32_e32 v13, vcc_lo, -1, v28, vcc_lo
	v_cmp_gt_i32_e32 vcc_lo, s10, v12
	v_cndmask_b32_e32 v13, v13, v2, vcc_lo
	s_delay_alu instid0(VALU_DEP_4)
	v_dual_cndmask_b32 v12, v29, v1 :: v_dual_mov_b32 v29, 0
	v_cmpx_gt_i32_e64 s11, v3
	s_cbranch_execz .LBB141_36
; %bb.35:
	flat_load_b32 v29, v[12:13]
.LBB141_36:
	s_or_b32 exec_lo, exec_lo, s13
	v_add_nc_u32_e32 v31, 8, v3
	v_add_lshl_u32 v28, v20, v0, 2
	s_mov_b32 s13, exec_lo
	s_waitcnt vmcnt(0) lgkmcnt(0)
	ds_store_b32 v28, v29
	v_cmpx_gt_i32_e64 s11, v31
	s_cbranch_execz .LBB141_38
; %bb.37:
	s_lshl_b32 s30, s12, 3
	s_delay_alu instid0(SALU_CYCLE_1) | instskip(NEXT) | instid1(SALU_CYCLE_1)
	s_ashr_i32 s31, s30, 31
	s_lshl_b64 s[30:31], s[30:31], 2
	s_delay_alu instid0(SALU_CYCLE_1) | instskip(NEXT) | instid1(VALU_DEP_1)
	v_add_co_u32 v29, s8, v12, s30
	v_add_co_ci_u32_e64 v30, s8, s31, v13, s8
	flat_load_b32 v30, v[29:30]
.LBB141_38:
	s_or_b32 exec_lo, exec_lo, s13
	v_add_nc_u32_e32 v31, 16, v3
	v_mov_b32_e32 v29, 0
	s_waitcnt vmcnt(0) lgkmcnt(0)
	ds_store_b32 v28, v30 offset:1056
	v_cmp_gt_i32_e64 s8, s11, v31
	v_mov_b32_e32 v31, 0
	s_delay_alu instid0(VALU_DEP_2)
	s_and_saveexec_b32 s13, s8
	s_cbranch_execz .LBB141_40
; %bb.39:
	s_lshl_b32 s30, s12, 4
	s_delay_alu instid0(SALU_CYCLE_1) | instskip(NEXT) | instid1(SALU_CYCLE_1)
	s_ashr_i32 s31, s30, 31
	s_lshl_b64 s[30:31], s[30:31], 2
	s_delay_alu instid0(SALU_CYCLE_1) | instskip(NEXT) | instid1(VALU_DEP_1)
	v_add_co_u32 v30, s8, v12, s30
	v_add_co_ci_u32_e64 v31, s8, s31, v13, s8
	flat_load_b32 v31, v[30:31]
.LBB141_40:
	s_or_b32 exec_lo, exec_lo, s13
	v_add_nc_u32_e32 v30, 24, v3
	s_waitcnt vmcnt(0) lgkmcnt(0)
	ds_store_b32 v28, v31 offset:2112
	v_cmp_gt_i32_e64 s8, s11, v30
	s_delay_alu instid0(VALU_DEP_1)
	s_and_saveexec_b32 s11, s8
	s_cbranch_execz .LBB141_42
; %bb.41:
	s_mul_i32 s30, s12, 24
	s_delay_alu instid0(SALU_CYCLE_1) | instskip(NEXT) | instid1(SALU_CYCLE_1)
	s_ashr_i32 s31, s30, 31
	s_lshl_b64 s[30:31], s[30:31], 2
	s_delay_alu instid0(SALU_CYCLE_1) | instskip(NEXT) | instid1(VALU_DEP_1)
	v_add_co_u32 v29, s8, v12, s30
	v_add_co_ci_u32_e64 v30, s8, s31, v13, s8
	flat_load_b32 v29, v[29:30]
.LBB141_42:
	s_or_b32 exec_lo, exec_lo, s11
	v_add_co_u32 v12, s8, v12, v15
	s_delay_alu instid0(VALU_DEP_1) | instskip(SKIP_3) | instid1(VALU_DEP_1)
	v_add_co_ci_u32_e64 v13, s8, 0, v13, s8
	s_waitcnt vmcnt(0) lgkmcnt(0)
	ds_store_b32 v28, v29 offset:3168
	v_sub_co_u32 v12, s8, v12, s26
	v_subrev_co_ci_u32_e64 v13, s8, s27, v13, s8
	s_delay_alu instid0(VALU_DEP_2) | instskip(NEXT) | instid1(VALU_DEP_1)
	v_add_co_u32 v12, s8, 0x84, v12
	v_add_co_ci_u32_e64 v13, s8, 0, v13, s8
	s_delay_alu instid0(VALU_DEP_1)
	v_dual_cndmask_b32 v12, v12, v1 :: v_dual_cndmask_b32 v13, v13, v2
	s_branch .LBB141_45
.LBB141_43:
                                        ; implicit-def: $vgpr12_vgpr13
	s_cbranch_execz .LBB141_45
; %bb.44:
	flat_load_b32 v12, v[10:11] offset:128
	s_lshl_b32 s26, s12, 3
	v_add_lshl_u32 v28, v20, v0, 2
	s_ashr_i32 s27, s26, 31
	s_ashr_i32 s13, s12, 31
	s_lshl_b64 s[26:27], s[26:27], 2
	s_delay_alu instid0(SALU_CYCLE_1)
	v_add_co_u32 v10, vcc_lo, v10, s26
	v_add_co_ci_u32_e32 v11, vcc_lo, s27, v11, vcc_lo
	s_lshl_b64 s[26:27], s[12:13], 5
	s_waitcnt vmcnt(0) lgkmcnt(0)
	ds_store_b32 v28, v12
	flat_load_b32 v12, v[10:11] offset:128
	v_add_co_u32 v10, vcc_lo, v10, s26
	v_add_co_ci_u32_e32 v11, vcc_lo, s27, v11, vcc_lo
	s_waitcnt vmcnt(0) lgkmcnt(0)
	ds_store_b32 v28, v12 offset:1056
	flat_load_b32 v12, v[10:11] offset:128
	v_add_co_u32 v10, vcc_lo, v10, s26
	v_add_co_ci_u32_e32 v11, vcc_lo, s27, v11, vcc_lo
	s_waitcnt vmcnt(0) lgkmcnt(0)
	ds_store_b32 v28, v12 offset:2112
	flat_load_b32 v10, v[10:11] offset:128
	v_dual_mov_b32 v13, v2 :: v_dual_mov_b32 v12, v1
	s_waitcnt vmcnt(0) lgkmcnt(0)
	ds_store_b32 v28, v10 offset:3168
.LBB141_45:
	s_waitcnt lgkmcnt(0)
	s_barrier
	buffer_gl0_inv
	s_and_saveexec_b32 s8, s4
	s_cbranch_execnz .LBB141_62
; %bb.46:
	s_or_b32 exec_lo, exec_lo, s8
	s_and_saveexec_b32 s4, s5
	s_cbranch_execnz .LBB141_63
.LBB141_47:
	s_or_b32 exec_lo, exec_lo, s4
	s_and_saveexec_b32 s4, s6
	s_cbranch_execnz .LBB141_64
.LBB141_48:
	s_or_b32 exec_lo, exec_lo, s4
	v_add_nc_u32_e32 v27, 0x11c0, v27
	s_and_saveexec_b32 s4, s7
	s_cbranch_execz .LBB141_50
.LBB141_49:
	ds_load_b32 v1, v23
	s_waitcnt lgkmcnt(0)
	ds_store_b32 v26, v1 offset:12
.LBB141_50:
	s_or_b32 exec_lo, exec_lo, s4
	s_waitcnt lgkmcnt(0)
	s_barrier
	buffer_gl0_inv
	ds_load_b32 v10, v24
	ds_load_b128 v[28:31], v27 offset:128
	ds_load_2addr_b32 v[1:2], v25 offset1:33
	ds_load_b32 v11, v23
	v_cmp_eq_u32_e64 s4, 1, v3
	s_waitcnt lgkmcnt(0)
	s_barrier
	buffer_gl0_inv
	v_fma_f32 v10, v10, v28, 0
	s_delay_alu instid0(VALU_DEP_1) | instskip(NEXT) | instid1(VALU_DEP_1)
	v_fmac_f32_e32 v10, v1, v29
	v_fmac_f32_e32 v10, v2, v30
	s_delay_alu instid0(VALU_DEP_1)
	v_fmac_f32_e32 v10, v11, v31
	ds_store_b32 v22, v10
	s_waitcnt lgkmcnt(0)
	s_barrier
	buffer_gl0_inv
	s_and_saveexec_b32 s5, s4
	s_cbranch_execz .LBB141_52
; %bb.51:
	ds_load_2addr_b32 v[1:2], v21 offset1:1
	ds_load_2addr_b32 v[10:11], v21 offset0:2 offset1:3
	ds_load_2addr_b32 v[28:29], v21 offset0:4 offset1:5
	;; [unrolled: 1-line block ×3, first 2 shown]
	s_waitcnt lgkmcnt(3)
	v_add_f32_e32 v1, v1, v2
	s_waitcnt lgkmcnt(2)
	s_delay_alu instid0(VALU_DEP_1) | instskip(NEXT) | instid1(VALU_DEP_1)
	v_add_f32_e32 v1, v1, v10
	v_add_f32_e32 v1, v1, v11
	s_waitcnt lgkmcnt(1)
	s_delay_alu instid0(VALU_DEP_1) | instskip(NEXT) | instid1(VALU_DEP_1)
	v_add_f32_e32 v1, v1, v28
	;; [unrolled: 4-line block ×3, first 2 shown]
	v_add_f32_e32 v19, v1, v31
.LBB141_52:
	s_or_b32 exec_lo, exec_lo, s5
	v_add_co_u32 v1, vcc_lo, 0xffffff80, v12
	v_add_co_ci_u32_e32 v2, vcc_lo, -1, v13, vcc_lo
	s_and_b32 vcc_lo, exec_lo, s17
	s_barrier
	buffer_gl0_inv
	s_cbranch_vccz .LBB141_65
; %bb.53:
	v_sub_co_u32 v10, vcc_lo, v1, v15
	s_ashr_i32 s11, s10, 31
	v_subrev_co_ci_u32_e32 v11, vcc_lo, 0, v2, vcc_lo
	s_lshl_b64 s[6:7], s[10:11], 2
	v_dual_mov_b32 v26, 0 :: v_dual_mov_b32 v13, 0
	v_add_co_u32 v10, vcc_lo, v10, s6
	s_delay_alu instid0(VALU_DEP_3) | instskip(SKIP_1) | instid1(VALU_DEP_2)
	v_add_co_ci_u32_e32 v11, vcc_lo, s7, v11, vcc_lo
	s_sub_i32 s8, s10, 32
	v_add_co_u32 v10, vcc_lo, v10, -4
	s_delay_alu instid0(VALU_DEP_2) | instskip(SKIP_2) | instid1(VALU_DEP_2)
	v_add_co_ci_u32_e32 v11, vcc_lo, -1, v11, vcc_lo
	v_cmp_gt_i32_e32 vcc_lo, s10, v0
	s_mov_b32 s11, exec_lo
	v_dual_cndmask_b32 v11, v11, v2 :: v_dual_cndmask_b32 v10, v10, v1
	v_cmpx_gt_i32_e64 s8, v3
	s_cbranch_execz .LBB141_55
; %bb.54:
	flat_load_b32 v13, v[10:11]
.LBB141_55:
	s_or_b32 exec_lo, exec_lo, s11
	v_add_nc_u32_e32 v12, 8, v3
	v_add_lshl_u32 v28, v20, v0, 2
	s_mov_b32 s11, exec_lo
	s_waitcnt vmcnt(0) lgkmcnt(0)
	ds_store_b32 v28, v13
	v_cmpx_gt_i32_e64 s8, v12
	s_cbranch_execz .LBB141_57
; %bb.56:
	s_lshl_b32 s26, s12, 3
	s_delay_alu instid0(SALU_CYCLE_1) | instskip(NEXT) | instid1(SALU_CYCLE_1)
	s_ashr_i32 s27, s26, 31
	s_lshl_b64 s[26:27], s[26:27], 2
	s_delay_alu instid0(SALU_CYCLE_1) | instskip(NEXT) | instid1(VALU_DEP_1)
	v_add_co_u32 v29, s5, v10, s26
	v_add_co_ci_u32_e64 v30, s5, s27, v11, s5
	flat_load_b32 v26, v[29:30]
.LBB141_57:
	s_or_b32 exec_lo, exec_lo, s11
	v_dual_mov_b32 v30, 0 :: v_dual_add_nc_u32 v13, 16, v3
	v_mov_b32_e32 v29, 0
	s_mov_b32 s11, exec_lo
	s_waitcnt vmcnt(0) lgkmcnt(0)
	ds_store_b32 v28, v26 offset:1056
	v_cmpx_gt_i32_e64 s8, v13
	s_cbranch_execz .LBB141_59
; %bb.58:
	s_lshl_b32 s26, s12, 4
	s_delay_alu instid0(SALU_CYCLE_1) | instskip(NEXT) | instid1(SALU_CYCLE_1)
	s_ashr_i32 s27, s26, 31
	s_lshl_b64 s[26:27], s[26:27], 2
	s_delay_alu instid0(SALU_CYCLE_1) | instskip(NEXT) | instid1(VALU_DEP_1)
	v_add_co_u32 v30, s5, v10, s26
	v_add_co_ci_u32_e64 v31, s5, s27, v11, s5
	flat_load_b32 v30, v[30:31]
.LBB141_59:
	s_or_b32 exec_lo, exec_lo, s11
	v_add_nc_u32_e32 v26, 24, v3
	s_waitcnt vmcnt(0) lgkmcnt(0)
	ds_store_b32 v28, v30 offset:2112
	v_cmp_gt_i32_e64 s5, s8, v26
	s_delay_alu instid0(VALU_DEP_1)
	s_and_saveexec_b32 s8, s5
	s_cbranch_execz .LBB141_61
; %bb.60:
	s_mul_i32 s26, s12, 24
	s_delay_alu instid0(SALU_CYCLE_1) | instskip(NEXT) | instid1(SALU_CYCLE_1)
	s_ashr_i32 s27, s26, 31
	s_lshl_b64 s[26:27], s[26:27], 2
	s_delay_alu instid0(SALU_CYCLE_1) | instskip(NEXT) | instid1(VALU_DEP_1)
	v_add_co_u32 v29, s5, v10, s26
	v_add_co_ci_u32_e64 v30, s5, s27, v11, s5
	flat_load_b32 v29, v[29:30]
.LBB141_61:
	s_or_b32 exec_lo, exec_lo, s8
	v_add_co_u32 v10, s5, v10, v15
	s_delay_alu instid0(VALU_DEP_1) | instskip(SKIP_3) | instid1(VALU_DEP_1)
	v_add_co_ci_u32_e64 v11, s5, 0, v11, s5
	s_waitcnt vmcnt(0) lgkmcnt(0)
	ds_store_b32 v28, v29 offset:3168
	v_sub_co_u32 v10, s5, v10, s6
	v_subrev_co_ci_u32_e64 v11, s5, s7, v11, s5
	s_delay_alu instid0(VALU_DEP_2) | instskip(NEXT) | instid1(VALU_DEP_1)
	v_add_co_u32 v10, s5, v10, 4
	v_add_co_ci_u32_e64 v11, s5, 0, v11, s5
	s_delay_alu instid0(VALU_DEP_1)
	v_dual_cndmask_b32 v10, v10, v1 :: v_dual_cndmask_b32 v11, v11, v2
	s_branch .LBB141_67
.LBB141_62:
	ds_load_b32 v1, v24
	s_waitcnt lgkmcnt(0)
	ds_store_b32 v26, v1
	s_or_b32 exec_lo, exec_lo, s8
	s_and_saveexec_b32 s4, s5
	s_cbranch_execz .LBB141_47
.LBB141_63:
	ds_load_b32 v1, v25
	s_waitcnt lgkmcnt(0)
	ds_store_b32 v26, v1 offset:4
	s_or_b32 exec_lo, exec_lo, s4
	s_and_saveexec_b32 s4, s6
	s_cbranch_execz .LBB141_48
.LBB141_64:
	ds_load_b32 v1, v25 offset:132
	s_waitcnt lgkmcnt(0)
	ds_store_b32 v26, v1 offset:8
	s_or_b32 exec_lo, exec_lo, s4
	v_add_nc_u32_e32 v27, 0x11c0, v27
	s_and_saveexec_b32 s4, s7
	s_cbranch_execnz .LBB141_49
	s_branch .LBB141_50
.LBB141_65:
                                        ; implicit-def: $vgpr10_vgpr11
                                        ; implicit-def: $vgpr12
                                        ; implicit-def: $vgpr13
                                        ; implicit-def: $vgpr26
	s_cbranch_execz .LBB141_67
; %bb.66:
	flat_load_b32 v12, v[1:2]
	s_lshl_b32 s6, s12, 3
	v_add_lshl_u32 v0, v20, v0, 2
	s_ashr_i32 s7, s6, 31
	s_ashr_i32 s13, s12, 31
	s_lshl_b64 s[6:7], s[6:7], 2
	v_add_nc_u32_e32 v13, 16, v3
	v_add_co_u32 v10, vcc_lo, v1, s6
	v_add_co_ci_u32_e32 v11, vcc_lo, s7, v2, vcc_lo
	s_lshl_b64 s[6:7], s[12:13], 5
	v_add_nc_u32_e32 v26, 24, v3
	s_waitcnt vmcnt(0) lgkmcnt(0)
	ds_store_b32 v0, v12
	flat_load_b32 v12, v[10:11]
	v_add_co_u32 v10, vcc_lo, v10, s6
	v_add_co_ci_u32_e32 v11, vcc_lo, s7, v11, vcc_lo
	s_waitcnt vmcnt(0) lgkmcnt(0)
	ds_store_b32 v0, v12 offset:1056
	flat_load_b32 v12, v[10:11]
	v_add_co_u32 v10, vcc_lo, v10, s6
	v_add_co_ci_u32_e32 v11, vcc_lo, s7, v11, vcc_lo
	s_waitcnt vmcnt(0) lgkmcnt(0)
	ds_store_b32 v0, v12 offset:2112
	flat_load_b32 v15, v[10:11]
	v_dual_mov_b32 v11, v2 :: v_dual_add_nc_u32 v12, 8, v3
	v_mov_b32_e32 v10, v1
	s_waitcnt vmcnt(0) lgkmcnt(0)
	ds_store_b32 v0, v15 offset:3168
.LBB141_67:
	s_waitcnt lgkmcnt(0)
	s_barrier
	buffer_gl0_inv
	ds_load_b32 v20, v22
	ds_load_b32 v17, v17 offset:4544
	v_add_lshl_u32 v0, v12, v16, 2
	v_lshlrev_b32_e32 v1, 2, v12
	ds_load_b32 v28, v0
	ds_load_b32 v29, v1 offset:4544
	v_add_lshl_u32 v2, v13, v16, 2
	v_lshlrev_b32_e32 v3, 2, v13
	v_add_lshl_u32 v0, v26, v16, 2
	v_lshlrev_b32_e32 v1, 2, v26
	ds_load_b32 v26, v2
	ds_load_b32 v30, v3 offset:4544
	ds_load_b32 v31, v0
	ds_load_b32 v32, v1 offset:4544
	ds_load_b32 v15, v24
	ds_load_b128 v[0:3], v27 offset:128
	ds_load_2addr_b32 v[12:13], v25 offset1:33
	ds_load_b32 v16, v23
	s_waitcnt lgkmcnt(0)
	s_barrier
	buffer_gl0_inv
	v_fma_f32 v17, v20, v17, 0
	s_delay_alu instid0(VALU_DEP_1) | instskip(NEXT) | instid1(VALU_DEP_1)
	v_fmac_f32_e32 v17, v28, v29
	v_fmac_f32_e32 v17, v26, v30
	s_delay_alu instid0(VALU_DEP_1)
	v_fmac_f32_e32 v17, v31, v32
	ds_store_b32 v22, v17
	s_waitcnt lgkmcnt(0)
	s_barrier
	buffer_gl0_inv
	s_and_saveexec_b32 s5, s4
	s_cbranch_execz .LBB141_69
; %bb.68:
	ds_load_2addr_b32 v[23:24], v21 offset1:1
	ds_load_2addr_b32 v[25:26], v21 offset0:2 offset1:3
	ds_load_2addr_b32 v[27:28], v21 offset0:4 offset1:5
	ds_load_2addr_b32 v[29:30], v21 offset0:6 offset1:7
	s_waitcnt lgkmcnt(3)
	v_add_f32_e32 v17, v19, v23
	s_delay_alu instid0(VALU_DEP_1) | instskip(SKIP_1) | instid1(VALU_DEP_1)
	v_add_f32_e32 v17, v17, v24
	s_waitcnt lgkmcnt(2)
	v_add_f32_e32 v17, v17, v25
	s_delay_alu instid0(VALU_DEP_1) | instskip(SKIP_1) | instid1(VALU_DEP_1)
	v_add_f32_e32 v17, v17, v26
	;; [unrolled: 4-line block ×3, first 2 shown]
	s_waitcnt lgkmcnt(0)
	v_add_f32_e32 v17, v17, v29
	s_delay_alu instid0(VALU_DEP_1)
	v_add_f32_e32 v19, v17, v30
.LBB141_69:
	s_or_b32 exec_lo, exec_lo, s5
	v_fma_f32 v0, v15, v0, 0
	s_barrier
	buffer_gl0_inv
	v_fmac_f32_e32 v0, v12, v1
	s_delay_alu instid0(VALU_DEP_1) | instskip(NEXT) | instid1(VALU_DEP_1)
	v_fmac_f32_e32 v0, v13, v2
	v_fmac_f32_e32 v0, v16, v3
	ds_store_b32 v22, v0
	s_waitcnt lgkmcnt(0)
	s_barrier
	buffer_gl0_inv
	s_and_saveexec_b32 s4, s3
	s_cbranch_execz .LBB141_71
; %bb.70:
	ds_load_2addr_b32 v[0:1], v21 offset1:1
	ds_load_2addr_b32 v[2:3], v21 offset0:2 offset1:3
	ds_load_2addr_b32 v[12:13], v21 offset0:4 offset1:5
	;; [unrolled: 1-line block ×3, first 2 shown]
	s_waitcnt lgkmcnt(3)
	v_add_f32_e32 v0, v19, v0
	s_delay_alu instid0(VALU_DEP_1) | instskip(SKIP_1) | instid1(VALU_DEP_1)
	v_add_f32_e32 v0, v0, v1
	s_waitcnt lgkmcnt(2)
	v_add_f32_e32 v0, v0, v2
	s_delay_alu instid0(VALU_DEP_1) | instskip(SKIP_1) | instid1(VALU_DEP_1)
	v_add_f32_e32 v0, v0, v3
	;; [unrolled: 4-line block ×3, first 2 shown]
	s_waitcnt lgkmcnt(0)
	v_add_f32_e32 v0, v0, v15
	s_delay_alu instid0(VALU_DEP_1)
	v_add_f32_e32 v19, v0, v16
.LBB141_71:
	s_or_b32 exec_lo, exec_lo, s4
	s_load_b64 s[0:1], s[0:1], 0x60
	s_mul_hi_u32 s3, s20, s18
	s_mul_i32 s9, s9, s18
	s_mul_i32 s4, s20, s18
	s_add_i32 s3, s3, s9
	s_mul_hi_u32 s5, s4, s15
	s_mul_i32 s3, s3, s15
	s_mul_i32 s4, s4, s15
	s_add_i32 s5, s5, s3
	s_mul_hi_i32 s7, s20, s14
	s_lshl_b64 s[4:5], s[4:5], 2
	s_mul_i32 s6, s20, s14
	v_lshlrev_b32_e32 v3, 2, v5
	s_waitcnt lgkmcnt(0)
	s_barrier
	buffer_gl0_inv
	s_add_u32 s3, s0, s4
	s_addc_u32 s4, s1, s5
	s_lshl_b64 s[0:1], s[6:7], 2
	s_delay_alu instid0(SALU_CYCLE_1) | instskip(SKIP_2) | instid1(SALU_CYCLE_1)
	s_add_u32 s3, s3, s0
	s_addc_u32 s11, s4, s1
	s_add_i32 s1, s14, 1
	s_cmp_ge_u32 s1, s15
	s_cbranch_scc1 .LBB141_128
; %bb.72:
	s_mul_i32 s4, s16, s19
	v_lshlrev_b32_e32 v20, 2, v18
	s_ashr_i32 s5, s4, 31
	s_ashr_i32 s13, s12, 31
	s_lshl_b64 s[4:5], s[4:5], 2
	s_lshl_b32 s31, s19, 6
	v_mad_u64_u32 v[1:2], null, v20, s12, v[5:6]
	v_sub_co_u32 v21, vcc_lo, v8, s4
	v_subrev_co_ci_u32_e32 v22, vcc_lo, s5, v9, vcc_lo
	v_and_b32_e32 v9, 48, v5
	v_add_co_u32 v23, vcc_lo, v10, s22
	s_lshl_b32 s8, s12, 4
	s_lshl_b32 s20, s12, 1
	s_mul_i32 s34, s12, 3
	s_mul_i32 s19, s19, s1
	v_add_co_ci_u32_e32 v24, vcc_lo, s23, v11, vcc_lo
	s_lshl_b64 s[26:27], s[12:13], 3
	v_and_b32_e32 v0, 15, v5
	v_lshrrev_b32_e32 v8, 4, v14
	v_ashrrev_i32_e32 v2, 31, v1
	s_add_i32 s30, s15, -2
	v_lshlrev_b32_e32 v12, 2, v9
	v_or_b32_e32 v13, 60, v3
	v_and_b32_e32 v15, 0x1fff0, v14
	s_ashr_i32 s9, s8, 31
	s_ashr_i32 s21, s20, 31
	;; [unrolled: 1-line block ×3, first 2 shown]
	v_add_nc_u32_e32 v9, s16, v9
	s_lshl_b64 s[16:17], s[12:13], 2
	s_lshl_b32 s4, s19, 6
	v_sub_co_u32 v47, vcc_lo, 0, v6
	s_add_u32 s1, s26, s22
	v_sub_co_ci_u32_e32 v48, vcc_lo, 0, v7, vcc_lo
	s_addc_u32 s5, s27, s23
	v_add_co_u32 v49, vcc_lo, v10, s1
	v_cmp_gt_u32_e64 s0, 64, v14
	v_mad_u32_u24 v27, 0x10c, v0, v12
	v_mad_u32_u24 v28, 0x10c, v0, v13
	;; [unrolled: 1-line block ×3, first 2 shown]
	v_mul_i32_i24_e32 v14, -12, v8
	v_add3_u32 v0, v9, v0, 64
	v_lshlrev_b64 v[8:9], 2, v[1:2]
	v_add_co_ci_u32_e32 v50, vcc_lo, s5, v11, vcc_lo
	v_add_co_u32 v12, vcc_lo, s24, v1
	v_add_co_ci_u32_e32 v13, vcc_lo, s25, v2, vcc_lo
	s_delay_alu instid0(VALU_DEP_4) | instskip(SKIP_1) | instid1(VALU_DEP_3)
	v_sub_co_u32 v51, vcc_lo, v8, v6
	v_sub_co_ci_u32_e32 v52, vcc_lo, v9, v7, vcc_lo
	v_lshlrev_b64 v[6:7], 2, v[12:13]
	s_lshl_b64 s[6:7], s[8:9], 4
	s_mul_i32 s36, s12, 12
	s_add_u32 s37, s16, s22
	s_addc_u32 s38, s17, s23
	s_lshl_b64 s[18:19], s[20:21], 2
	s_mul_hi_i32 s33, s12, 12
	v_add_co_u32 v8, vcc_lo, s36, v6
	s_add_u32 s39, s22, s18
	v_add_co_ci_u32_e32 v9, vcc_lo, s33, v7, vcc_lo
	s_addc_u32 s40, s23, s19
	s_lshl_b64 s[20:21], s[34:35], 2
	v_add_co_u32 v53, vcc_lo, v10, v8
	s_add_u32 s41, s22, s20
	s_addc_u32 s42, s23, s21
	s_lshl_b64 s[34:35], s[8:9], 2
	v_add_co_ci_u32_e32 v54, vcc_lo, v11, v9, vcc_lo
	s_add_u32 s43, s1, s34
	v_add_co_u32 v55, vcc_lo, v10, s37
	s_addc_u32 s44, s5, s35
	s_add_u32 s24, s24, s8
	v_add_co_ci_u32_e32 v56, vcc_lo, s38, v11, vcc_lo
	s_addc_u32 s25, s25, s9
	v_add_co_u32 v1, vcc_lo, s24, v1
	v_add_co_ci_u32_e32 v2, vcc_lo, s25, v2, vcc_lo
	v_add_co_u32 v57, vcc_lo, v10, s39
	v_add_co_ci_u32_e32 v58, vcc_lo, s40, v11, vcc_lo
	s_delay_alu instid0(VALU_DEP_3) | instskip(SKIP_3) | instid1(VALU_DEP_3)
	v_lshlrev_b64 v[1:2], 2, v[1:2]
	v_add_co_u32 v59, vcc_lo, v10, s41
	v_add_co_ci_u32_e32 v60, vcc_lo, s42, v11, vcc_lo
	s_add_u32 s24, s37, s34
	v_add_co_u32 v1, vcc_lo, s36, v1
	s_delay_alu instid0(VALU_DEP_4) | instskip(SKIP_2) | instid1(VALU_DEP_4)
	v_add_co_ci_u32_e32 v2, vcc_lo, s33, v2, vcc_lo
	v_add_co_u32 v61, vcc_lo, v10, s43
	v_add_co_ci_u32_e32 v62, vcc_lo, s44, v11, vcc_lo
	v_add_co_u32 v63, vcc_lo, v10, v1
	s_delay_alu instid0(VALU_DEP_4)
	v_add_co_ci_u32_e32 v64, vcc_lo, v11, v2, vcc_lo
	s_addc_u32 s25, s38, s35
	v_add_co_u32 v65, vcc_lo, v10, s24
	s_add_u32 s24, s22, s34
	v_add_co_ci_u32_e32 v66, vcc_lo, s25, v11, vcc_lo
	s_addc_u32 s25, s23, s35
	v_add_co_u32 v67, vcc_lo, v10, s24
	s_add_u32 s34, s24, s18
	;; [unrolled: 4-line block ×3, first 2 shown]
	v_add_co_ci_u32_e32 v70, vcc_lo, s35, v11, vcc_lo
	s_addc_u32 s35, s25, s21
	s_lshl_b64 s[24:25], s[8:9], 3
	v_add_co_u32 v71, vcc_lo, v10, s34
	s_add_u32 s1, s1, s24
	s_addc_u32 s5, s5, s25
	s_add_u32 s34, s36, s24
	v_add_co_ci_u32_e32 v72, vcc_lo, s35, v11, vcc_lo
	s_addc_u32 s33, s33, s25
	v_add_co_u32 v1, vcc_lo, s34, v6
	v_add_co_ci_u32_e32 v2, vcc_lo, s33, v7, vcc_lo
	v_add_co_u32 v73, vcc_lo, v10, s1
	v_add_co_ci_u32_e32 v74, vcc_lo, s5, v11, vcc_lo
	s_add_u32 s1, s24, s22
	v_add_co_u32 v75, vcc_lo, v10, v1
	s_addc_u32 s5, s25, s23
	s_add_u32 s22, s1, s16
	v_add_co_ci_u32_e32 v76, vcc_lo, v11, v2, vcc_lo
	s_addc_u32 s23, s5, s17
	v_add_co_u32 v77, vcc_lo, v10, s22
	s_add_u32 s22, s1, s18
	v_add_co_ci_u32_e32 v78, vcc_lo, s23, v11, vcc_lo
	s_addc_u32 s23, s5, s19
	s_add_u32 s24, s1, s20
	s_mul_i32 s33, s12, 0xc0
	s_addc_u32 s25, s5, s21
	s_mul_hi_i32 s34, s8, 12
	s_add_u32 s26, s33, s26
	s_addc_u32 s27, s34, s27
	s_add_u32 s12, s12, s8
	v_add_co_u32 v79, vcc_lo, v10, s1
	v_mad_u64_u32 v[1:2], null, s12, 12, v[6:7]
	v_add_co_ci_u32_e32 v80, vcc_lo, s5, v11, vcc_lo
	v_add_co_u32 v81, vcc_lo, v10, s22
	v_add_co_ci_u32_e32 v82, vcc_lo, s23, v11, vcc_lo
	s_addc_u32 s1, s13, s9
	v_add_co_u32 v15, vcc_lo, s26, v6
	v_mad_u64_u32 v[8:9], null, s1, 12, v[2:3]
	v_mad_i64_i32 v[12:13], null, s8, 12, v[6:7]
	v_add_co_ci_u32_e32 v16, vcc_lo, s27, v7, vcc_lo
	v_add_co_u32 v83, vcc_lo, v10, s24
	s_delay_alu instid0(VALU_DEP_4)
	v_mov_b32_e32 v2, v8
	v_add_co_ci_u32_e32 v84, vcc_lo, s25, v11, vcc_lo
	v_add_co_u32 v85, vcc_lo, v10, v15
	v_add_co_ci_u32_e32 v86, vcc_lo, v11, v16, vcc_lo
	v_add_co_u32 v6, vcc_lo, v12, s16
	;; [unrolled: 2-line block ×3, first 2 shown]
	v_add_co_ci_u32_e32 v88, vcc_lo, v11, v2, vcc_lo
	s_delay_alu instid0(VALU_DEP_4) | instskip(NEXT) | instid1(VALU_DEP_4)
	v_add_co_u32 v89, vcc_lo, v10, v6
	v_add_co_ci_u32_e32 v90, vcc_lo, v11, v7, vcc_lo
	v_add_co_u32 v91, vcc_lo, v10, v12
	v_add_co_ci_u32_e32 v92, vcc_lo, v11, v13, vcc_lo
	;; [unrolled: 2-line block ×4, first 2 shown]
	s_delay_alu instid0(VALU_DEP_4) | instskip(NEXT) | instid1(VALU_DEP_4)
	v_add_co_u32 v93, vcc_lo, v10, v1
	v_add_co_ci_u32_e32 v94, vcc_lo, v11, v2, vcc_lo
	s_delay_alu instid0(VALU_DEP_4)
	v_add_co_u32 v95, vcc_lo, v10, v6
	v_add_nc_u32_e32 v25, 0x10c0, v3
	v_add_nc_u32_e32 v26, 0x11c0, v3
	v_or_b32_e32 v30, 1, v20
	v_or_b32_e32 v31, 2, v20
	;; [unrolled: 1-line block ×3, first 2 shown]
	v_lshl_add_u32 v33, v18, 4, 0x10c0
	v_mad_u32_u24 v34, 0x430, v18, v3
	v_add_nc_u32_e32 v35, 16, v20
	v_add_nc_u32_e32 v36, 17, v20
	;; [unrolled: 1-line block ×12, first 2 shown]
	v_add_co_ci_u32_e32 v96, vcc_lo, v11, v7, vcc_lo
	v_add_nc_u32_e32 v97, v29, v14
	s_cmp_eq_u32 s30, s14
	s_cselect_b32 s8, s28, 0
	s_and_saveexec_b32 s1, s2
	s_cbranch_execz .LBB141_76
.LBB141_73:
	v_cmp_gt_i32_e32 vcc_lo, s8, v5
	s_cmp_eq_u32 s8, 0
	v_mov_b32_e32 v1, 0
	s_cselect_b32 s5, -1, 0
	s_delay_alu instid0(SALU_CYCLE_1) | instskip(NEXT) | instid1(SALU_CYCLE_1)
	s_or_b32 s5, s5, vcc_lo
	s_and_saveexec_b32 s9, s5
	s_cbranch_execz .LBB141_75
; %bb.74:
	s_ashr_i32 s5, s4, 31
	s_delay_alu instid0(SALU_CYCLE_1) | instskip(NEXT) | instid1(SALU_CYCLE_1)
	s_lshl_b64 s[12:13], s[4:5], 2
	v_add_co_u32 v1, vcc_lo, v21, s12
	v_add_co_ci_u32_e32 v2, vcc_lo, s13, v22, vcc_lo
	flat_load_b32 v1, v[1:2]
.LBB141_75:
	s_or_b32 exec_lo, exec_lo, s9
	s_waitcnt vmcnt(0) lgkmcnt(0)
	ds_store_b32 v25, v1
.LBB141_76:                             ; =>This Inner Loop Header: Depth=1
	s_or_b32 exec_lo, exec_lo, s1
	s_cmp_eq_u32 s8, 0
	v_add_co_u32 v1, vcc_lo, v23, v51
	s_cselect_b32 s5, -1, 0
	s_cmp_lg_u32 s8, 0
	v_add_co_ci_u32_e32 v2, vcc_lo, v24, v52, vcc_lo
	s_cselect_b32 s1, -1, 0
	s_waitcnt lgkmcnt(0)
	s_and_b32 vcc_lo, exec_lo, s1
	s_barrier
	buffer_gl0_inv
	s_cbranch_vccz .LBB141_124
; %bb.77:                               ;   in Loop: Header=BB141_76 Depth=1
	v_dual_mov_b32 v98, 0 :: v_dual_mov_b32 v101, 0
	s_mov_b32 s9, exec_lo
	v_cmpx_gt_i32_e64 s8, v20
	s_cbranch_execz .LBB141_79
; %bb.78:                               ;   in Loop: Header=BB141_76 Depth=1
	flat_load_b32 v101, v[1:2]
.LBB141_79:                             ;   in Loop: Header=BB141_76 Depth=1
	s_or_b32 exec_lo, exec_lo, s9
	s_delay_alu instid0(SALU_CYCLE_1)
	s_mov_b32 s9, exec_lo
	v_cmpx_gt_i32_e64 s8, v30
	s_cbranch_execz .LBB141_81
; %bb.80:                               ;   in Loop: Header=BB141_76 Depth=1
	v_add_co_u32 v6, vcc_lo, v55, v51
	v_add_co_ci_u32_e32 v7, vcc_lo, v56, v52, vcc_lo
	flat_load_b32 v98, v[6:7]
.LBB141_81:                             ;   in Loop: Header=BB141_76 Depth=1
	s_or_b32 exec_lo, exec_lo, s9
	v_dual_mov_b32 v99, 0 :: v_dual_mov_b32 v100, 0
	s_mov_b32 s9, exec_lo
	v_cmpx_gt_i32_e64 s8, v31
	s_cbranch_execz .LBB141_83
; %bb.82:                               ;   in Loop: Header=BB141_76 Depth=1
	v_add_co_u32 v6, vcc_lo, v57, v51
	v_add_co_ci_u32_e32 v7, vcc_lo, v58, v52, vcc_lo
	flat_load_b32 v100, v[6:7]
.LBB141_83:                             ;   in Loop: Header=BB141_76 Depth=1
	s_or_b32 exec_lo, exec_lo, s9
	s_delay_alu instid0(SALU_CYCLE_1)
	s_mov_b32 s9, exec_lo
	v_cmpx_gt_i32_e64 s8, v32
	s_cbranch_execz .LBB141_85
; %bb.84:                               ;   in Loop: Header=BB141_76 Depth=1
	v_add_co_u32 v6, vcc_lo, v59, v51
	v_add_co_ci_u32_e32 v7, vcc_lo, v60, v52, vcc_lo
	flat_load_b32 v99, v[6:7]
.LBB141_85:                             ;   in Loop: Header=BB141_76 Depth=1
	s_or_b32 exec_lo, exec_lo, s9
	s_branch .LBB141_87
.LBB141_86:                             ;   in Loop: Header=BB141_76 Depth=1
	v_add_co_u32 v6, vcc_lo, v55, v51
	v_add_co_ci_u32_e32 v7, vcc_lo, v56, v52, vcc_lo
	v_add_co_u32 v8, vcc_lo, v49, v51
	v_add_co_ci_u32_e32 v9, vcc_lo, v50, v52, vcc_lo
	;; [unrolled: 2-line block ×3, first 2 shown]
	s_waitcnt vmcnt(0) lgkmcnt(0)
	flat_load_b32 v101, v[1:2]
	flat_load_b32 v98, v[6:7]
	;; [unrolled: 1-line block ×4, first 2 shown]
.LBB141_87:                             ;   in Loop: Header=BB141_76 Depth=1
	ds_load_b32 v1, v26
	ds_load_b32 v105, v33
	v_add_co_u32 v8, vcc_lo, v67, v51
	v_cndmask_b32_e64 v16, 0, 1, s1
	v_add_co_ci_u32_e32 v9, vcc_lo, v68, v52, vcc_lo
	s_and_not1_b32 vcc_lo, exec_lo, s1
	s_waitcnt vmcnt(0) lgkmcnt(1)
	v_mul_f32_e32 v2, v101, v1
	v_mul_f32_e32 v6, v98, v1
	;; [unrolled: 1-line block ×4, first 2 shown]
	ds_store_b32 v34, v2
	ds_load_b32 v104, v33 offset:4
	ds_store_b32 v34, v6 offset:268
	ds_load_b32 v103, v33 offset:8
	ds_store_b32 v34, v7 offset:536
	;; [unrolled: 2-line block ×3, first 2 shown]
	s_waitcnt lgkmcnt(0)
	s_barrier
	buffer_gl0_inv
	ds_load_2addr_b32 v[6:7], v29 offset1:1
	ds_load_2addr_b32 v[1:2], v29 offset0:2 offset1:3
	s_waitcnt lgkmcnt(0)
	s_barrier
	buffer_gl0_inv
	s_cbranch_vccnz .LBB141_125
; %bb.88:                               ;   in Loop: Header=BB141_76 Depth=1
	v_dual_mov_b32 v106, 0 :: v_dual_mov_b32 v107, 0
	s_mov_b32 s1, exec_lo
	v_cmpx_gt_i32_e64 s8, v35
	s_cbranch_execz .LBB141_90
; %bb.89:                               ;   in Loop: Header=BB141_76 Depth=1
	flat_load_b32 v107, v[8:9]
.LBB141_90:                             ;   in Loop: Header=BB141_76 Depth=1
	s_or_b32 exec_lo, exec_lo, s1
	s_delay_alu instid0(SALU_CYCLE_1)
	s_mov_b32 s1, exec_lo
	v_cmpx_gt_i32_e64 s8, v36
	s_cbranch_execz .LBB141_92
; %bb.91:                               ;   in Loop: Header=BB141_76 Depth=1
	v_add_co_u32 v10, vcc_lo, v65, v51
	v_add_co_ci_u32_e32 v11, vcc_lo, v66, v52, vcc_lo
	flat_load_b32 v106, v[10:11]
.LBB141_92:                             ;   in Loop: Header=BB141_76 Depth=1
	s_or_b32 exec_lo, exec_lo, s1
	v_dual_mov_b32 v108, 0 :: v_dual_mov_b32 v109, 0
	s_mov_b32 s1, exec_lo
	v_cmpx_gt_i32_e64 s8, v37
	s_cbranch_execz .LBB141_94
; %bb.93:                               ;   in Loop: Header=BB141_76 Depth=1
	v_add_co_u32 v10, vcc_lo, v69, v51
	v_add_co_ci_u32_e32 v11, vcc_lo, v70, v52, vcc_lo
	flat_load_b32 v109, v[10:11]
.LBB141_94:                             ;   in Loop: Header=BB141_76 Depth=1
	s_or_b32 exec_lo, exec_lo, s1
	s_delay_alu instid0(SALU_CYCLE_1)
	s_mov_b32 s1, exec_lo
	v_cmpx_gt_i32_e64 s8, v38
	s_cbranch_execz .LBB141_96
; %bb.95:                               ;   in Loop: Header=BB141_76 Depth=1
	v_add_co_u32 v10, vcc_lo, v71, v51
	v_add_co_ci_u32_e32 v11, vcc_lo, v72, v52, vcc_lo
	flat_load_b32 v108, v[10:11]
.LBB141_96:                             ;   in Loop: Header=BB141_76 Depth=1
	s_or_b32 exec_lo, exec_lo, s1
	s_branch .LBB141_98
.LBB141_97:                             ;   in Loop: Header=BB141_76 Depth=1
	v_add_co_u32 v10, vcc_lo, v65, v51
	v_add_co_ci_u32_e32 v11, vcc_lo, v66, v52, vcc_lo
	v_add_co_u32 v12, vcc_lo, v61, v51
	v_add_co_ci_u32_e32 v13, vcc_lo, v62, v52, vcc_lo
	;; [unrolled: 2-line block ×3, first 2 shown]
	s_waitcnt vmcnt(0) lgkmcnt(0)
	flat_load_b32 v107, v[8:9]
	flat_load_b32 v106, v[10:11]
	;; [unrolled: 1-line block ×4, first 2 shown]
.LBB141_98:                             ;   in Loop: Header=BB141_76 Depth=1
	ds_load_b32 v8, v26
	ds_load_b32 v110, v33 offset:64
	v_cmp_ne_u32_e32 vcc_lo, 1, v16
	v_add_co_u32 v12, s1, v79, v51
	s_delay_alu instid0(VALU_DEP_1)
	v_add_co_ci_u32_e64 v13, s1, v80, v52, s1
	s_and_b32 vcc_lo, exec_lo, vcc_lo
	s_waitcnt vmcnt(0) lgkmcnt(1)
	v_mul_f32_e32 v9, v107, v8
	v_mul_f32_e32 v10, v106, v8
	;; [unrolled: 1-line block ×4, first 2 shown]
	ds_store_b32 v34, v9
	ds_load_b32 v113, v33 offset:68
	ds_store_b32 v34, v10 offset:268
	ds_load_b32 v112, v33 offset:72
	ds_store_b32 v34, v11 offset:536
	;; [unrolled: 2-line block ×3, first 2 shown]
	s_waitcnt lgkmcnt(0)
	s_barrier
	buffer_gl0_inv
	ds_load_2addr_b32 v[10:11], v29 offset1:1
	ds_load_2addr_b32 v[8:9], v29 offset0:2 offset1:3
	s_waitcnt lgkmcnt(0)
	s_barrier
	buffer_gl0_inv
	s_cbranch_vccnz .LBB141_126
; %bb.99:                               ;   in Loop: Header=BB141_76 Depth=1
	v_dual_mov_b32 v114, 0 :: v_dual_mov_b32 v115, 0
	s_mov_b32 s1, exec_lo
	v_cmpx_gt_i32_e64 s8, v39
	s_cbranch_execz .LBB141_101
; %bb.100:                              ;   in Loop: Header=BB141_76 Depth=1
	flat_load_b32 v115, v[12:13]
.LBB141_101:                            ;   in Loop: Header=BB141_76 Depth=1
	s_or_b32 exec_lo, exec_lo, s1
	s_delay_alu instid0(SALU_CYCLE_1)
	s_mov_b32 s1, exec_lo
	v_cmpx_gt_i32_e64 s8, v40
	s_cbranch_execz .LBB141_103
; %bb.102:                              ;   in Loop: Header=BB141_76 Depth=1
	v_add_co_u32 v14, vcc_lo, v77, v51
	v_add_co_ci_u32_e32 v15, vcc_lo, v78, v52, vcc_lo
	flat_load_b32 v114, v[14:15]
.LBB141_103:                            ;   in Loop: Header=BB141_76 Depth=1
	s_or_b32 exec_lo, exec_lo, s1
	v_dual_mov_b32 v116, 0 :: v_dual_mov_b32 v117, 0
	s_mov_b32 s1, exec_lo
	v_cmpx_gt_i32_e64 s8, v41
	s_cbranch_execz .LBB141_105
; %bb.104:                              ;   in Loop: Header=BB141_76 Depth=1
	v_add_co_u32 v14, vcc_lo, v81, v51
	v_add_co_ci_u32_e32 v15, vcc_lo, v82, v52, vcc_lo
	flat_load_b32 v117, v[14:15]
.LBB141_105:                            ;   in Loop: Header=BB141_76 Depth=1
	s_or_b32 exec_lo, exec_lo, s1
	s_delay_alu instid0(SALU_CYCLE_1)
	s_mov_b32 s1, exec_lo
	v_cmpx_gt_i32_e64 s8, v42
	s_cbranch_execz .LBB141_107
; %bb.106:                              ;   in Loop: Header=BB141_76 Depth=1
	v_add_co_u32 v14, vcc_lo, v83, v51
	v_add_co_ci_u32_e32 v15, vcc_lo, v84, v52, vcc_lo
	flat_load_b32 v116, v[14:15]
.LBB141_107:                            ;   in Loop: Header=BB141_76 Depth=1
	s_or_b32 exec_lo, exec_lo, s1
	s_branch .LBB141_109
.LBB141_108:                            ;   in Loop: Header=BB141_76 Depth=1
	v_add_co_u32 v14, vcc_lo, v77, v51
	v_add_co_ci_u32_e32 v15, vcc_lo, v78, v52, vcc_lo
	s_waitcnt vmcnt(0) lgkmcnt(0)
	v_add_co_u32 v116, vcc_lo, v73, v51
	v_add_co_ci_u32_e32 v117, vcc_lo, v74, v52, vcc_lo
	v_add_co_u32 v118, vcc_lo, v75, v47
	v_add_co_ci_u32_e32 v119, vcc_lo, v76, v48, vcc_lo
	flat_load_b32 v115, v[12:13]
	flat_load_b32 v114, v[14:15]
	;; [unrolled: 1-line block ×4, first 2 shown]
.LBB141_109:                            ;   in Loop: Header=BB141_76 Depth=1
	ds_load_b32 v12, v26
	ds_load_b32 v118, v33 offset:128
	v_cmp_ne_u32_e32 vcc_lo, 1, v16
	v_add_co_u32 v16, s1, v91, v47
	s_delay_alu instid0(VALU_DEP_1)
	v_add_co_ci_u32_e64 v17, s1, v92, v48, s1
	s_and_b32 vcc_lo, exec_lo, vcc_lo
	s_waitcnt vmcnt(0) lgkmcnt(1)
	v_mul_f32_e32 v13, v115, v12
	v_mul_f32_e32 v14, v114, v12
	;; [unrolled: 1-line block ×4, first 2 shown]
	ds_store_b32 v34, v13
	ds_load_b32 v121, v33 offset:132
	ds_store_b32 v34, v14 offset:268
	ds_load_b32 v120, v33 offset:136
	ds_store_b32 v34, v15 offset:536
	;; [unrolled: 2-line block ×3, first 2 shown]
	s_waitcnt lgkmcnt(0)
	s_barrier
	buffer_gl0_inv
	ds_load_2addr_b32 v[14:15], v29 offset1:1
	ds_load_2addr_b32 v[12:13], v29 offset0:2 offset1:3
	s_waitcnt lgkmcnt(0)
	s_barrier
	buffer_gl0_inv
	s_cbranch_vccnz .LBB141_127
; %bb.110:                              ;   in Loop: Header=BB141_76 Depth=1
	v_dual_mov_b32 v122, 0 :: v_dual_mov_b32 v123, 0
	s_mov_b32 s1, exec_lo
	v_cmpx_gt_i32_e64 s8, v43
	s_cbranch_execz .LBB141_112
; %bb.111:                              ;   in Loop: Header=BB141_76 Depth=1
	flat_load_b32 v123, v[16:17]
.LBB141_112:                            ;   in Loop: Header=BB141_76 Depth=1
	s_or_b32 exec_lo, exec_lo, s1
	s_delay_alu instid0(SALU_CYCLE_1)
	s_mov_b32 s1, exec_lo
	v_cmpx_gt_i32_e64 s8, v44
	s_cbranch_execz .LBB141_114
; %bb.113:                              ;   in Loop: Header=BB141_76 Depth=1
	v_add_co_u32 v124, vcc_lo, v89, v47
	v_add_co_ci_u32_e32 v125, vcc_lo, v90, v48, vcc_lo
	flat_load_b32 v122, v[124:125]
.LBB141_114:                            ;   in Loop: Header=BB141_76 Depth=1
	s_or_b32 exec_lo, exec_lo, s1
	v_dual_mov_b32 v124, 0 :: v_dual_mov_b32 v125, 0
	s_mov_b32 s1, exec_lo
	v_cmpx_gt_i32_e64 s8, v45
	s_cbranch_execz .LBB141_116
; %bb.115:                              ;   in Loop: Header=BB141_76 Depth=1
	v_add_co_u32 v125, vcc_lo, v93, v47
	v_add_co_ci_u32_e32 v126, vcc_lo, v94, v48, vcc_lo
	flat_load_b32 v125, v[125:126]
.LBB141_116:                            ;   in Loop: Header=BB141_76 Depth=1
	s_or_b32 exec_lo, exec_lo, s1
	s_delay_alu instid0(SALU_CYCLE_1)
	s_mov_b32 s1, exec_lo
	v_cmpx_gt_i32_e64 s8, v46
	s_cbranch_execz .LBB141_118
; %bb.117:                              ;   in Loop: Header=BB141_76 Depth=1
	v_add_co_u32 v126, vcc_lo, v95, v47
	v_add_co_ci_u32_e32 v127, vcc_lo, v96, v48, vcc_lo
	flat_load_b32 v124, v[126:127]
.LBB141_118:                            ;   in Loop: Header=BB141_76 Depth=1
	s_or_b32 exec_lo, exec_lo, s1
	s_branch .LBB141_120
.LBB141_119:                            ;   in Loop: Header=BB141_76 Depth=1
	s_waitcnt vmcnt(0) lgkmcnt(0)
	v_add_co_u32 v124, vcc_lo, v89, v47
	v_add_co_ci_u32_e32 v125, vcc_lo, v90, v48, vcc_lo
	v_add_co_u32 v126, vcc_lo, v85, v47
	v_add_co_ci_u32_e32 v127, vcc_lo, v86, v48, vcc_lo
	;; [unrolled: 2-line block ×3, first 2 shown]
	flat_load_b32 v123, v[16:17]
	flat_load_b32 v122, v[124:125]
	flat_load_b32 v125, v[126:127]
	flat_load_b32 v124, v[128:129]
.LBB141_120:                            ;   in Loop: Header=BB141_76 Depth=1
	ds_load_b32 v17, v26
	ds_load_b32 v16, v33 offset:192
	v_add_f32_e32 v10, 0, v10
	v_cmp_gt_i32_e32 vcc_lo, s8, v5
	v_add_f32_e32 v14, 0, v14
	s_delay_alu instid0(VALU_DEP_3) | instskip(SKIP_1) | instid1(VALU_DEP_2)
	v_add_f32_e32 v10, v10, v11
	s_or_b32 s1, s5, vcc_lo
	v_add_f32_e32 v14, v14, v15
	s_and_b32 s5, s0, s1
	s_delay_alu instid0(VALU_DEP_2) | instskip(NEXT) | instid1(VALU_DEP_2)
	v_add_f32_e32 v8, v10, v8
	v_dual_add_f32 v11, v14, v12 :: v_dual_add_f32 v6, 0, v6
	s_delay_alu instid0(VALU_DEP_2)
	v_add_f32_e32 v8, v8, v9
	s_waitcnt vmcnt(0) lgkmcnt(1)
	v_mul_f32_e32 v129, v125, v17
	v_mul_f32_e32 v126, v123, v17
	;; [unrolled: 1-line block ×3, first 2 shown]
	v_add_f32_e32 v6, v6, v7
	ds_store_b32 v34, v126
	ds_load_b32 v127, v33 offset:196
	v_add_f32_e32 v1, v6, v1
	s_delay_alu instid0(VALU_DEP_1)
	v_dual_mul_f32 v128, v122, v17 :: v_dual_add_f32 v1, v1, v2
	ds_store_b32 v34, v128 offset:268
	ds_load_b32 v126, v33 offset:200
	ds_store_b32 v34, v129 offset:536
	ds_load_b32 v17, v33 offset:204
	ds_store_b32 v34, v130 offset:804
	s_waitcnt lgkmcnt(0)
	s_barrier
	buffer_gl0_inv
	ds_load_2addr_b32 v[128:129], v29 offset1:1
	ds_load_2addr_b32 v[130:131], v29 offset0:2 offset1:3
	s_waitcnt lgkmcnt(0)
	s_barrier
	buffer_gl0_inv
	v_add_f32_e32 v128, 0, v128
	s_delay_alu instid0(VALU_DEP_1) | instskip(NEXT) | instid1(VALU_DEP_1)
	v_add_f32_e32 v7, v128, v129
	v_add_f32_e32 v6, v7, v130
	s_delay_alu instid0(VALU_DEP_1)
	v_dual_add_f32 v7, v11, v13 :: v_dual_add_f32 v2, v6, v131
	ds_store_2addr_b32 v97, v1, v8 offset1:16
	ds_store_2addr_b32 v97, v7, v2 offset0:32 offset1:48
	s_waitcnt lgkmcnt(0)
	s_barrier
	buffer_gl0_inv
	s_and_saveexec_b32 s1, s5
	s_cbranch_execz .LBB141_122
; %bb.121:                              ;   in Loop: Header=BB141_76 Depth=1
	ds_load_2addr_b32 v[1:2], v27 offset1:1
	ds_load_2addr_b32 v[6:7], v27 offset0:2 offset1:3
	ds_load_2addr_b32 v[8:9], v27 offset0:4 offset1:5
	;; [unrolled: 1-line block ×3, first 2 shown]
	s_waitcnt lgkmcnt(3)
	v_add_f32_e32 v1, v1, v2
	s_waitcnt lgkmcnt(2)
	s_delay_alu instid0(VALU_DEP_1) | instskip(NEXT) | instid1(VALU_DEP_1)
	v_add_f32_e32 v1, v1, v6
	v_add_f32_e32 v1, v1, v7
	s_waitcnt lgkmcnt(1)
	s_delay_alu instid0(VALU_DEP_1) | instskip(SKIP_3) | instid1(VALU_DEP_1)
	v_add_f32_e32 v6, v1, v8
	ds_load_2addr_b32 v[1:2], v27 offset0:8 offset1:9
	v_add_f32_e32 v6, v6, v9
	s_waitcnt lgkmcnt(1)
	v_add_f32_e32 v8, v6, v10
	ds_load_2addr_b32 v[6:7], v27 offset0:10 offset1:11
	v_add_f32_e32 v10, v8, v11
	ds_load_2addr_b32 v[8:9], v27 offset0:12 offset1:13
	ds_load_b32 v11, v27 offset:56
	s_waitcnt lgkmcnt(3)
	v_add_f32_e32 v1, v10, v1
	s_delay_alu instid0(VALU_DEP_1) | instskip(SKIP_1) | instid1(VALU_DEP_1)
	v_add_f32_e32 v1, v1, v2
	s_waitcnt lgkmcnt(2)
	v_add_f32_e32 v1, v1, v6
	ds_load_b32 v6, v28
	v_add_f32_e32 v1, v1, v7
	s_waitcnt lgkmcnt(2)
	s_delay_alu instid0(VALU_DEP_1) | instskip(NEXT) | instid1(VALU_DEP_1)
	v_add_f32_e32 v1, v1, v8
	v_add_f32_e32 v2, v1, v9
	v_ashrrev_i32_e32 v1, 31, v0
	s_waitcnt lgkmcnt(1)
	s_delay_alu instid0(VALU_DEP_2) | instskip(NEXT) | instid1(VALU_DEP_2)
	v_add_f32_e32 v7, v2, v11
	v_lshlrev_b64 v[1:2], 2, v[0:1]
	s_waitcnt lgkmcnt(0)
	s_delay_alu instid0(VALU_DEP_2) | instskip(NEXT) | instid1(VALU_DEP_2)
	v_add_f32_e32 v6, v7, v6
	v_add_co_u32 v1, vcc_lo, s3, v1
	s_delay_alu instid0(VALU_DEP_3)
	v_add_co_ci_u32_e32 v2, vcc_lo, s11, v2, vcc_lo
	global_store_b32 v[1:2], v6, off
.LBB141_122:                            ;   in Loop: Header=BB141_76 Depth=1
	s_or_b32 exec_lo, exec_lo, s1
	v_dual_fmac_f32 v19, v101, v105 :: v_dual_add_nc_u32 v0, 64, v0
	v_add_co_u32 v49, vcc_lo, v49, s6
	v_add_co_ci_u32_e32 v50, vcc_lo, s7, v50, vcc_lo
	s_delay_alu instid0(VALU_DEP_3) | instskip(SKIP_2) | instid1(VALU_DEP_3)
	v_fmac_f32_e32 v19, v98, v104
	v_add_co_u32 v53, vcc_lo, v53, s6
	v_add_co_ci_u32_e32 v54, vcc_lo, s7, v54, vcc_lo
	v_fmac_f32_e32 v19, v100, v103
	v_add_co_u32 v55, vcc_lo, v55, s6
	v_add_co_ci_u32_e32 v56, vcc_lo, s7, v56, vcc_lo
	v_add_co_u32 v23, vcc_lo, v23, s6
	s_delay_alu instid0(VALU_DEP_4)
	v_fmac_f32_e32 v19, v99, v102
	v_add_co_ci_u32_e32 v24, vcc_lo, s7, v24, vcc_lo
	v_add_co_u32 v57, vcc_lo, v57, s6
	v_add_co_ci_u32_e32 v58, vcc_lo, s7, v58, vcc_lo
	v_add_co_u32 v59, vcc_lo, v59, s6
	v_fmac_f32_e32 v19, v107, v110
	v_add_co_ci_u32_e32 v60, vcc_lo, s7, v60, vcc_lo
	v_add_co_u32 v61, vcc_lo, v61, s6
	v_add_co_ci_u32_e32 v62, vcc_lo, s7, v62, vcc_lo
	s_delay_alu instid0(VALU_DEP_4) | instskip(SKIP_3) | instid1(VALU_DEP_4)
	v_fmac_f32_e32 v19, v106, v113
	v_add_co_u32 v63, vcc_lo, v63, s6
	v_add_co_ci_u32_e32 v64, vcc_lo, s7, v64, vcc_lo
	v_add_co_u32 v65, vcc_lo, v65, s6
	v_fmac_f32_e32 v19, v109, v112
	v_add_co_ci_u32_e32 v66, vcc_lo, s7, v66, vcc_lo
	v_add_co_u32 v67, vcc_lo, v67, s6
	v_add_co_ci_u32_e32 v68, vcc_lo, s7, v68, vcc_lo
	v_add_co_u32 v69, vcc_lo, v69, s6
	v_fmac_f32_e32 v19, v108, v111
	v_add_co_ci_u32_e32 v70, vcc_lo, s7, v70, vcc_lo
	v_add_co_u32 v71, vcc_lo, v71, s6
	v_add_co_ci_u32_e32 v72, vcc_lo, s7, v72, vcc_lo
	s_delay_alu instid0(VALU_DEP_4) | instskip(SKIP_3) | instid1(VALU_DEP_4)
	v_fmac_f32_e32 v19, v115, v118
	v_add_co_u32 v73, vcc_lo, v73, s6
	v_add_co_ci_u32_e32 v74, vcc_lo, s7, v74, vcc_lo
	v_add_co_u32 v75, vcc_lo, v75, s6
	;; [unrolled: 14-line block ×4, first 2 shown]
	v_fmac_f32_e32 v19, v124, v17
	v_add_co_ci_u32_e32 v96, vcc_lo, s7, v96, vcc_lo
	s_add_i32 s5, s14, 2
	s_add_i32 s1, s14, 1
	;; [unrolled: 1-line block ×3, first 2 shown]
	s_cmp_ge_u32 s5, s15
	s_waitcnt_vscnt null, 0x0
	s_barrier
	buffer_gl0_inv
	s_cbranch_scc1 .LBB141_128
; %bb.123:                              ;   in Loop: Header=BB141_76 Depth=1
	s_mov_b32 s14, s1
	s_delay_alu instid0(SALU_CYCLE_1)
	s_cmp_eq_u32 s30, s14
	s_cselect_b32 s8, s28, 0
	s_and_saveexec_b32 s1, s2
	s_cbranch_execnz .LBB141_73
	s_branch .LBB141_76
.LBB141_124:                            ;   in Loop: Header=BB141_76 Depth=1
                                        ; implicit-def: $vgpr99
                                        ; implicit-def: $vgpr100
                                        ; implicit-def: $vgpr98
                                        ; implicit-def: $vgpr101
	s_cbranch_execnz .LBB141_86
	s_branch .LBB141_87
.LBB141_125:                            ;   in Loop: Header=BB141_76 Depth=1
                                        ; implicit-def: $vgpr108
                                        ; implicit-def: $vgpr109
                                        ; implicit-def: $vgpr106
                                        ; implicit-def: $vgpr107
	s_cbranch_execnz .LBB141_97
	s_branch .LBB141_98
.LBB141_126:                            ;   in Loop: Header=BB141_76 Depth=1
                                        ; implicit-def: $vgpr116
                                        ; implicit-def: $vgpr117
                                        ; implicit-def: $vgpr114
                                        ; implicit-def: $vgpr115
	s_cbranch_execnz .LBB141_108
	s_branch .LBB141_109
.LBB141_127:                            ;   in Loop: Header=BB141_76 Depth=1
                                        ; implicit-def: $vgpr124
                                        ; implicit-def: $vgpr125
                                        ; implicit-def: $vgpr122
                                        ; implicit-def: $vgpr123
	s_cbranch_execnz .LBB141_119
	s_branch .LBB141_120
.LBB141_128:
	v_cmp_gt_i32_e32 vcc_lo, s10, v5
	v_mad_u32_u24 v0, 0x10c, v18, v3
	s_or_b32 s0, s29, vcc_lo
	ds_store_b32 v0, v19
	s_and_b32 s0, s2, s0
	s_waitcnt lgkmcnt(0)
	s_barrier
	buffer_gl0_inv
	s_and_saveexec_b32 s1, s0
	s_cbranch_execz .LBB141_130
; %bb.129:
	ds_load_2addr_b32 v[0:1], v3 offset1:67
	ds_load_2addr_b32 v[2:3], v3 offset0:134 offset1:201
	v_ashrrev_i32_e32 v5, 31, v4
	s_waitcnt lgkmcnt(1)
	v_add_f32_e32 v0, v0, v1
	s_waitcnt lgkmcnt(0)
	s_delay_alu instid0(VALU_DEP_1) | instskip(SKIP_1) | instid1(VALU_DEP_2)
	v_add_f32_e32 v2, v0, v2
	v_lshlrev_b64 v[0:1], 2, v[4:5]
	v_add_f32_e32 v2, v2, v3
	s_delay_alu instid0(VALU_DEP_2) | instskip(NEXT) | instid1(VALU_DEP_3)
	v_add_co_u32 v0, vcc_lo, s3, v0
	v_add_co_ci_u32_e32 v1, vcc_lo, s11, v1, vcc_lo
	global_store_b32 v[0:1], v2, off
.LBB141_130:
	s_nop 0
	s_sendmsg sendmsg(MSG_DEALLOC_VGPRS)
	s_endpgm
	.section	.rodata,"a",@progbits
	.p2align	6, 0x0
	.amdhsa_kernel _ZL26rocblas_hemvn_kernel_upperILb0ELi64ELi4ELi33ELi32ELi16EifPKPKfPfEviT6_lT7_lT5_lS6_lS7_lS5_lT8_i
		.amdhsa_group_segment_fixed_size 4800
		.amdhsa_private_segment_fixed_size 0
		.amdhsa_kernarg_size 368
		.amdhsa_user_sgpr_count 14
		.amdhsa_user_sgpr_dispatch_ptr 0
		.amdhsa_user_sgpr_queue_ptr 0
		.amdhsa_user_sgpr_kernarg_segment_ptr 1
		.amdhsa_user_sgpr_dispatch_id 0
		.amdhsa_user_sgpr_private_segment_size 0
		.amdhsa_wavefront_size32 1
		.amdhsa_uses_dynamic_stack 0
		.amdhsa_enable_private_segment 0
		.amdhsa_system_sgpr_workgroup_id_x 1
		.amdhsa_system_sgpr_workgroup_id_y 0
		.amdhsa_system_sgpr_workgroup_id_z 1
		.amdhsa_system_sgpr_workgroup_info 0
		.amdhsa_system_vgpr_workitem_id 1
		.amdhsa_next_free_vgpr 132
		.amdhsa_next_free_sgpr 45
		.amdhsa_reserve_vcc 1
		.amdhsa_float_round_mode_32 0
		.amdhsa_float_round_mode_16_64 0
		.amdhsa_float_denorm_mode_32 3
		.amdhsa_float_denorm_mode_16_64 3
		.amdhsa_dx10_clamp 1
		.amdhsa_ieee_mode 1
		.amdhsa_fp16_overflow 0
		.amdhsa_workgroup_processor_mode 1
		.amdhsa_memory_ordered 1
		.amdhsa_forward_progress 0
		.amdhsa_shared_vgpr_count 0
		.amdhsa_exception_fp_ieee_invalid_op 0
		.amdhsa_exception_fp_denorm_src 0
		.amdhsa_exception_fp_ieee_div_zero 0
		.amdhsa_exception_fp_ieee_overflow 0
		.amdhsa_exception_fp_ieee_underflow 0
		.amdhsa_exception_fp_ieee_inexact 0
		.amdhsa_exception_int_div_zero 0
	.end_amdhsa_kernel
	.section	.text._ZL26rocblas_hemvn_kernel_upperILb0ELi64ELi4ELi33ELi32ELi16EifPKPKfPfEviT6_lT7_lT5_lS6_lS7_lS5_lT8_i,"axG",@progbits,_ZL26rocblas_hemvn_kernel_upperILb0ELi64ELi4ELi33ELi32ELi16EifPKPKfPfEviT6_lT7_lT5_lS6_lS7_lS5_lT8_i,comdat
.Lfunc_end141:
	.size	_ZL26rocblas_hemvn_kernel_upperILb0ELi64ELi4ELi33ELi32ELi16EifPKPKfPfEviT6_lT7_lT5_lS6_lS7_lS5_lT8_i, .Lfunc_end141-_ZL26rocblas_hemvn_kernel_upperILb0ELi64ELi4ELi33ELi32ELi16EifPKPKfPfEviT6_lT7_lT5_lS6_lS7_lS5_lT8_i
                                        ; -- End function
	.section	.AMDGPU.csdata,"",@progbits
; Kernel info:
; codeLenInByte = 7928
; NumSgprs: 47
; NumVgprs: 132
; ScratchSize: 0
; MemoryBound: 0
; FloatMode: 240
; IeeeMode: 1
; LDSByteSize: 4800 bytes/workgroup (compile time only)
; SGPRBlocks: 5
; VGPRBlocks: 16
; NumSGPRsForWavesPerEU: 47
; NumVGPRsForWavesPerEU: 132
; Occupancy: 10
; WaveLimiterHint : 1
; COMPUTE_PGM_RSRC2:SCRATCH_EN: 0
; COMPUTE_PGM_RSRC2:USER_SGPR: 14
; COMPUTE_PGM_RSRC2:TRAP_HANDLER: 0
; COMPUTE_PGM_RSRC2:TGID_X_EN: 1
; COMPUTE_PGM_RSRC2:TGID_Y_EN: 0
; COMPUTE_PGM_RSRC2:TGID_Z_EN: 1
; COMPUTE_PGM_RSRC2:TIDIG_COMP_CNT: 1
	.section	.text._ZL36rocblas_hemvn_kernel_upper_block_sumILi64EifPKPffEviT1_lS3_lT2_lT0_lPT3_i,"axG",@progbits,_ZL36rocblas_hemvn_kernel_upper_block_sumILi64EifPKPffEviT1_lS3_lT2_lT0_lPT3_i,comdat
	.globl	_ZL36rocblas_hemvn_kernel_upper_block_sumILi64EifPKPffEviT1_lS3_lT2_lT0_lPT3_i ; -- Begin function _ZL36rocblas_hemvn_kernel_upper_block_sumILi64EifPKPffEviT1_lS3_lT2_lT0_lPT3_i
	.p2align	8
	.type	_ZL36rocblas_hemvn_kernel_upper_block_sumILi64EifPKPffEviT1_lS3_lT2_lT0_lPT3_i,@function
_ZL36rocblas_hemvn_kernel_upper_block_sumILi64EifPKPffEviT1_lS3_lT2_lT0_lPT3_i: ; @_ZL36rocblas_hemvn_kernel_upper_block_sumILi64EifPKPffEviT1_lS3_lT2_lT0_lPT3_i
; %bb.0:
	s_clause 0x1
	s_load_b64 s[6:7], s[0:1], 0x0
	s_load_b32 s9, s[0:1], 0x10
	s_mov_b32 s5, 0
	s_waitcnt lgkmcnt(0)
	v_cmp_eq_f32_e64 s2, s7, 0
	v_cmp_eq_f32_e64 s3, s9, 1.0
	s_delay_alu instid0(VALU_DEP_1) | instskip(NEXT) | instid1(SALU_CYCLE_1)
	s_and_b32 s2, s2, s3
	s_and_b32 vcc_lo, exec_lo, s2
	s_cbranch_vccnz .LBB142_19
; %bb.1:
	s_clause 0x1
	s_load_b128 s[16:19], s[0:1], 0x20
	s_load_b32 s10, s[0:1], 0x30
	s_mov_b32 s4, s15
	v_lshl_or_b32 v0, s14, 6, v0
	s_lshl_b64 s[2:3], s[4:5], 3
	s_waitcnt lgkmcnt(0)
	s_add_u32 s2, s16, s2
	s_addc_u32 s3, s17, s3
	s_lshl_b64 s[16:17], s[18:19], 2
	s_load_b64 s[12:13], s[2:3], 0x0
	v_cmp_neq_f32_e64 s2, s7, 0
	s_waitcnt lgkmcnt(0)
	s_add_u32 s3, s12, s16
	s_addc_u32 s8, s13, s17
	s_delay_alu instid0(VALU_DEP_1)
	s_and_b32 vcc_lo, exec_lo, s2
	v_cmp_gt_i32_e64 s2, s6, v0
	s_cbranch_vccnz .LBB142_6
; %bb.2:
	s_mov_b32 s11, 0
                                        ; implicit-def: $vgpr4
                                        ; implicit-def: $vgpr2_vgpr3
	s_delay_alu instid0(VALU_DEP_1)
	s_and_saveexec_b32 s12, s2
	s_cbranch_execz .LBB142_7
; %bb.3:
	v_mul_lo_u32 v2, v0, s10
	v_cmp_eq_f32_e64 s2, s9, 0
	v_mov_b32_e32 v4, 0
	s_delay_alu instid0(VALU_DEP_2) | instskip(NEXT) | instid1(VALU_DEP_3)
	s_and_b32 vcc_lo, exec_lo, s2
	v_ashrrev_i32_e32 v3, 31, v2
	s_cbranch_vccnz .LBB142_5
; %bb.4:
	s_delay_alu instid0(VALU_DEP_1) | instskip(NEXT) | instid1(VALU_DEP_1)
	v_lshlrev_b64 v[4:5], 2, v[2:3]
	v_add_co_u32 v4, vcc_lo, s3, v4
	s_delay_alu instid0(VALU_DEP_2)
	v_add_co_ci_u32_e32 v5, vcc_lo, s8, v5, vcc_lo
	global_load_b32 v1, v[4:5], off
	s_waitcnt vmcnt(0)
	v_mul_f32_e32 v4, s9, v1
.LBB142_5:
	s_mov_b32 s5, exec_lo
	s_or_b32 exec_lo, exec_lo, s12
	s_delay_alu instid0(SALU_CYCLE_1)
	s_and_b32 vcc_lo, exec_lo, s11
	s_cbranch_vccnz .LBB142_8
	s_branch .LBB142_17
.LBB142_6:
                                        ; implicit-def: $vgpr4
                                        ; implicit-def: $vgpr2_vgpr3
	s_cbranch_execnz .LBB142_8
	s_branch .LBB142_17
.LBB142_7:
	s_or_b32 exec_lo, exec_lo, s12
	s_delay_alu instid0(SALU_CYCLE_1)
	s_and_b32 vcc_lo, exec_lo, s11
	s_cbranch_vccz .LBB142_17
.LBB142_8:
	s_mov_b32 s2, exec_lo
                                        ; implicit-def: $vgpr4
                                        ; implicit-def: $vgpr2_vgpr3
	v_cmpx_gt_i32_e64 s6, v0
	s_cbranch_execz .LBB142_16
; %bb.9:
	v_mov_b32_e32 v1, 0
	s_cmp_lt_i32 s14, 0
	s_cbranch_scc1 .LBB142_12
; %bb.10:
	s_clause 0x1
	s_load_b32 s11, s[0:1], 0x50
	s_load_b64 s[0:1], s[0:1], 0x40
	s_ashr_i32 s13, s6, 31
	s_mul_hi_u32 s12, s6, s4
	s_mul_i32 s15, s13, s4
	v_mov_b32_e32 v1, 0
	s_mul_i32 s4, s6, s4
	s_add_i32 s12, s12, s15
	s_delay_alu instid0(VALU_DEP_1)
	v_lshlrev_b64 v[2:3], 2, v[0:1]
	s_waitcnt lgkmcnt(0)
	s_mul_i32 s12, s12, s11
	s_mul_hi_u32 s15, s4, s11
	s_mul_i32 s16, s4, s11
	s_add_i32 s17, s15, s12
	s_mov_b32 s12, s6
	s_lshl_b64 s[16:17], s[16:17], 2
	s_delay_alu instid0(SALU_CYCLE_1)
	s_add_u32 s0, s0, s16
	s_addc_u32 s1, s1, s17
	v_add_co_u32 v2, vcc_lo, s0, v2
	v_add_co_ci_u32_e32 v3, vcc_lo, s1, v3, vcc_lo
	s_add_i32 s4, s14, 1
	s_lshl_b64 s[0:1], s[12:13], 2
.LBB142_11:                             ; =>This Inner Loop Header: Depth=1
	global_load_b32 v4, v[2:3], off
	v_add_co_u32 v2, vcc_lo, v2, s0
	v_add_co_ci_u32_e32 v3, vcc_lo, s1, v3, vcc_lo
	s_add_i32 s4, s4, -1
	s_delay_alu instid0(SALU_CYCLE_1)
	s_cmp_eq_u32 s4, 0
	s_waitcnt vmcnt(0)
	v_add_f32_e32 v1, v1, v4
	s_cbranch_scc0 .LBB142_11
.LBB142_12:
	v_mul_lo_u32 v2, v0, s10
	v_cmp_eq_f32_e64 s0, s9, 0
	s_delay_alu instid0(VALU_DEP_1) | instskip(SKIP_1) | instid1(VALU_DEP_2)
	s_and_b32 vcc_lo, exec_lo, s0
	s_mov_b32 s0, 0
	v_ashrrev_i32_e32 v3, 31, v2
	s_cbranch_vccz .LBB142_20
; %bb.13:
	v_mul_f32_e32 v4, s7, v1
	s_and_not1_b32 vcc_lo, exec_lo, s0
	s_cbranch_vccnz .LBB142_15
.LBB142_14:
	s_delay_alu instid0(VALU_DEP_1) | instskip(NEXT) | instid1(VALU_DEP_1)
	v_lshlrev_b64 v[4:5], 2, v[2:3]
	v_add_co_u32 v4, vcc_lo, s3, v4
	s_delay_alu instid0(VALU_DEP_2) | instskip(SKIP_3) | instid1(VALU_DEP_1)
	v_add_co_ci_u32_e32 v5, vcc_lo, s8, v5, vcc_lo
	global_load_b32 v0, v[4:5], off
	s_waitcnt vmcnt(0)
	v_mul_f32_e32 v4, s9, v0
	v_fmac_f32_e32 v4, s7, v1
.LBB142_15:
	s_or_b32 s5, s5, exec_lo
.LBB142_16:
	s_or_b32 exec_lo, exec_lo, s2
.LBB142_17:
	s_and_saveexec_b32 s0, s5
	s_cbranch_execz .LBB142_19
; %bb.18:
	v_lshlrev_b64 v[0:1], 2, v[2:3]
	s_delay_alu instid0(VALU_DEP_1) | instskip(NEXT) | instid1(VALU_DEP_2)
	v_add_co_u32 v0, vcc_lo, s3, v0
	v_add_co_ci_u32_e32 v1, vcc_lo, s8, v1, vcc_lo
	global_store_b32 v[0:1], v4, off
.LBB142_19:
	s_nop 0
	s_sendmsg sendmsg(MSG_DEALLOC_VGPRS)
	s_endpgm
.LBB142_20:
                                        ; implicit-def: $vgpr4
	s_branch .LBB142_14
	.section	.rodata,"a",@progbits
	.p2align	6, 0x0
	.amdhsa_kernel _ZL36rocblas_hemvn_kernel_upper_block_sumILi64EifPKPffEviT1_lS3_lT2_lT0_lPT3_i
		.amdhsa_group_segment_fixed_size 0
		.amdhsa_private_segment_fixed_size 0
		.amdhsa_kernarg_size 336
		.amdhsa_user_sgpr_count 14
		.amdhsa_user_sgpr_dispatch_ptr 0
		.amdhsa_user_sgpr_queue_ptr 0
		.amdhsa_user_sgpr_kernarg_segment_ptr 1
		.amdhsa_user_sgpr_dispatch_id 0
		.amdhsa_user_sgpr_private_segment_size 0
		.amdhsa_wavefront_size32 1
		.amdhsa_uses_dynamic_stack 0
		.amdhsa_enable_private_segment 0
		.amdhsa_system_sgpr_workgroup_id_x 1
		.amdhsa_system_sgpr_workgroup_id_y 0
		.amdhsa_system_sgpr_workgroup_id_z 1
		.amdhsa_system_sgpr_workgroup_info 0
		.amdhsa_system_vgpr_workitem_id 0
		.amdhsa_next_free_vgpr 6
		.amdhsa_next_free_sgpr 20
		.amdhsa_reserve_vcc 1
		.amdhsa_float_round_mode_32 0
		.amdhsa_float_round_mode_16_64 0
		.amdhsa_float_denorm_mode_32 3
		.amdhsa_float_denorm_mode_16_64 3
		.amdhsa_dx10_clamp 1
		.amdhsa_ieee_mode 1
		.amdhsa_fp16_overflow 0
		.amdhsa_workgroup_processor_mode 1
		.amdhsa_memory_ordered 1
		.amdhsa_forward_progress 0
		.amdhsa_shared_vgpr_count 0
		.amdhsa_exception_fp_ieee_invalid_op 0
		.amdhsa_exception_fp_denorm_src 0
		.amdhsa_exception_fp_ieee_div_zero 0
		.amdhsa_exception_fp_ieee_overflow 0
		.amdhsa_exception_fp_ieee_underflow 0
		.amdhsa_exception_fp_ieee_inexact 0
		.amdhsa_exception_int_div_zero 0
	.end_amdhsa_kernel
	.section	.text._ZL36rocblas_hemvn_kernel_upper_block_sumILi64EifPKPffEviT1_lS3_lT2_lT0_lPT3_i,"axG",@progbits,_ZL36rocblas_hemvn_kernel_upper_block_sumILi64EifPKPffEviT1_lS3_lT2_lT0_lPT3_i,comdat
.Lfunc_end142:
	.size	_ZL36rocblas_hemvn_kernel_upper_block_sumILi64EifPKPffEviT1_lS3_lT2_lT0_lPT3_i, .Lfunc_end142-_ZL36rocblas_hemvn_kernel_upper_block_sumILi64EifPKPffEviT1_lS3_lT2_lT0_lPT3_i
                                        ; -- End function
	.section	.AMDGPU.csdata,"",@progbits
; Kernel info:
; codeLenInByte = 652
; NumSgprs: 22
; NumVgprs: 6
; ScratchSize: 0
; MemoryBound: 0
; FloatMode: 240
; IeeeMode: 1
; LDSByteSize: 0 bytes/workgroup (compile time only)
; SGPRBlocks: 2
; VGPRBlocks: 0
; NumSGPRsForWavesPerEU: 22
; NumVGPRsForWavesPerEU: 6
; Occupancy: 16
; WaveLimiterHint : 1
; COMPUTE_PGM_RSRC2:SCRATCH_EN: 0
; COMPUTE_PGM_RSRC2:USER_SGPR: 14
; COMPUTE_PGM_RSRC2:TRAP_HANDLER: 0
; COMPUTE_PGM_RSRC2:TGID_X_EN: 1
; COMPUTE_PGM_RSRC2:TGID_Y_EN: 0
; COMPUTE_PGM_RSRC2:TGID_Z_EN: 1
; COMPUTE_PGM_RSRC2:TIDIG_COMP_CNT: 0
	.section	.text._ZL50rocblas_symv_kernel_lower_double_buffered_diagonalILi32ELi4E24rocblas_internal_val_ptrIfEPKPKfPKPfEvbiT1_lT2_lllSA_lllS9_lT3_llli,"axG",@progbits,_ZL50rocblas_symv_kernel_lower_double_buffered_diagonalILi32ELi4E24rocblas_internal_val_ptrIfEPKPKfPKPfEvbiT1_lT2_lllSA_lllS9_lT3_llli,comdat
	.globl	_ZL50rocblas_symv_kernel_lower_double_buffered_diagonalILi32ELi4E24rocblas_internal_val_ptrIfEPKPKfPKPfEvbiT1_lT2_lllSA_lllS9_lT3_llli ; -- Begin function _ZL50rocblas_symv_kernel_lower_double_buffered_diagonalILi32ELi4E24rocblas_internal_val_ptrIfEPKPKfPKPfEvbiT1_lT2_lllSA_lllS9_lT3_llli
	.p2align	8
	.type	_ZL50rocblas_symv_kernel_lower_double_buffered_diagonalILi32ELi4E24rocblas_internal_val_ptrIfEPKPKfPKPfEvbiT1_lT2_lllSA_lllS9_lT3_llli,@function
_ZL50rocblas_symv_kernel_lower_double_buffered_diagonalILi32ELi4E24rocblas_internal_val_ptrIfEPKPKfPKPfEvbiT1_lT2_lllSA_lllS9_lT3_llli: ; @_ZL50rocblas_symv_kernel_lower_double_buffered_diagonalILi32ELi4E24rocblas_internal_val_ptrIfEPKPKfPKPfEvbiT1_lT2_lllSA_lllS9_lT3_llli
; %bb.0:
	s_clause 0x2
	s_load_b32 s3, s[0:1], 0x0
	s_load_b256 s[4:11], s[0:1], 0x8
	s_load_b64 s[12:13], s[0:1], 0x28
	s_mov_b32 s2, s15
	s_mov_b32 s20, -1
                                        ; implicit-def: $sgpr15
	s_waitcnt lgkmcnt(0)
	s_bitcmp1_b32 s3, 0
	s_cselect_b32 s3, -1, 0
	s_delay_alu instid0(SALU_CYCLE_1) | instskip(NEXT) | instid1(SALU_CYCLE_1)
	s_xor_b32 s3, s3, -1
	s_and_b32 vcc_lo, exec_lo, s3
	s_cbranch_vccnz .LBB143_7
; %bb.1:
	s_load_b128 s[16:19], s[0:1], 0x58
	s_and_not1_b32 vcc_lo, exec_lo, s20
	s_cbranch_vccz .LBB143_8
.LBB143_2:
	s_and_not1_b32 vcc_lo, exec_lo, s3
	s_cbranch_vccnz .LBB143_4
.LBB143_3:
	s_waitcnt lgkmcnt(0)
	s_mul_i32 s3, s2, s19
	s_mul_hi_u32 s4, s2, s18
	s_delay_alu instid0(SALU_CYCLE_1) | instskip(SKIP_1) | instid1(SALU_CYCLE_1)
	s_add_i32 s5, s4, s3
	s_mul_i32 s4, s2, s18
	s_lshl_b64 s[4:5], s[4:5], 2
	s_delay_alu instid0(SALU_CYCLE_1)
	s_add_u32 s4, s16, s4
	s_addc_u32 s5, s17, s5
	s_load_b32 s16, s[4:5], 0x0
.LBB143_4:
	s_waitcnt lgkmcnt(0)
	v_cmp_eq_f32_e64 s17, s15, 0
	v_cmp_eq_f32_e64 s3, s16, 1.0
	s_delay_alu instid0(VALU_DEP_1) | instskip(NEXT) | instid1(SALU_CYCLE_1)
	s_and_b32 s3, s17, s3
	s_and_b32 vcc_lo, exec_lo, s3
	s_cbranch_vccnz .LBB143_45
; %bb.5:
	v_cmp_neq_f32_e64 s22, s15, 0
	s_delay_alu instid0(VALU_DEP_1)
	s_and_b32 vcc_lo, exec_lo, s22
	s_cbranch_vccnz .LBB143_9
; %bb.6:
	s_mov_b32 s3, 0
	s_mov_b64 s[18:19], 0
	s_load_b64 s[20:21], s[0:1], 0x68
	s_cbranch_execz .LBB143_10
	s_branch .LBB143_11
.LBB143_7:
	s_mul_i32 s7, s2, s7
	s_mul_hi_u32 s15, s2, s6
	s_mul_i32 s6, s2, s6
	s_add_i32 s7, s15, s7
	s_delay_alu instid0(SALU_CYCLE_1) | instskip(NEXT) | instid1(SALU_CYCLE_1)
	s_lshl_b64 s[6:7], s[6:7], 2
	s_add_u32 s6, s4, s6
	s_addc_u32 s7, s5, s7
	s_load_b32 s15, s[6:7], 0x0
	s_load_b128 s[16:19], s[0:1], 0x58
	s_cbranch_execnz .LBB143_2
.LBB143_8:
	s_waitcnt lgkmcnt(0)
	s_mov_b32 s15, s4
	s_and_not1_b32 vcc_lo, exec_lo, s3
	s_cbranch_vccz .LBB143_3
	s_branch .LBB143_4
.LBB143_9:
	s_mov_b32 s3, -1
                                        ; implicit-def: $sgpr18_sgpr19
	s_load_b64 s[20:21], s[0:1], 0x68
.LBB143_10:
	s_mov_b32 s3, 0
	s_delay_alu instid0(SALU_CYCLE_1) | instskip(NEXT) | instid1(SALU_CYCLE_1)
	s_lshl_b64 s[4:5], s[2:3], 3
	s_add_u32 s4, s8, s4
	s_addc_u32 s5, s9, s5
	s_lshl_b64 s[6:7], s[10:11], 2
	s_load_b64 s[4:5], s[4:5], 0x0
	s_waitcnt lgkmcnt(0)
	s_add_u32 s18, s4, s6
	s_addc_u32 s19, s5, s7
.LBB143_11:
	s_clause 0x1
	s_load_b128 s[4:7], s[0:1], 0x38
	s_load_b64 s[8:9], s[0:1], 0x48
	s_and_not1_b32 vcc_lo, exec_lo, s22
	s_cbranch_vccnz .LBB143_13
; %bb.12:
	s_lshl_b64 s[10:11], s[2:3], 3
	s_waitcnt lgkmcnt(0)
	s_add_u32 s4, s4, s10
	s_addc_u32 s5, s5, s11
	s_lshl_b64 s[6:7], s[6:7], 2
	s_load_b64 s[4:5], s[4:5], 0x0
	s_waitcnt lgkmcnt(0)
	s_add_u32 s4, s4, s6
	s_addc_u32 s5, s5, s7
	s_branch .LBB143_14
.LBB143_13:
	s_waitcnt lgkmcnt(0)
	s_mov_b64 s[4:5], 0
.LBB143_14:
	s_lshl_b64 s[6:7], s[2:3], 3
	s_load_b128 s[0:3], s[0:1], 0x70
	s_add_u32 s6, s20, s6
	s_addc_u32 s7, s21, s7
	v_bfe_u32 v3, v0, 10, 10
	s_load_b64 s[6:7], s[6:7], 0x0
	v_and_b32_e32 v2, 0x3ff, v0
	s_waitcnt lgkmcnt(0)
	s_lshl_b64 s[0:1], s[0:1], 2
	s_delay_alu instid0(SALU_CYCLE_1) | instskip(SKIP_2) | instid1(SALU_CYCLE_1)
	s_add_u32 s6, s6, s0
	s_addc_u32 s11, s7, s1
	s_lshl_b32 s7, s14, 5
	s_mul_i32 s0, s7, s3
	s_mul_hi_u32 s1, s7, s2
	s_ashr_i32 s10, s7, 31
	s_add_i32 s1, s1, s0
	s_mul_i32 s14, s10, s2
	s_mul_i32 s0, s7, s2
	s_add_i32 s1, s1, s14
	s_delay_alu instid0(SALU_CYCLE_1)
	s_lshl_b64 s[20:21], s[0:1], 2
	v_cmp_eq_u32_e64 s0, 0, v3
	s_add_u32 s1, s6, s20
	s_addc_u32 s6, s11, s21
	s_and_not1_b32 vcc_lo, exec_lo, s17
	s_mov_b32 s11, -1
	s_cbranch_vccnz .LBB143_18
; %bb.15:
	s_mov_b32 s11, 0
	s_and_saveexec_b32 s14, s0
	s_cbranch_execz .LBB143_17
; %bb.16:
	v_mad_u64_u32 v[0:1], null, v2, s2, 0
	s_delay_alu instid0(VALU_DEP_1) | instskip(NEXT) | instid1(VALU_DEP_1)
	v_mad_u64_u32 v[4:5], null, v2, s3, v[1:2]
	v_mov_b32_e32 v1, v4
	s_delay_alu instid0(VALU_DEP_1) | instskip(NEXT) | instid1(VALU_DEP_1)
	v_lshlrev_b64 v[0:1], 2, v[0:1]
	v_add_co_u32 v0, vcc_lo, s1, v0
	s_delay_alu instid0(VALU_DEP_2)
	v_add_co_ci_u32_e32 v1, vcc_lo, s6, v1, vcc_lo
	global_load_b32 v4, v[0:1], off
	s_waitcnt vmcnt(0)
	v_mul_f32_e32 v4, s16, v4
	global_store_b32 v[0:1], v4, off
.LBB143_17:
	s_or_b32 exec_lo, exec_lo, s14
.LBB143_18:
	s_delay_alu instid0(SALU_CYCLE_1)
	s_and_not1_b32 vcc_lo, exec_lo, s11
	s_cbranch_vccnz .LBB143_45
; %bb.19:
	v_mov_b32_e32 v4, 0
	v_cmp_eq_u32_e64 s0, 0, v3
	s_delay_alu instid0(VALU_DEP_1)
	s_and_saveexec_b32 s11, s0
	s_cbranch_execz .LBB143_23
; %bb.20:
	v_cmp_eq_f32_e64 s14, s16, 0
	v_mov_b32_e32 v4, 0
	s_delay_alu instid0(VALU_DEP_2)
	s_and_b32 vcc_lo, exec_lo, s14
	s_cbranch_vccnz .LBB143_22
; %bb.21:
	v_mad_u64_u32 v[0:1], null, v2, s2, 0
	s_delay_alu instid0(VALU_DEP_1) | instskip(NEXT) | instid1(VALU_DEP_1)
	v_mad_u64_u32 v[4:5], null, v2, s3, v[1:2]
	v_mov_b32_e32 v1, v4
	s_delay_alu instid0(VALU_DEP_1) | instskip(NEXT) | instid1(VALU_DEP_1)
	v_lshlrev_b64 v[0:1], 2, v[0:1]
	v_add_co_u32 v0, vcc_lo, s1, v0
	s_delay_alu instid0(VALU_DEP_2)
	v_add_co_ci_u32_e32 v1, vcc_lo, s6, v1, vcc_lo
	global_load_b32 v0, v[0:1], off
	s_waitcnt vmcnt(0)
	v_mul_f32_e32 v4, s16, v0
.LBB143_22:
	v_mad_u64_u32 v[0:1], null, v2, s8, 0
	s_mul_hi_u32 s14, s7, s8
	s_mul_i32 s17, s10, s8
	s_mul_i32 s8, s7, s8
	s_delay_alu instid0(VALU_DEP_1) | instskip(SKIP_1) | instid1(SALU_CYCLE_1)
	v_mad_u64_u32 v[5:6], null, v2, s9, v[1:2]
	s_mul_i32 s9, s7, s9
	s_add_i32 s9, s14, s9
	s_delay_alu instid0(SALU_CYCLE_1) | instskip(NEXT) | instid1(SALU_CYCLE_1)
	s_add_i32 s9, s9, s17
	s_lshl_b64 s[8:9], s[8:9], 2
	s_delay_alu instid0(VALU_DEP_1) | instskip(SKIP_2) | instid1(VALU_DEP_1)
	v_mov_b32_e32 v1, v5
	s_add_u32 s4, s4, s8
	s_addc_u32 s5, s5, s9
	v_lshlrev_b64 v[0:1], 2, v[0:1]
	s_delay_alu instid0(VALU_DEP_1) | instskip(NEXT) | instid1(VALU_DEP_2)
	v_add_co_u32 v0, vcc_lo, s4, v0
	v_add_co_ci_u32_e32 v1, vcc_lo, s5, v1, vcc_lo
	flat_load_b32 v0, v[0:1]
	v_lshlrev_b32_e32 v1, 2, v2
	s_waitcnt vmcnt(0) lgkmcnt(0)
	ds_store_b32 v1, v0 offset:5120
.LBB143_23:
	s_or_b32 exec_lo, exec_lo, s11
	v_mad_u64_u32 v[0:1], null, v3, s12, 0
	s_add_u32 s4, s12, 1
	s_addc_u32 s5, s13, 0
	s_mul_i32 s8, s4, s10
	s_mul_hi_u32 s9, s4, s7
	s_mul_i32 s5, s5, s7
	s_add_i32 s8, s9, s8
	s_delay_alu instid0(VALU_DEP_1)
	v_mad_u64_u32 v[5:6], null, v3, s13, v[1:2]
	v_lshl_add_u32 v6, v3, 5, v2
	s_mul_i32 s4, s4, s7
	s_add_i32 s5, s8, s5
	v_add_nc_u32_e32 v12, 4, v3
	s_lshl_b64 s[4:5], s[4:5], 2
	v_add_nc_u32_e32 v11, 8, v3
	s_delay_alu instid0(VALU_DEP_4) | instskip(SKIP_3) | instid1(VALU_DEP_2)
	v_dual_mov_b32 v1, v5 :: v_dual_lshlrev_b32 v6, 2, v6
	s_add_u32 s4, s18, s4
	v_lshlrev_b32_e32 v5, 2, v2
	s_addc_u32 s5, s19, s5
	v_lshlrev_b64 v[0:1], 2, v[0:1]
	v_lshlrev_b32_e32 v8, 5, v12
	v_add_nc_u32_e32 v10, 12, v3
	s_mov_b32 s7, exec_lo
	s_delay_alu instid0(VALU_DEP_2) | instskip(NEXT) | instid1(VALU_DEP_4)
	v_add_lshl_u32 v9, v8, v2, 2
	v_add_co_u32 v0, vcc_lo, s4, v0
	v_add_co_ci_u32_e32 v1, vcc_lo, s5, v1, vcc_lo
	s_lshl_b64 s[4:5], s[12:13], 4
	s_delay_alu instid0(VALU_DEP_2) | instskip(NEXT) | instid1(VALU_DEP_2)
	v_add_co_u32 v0, vcc_lo, v0, v5
	v_add_co_ci_u32_e32 v1, vcc_lo, 0, v1, vcc_lo
	flat_load_b32 v7, v[0:1]
	v_add_co_u32 v0, vcc_lo, v0, s4
	v_add_co_ci_u32_e32 v1, vcc_lo, s5, v1, vcc_lo
	s_waitcnt vmcnt(0) lgkmcnt(0)
	ds_store_b32 v6, v7
	flat_load_b32 v7, v[0:1]
	v_add_co_u32 v0, vcc_lo, v0, s4
	v_add_co_ci_u32_e32 v1, vcc_lo, s5, v1, vcc_lo
	s_waitcnt vmcnt(0) lgkmcnt(0)
	ds_store_b32 v9, v7
	flat_load_b32 v8, v[0:1]
	v_lshlrev_b32_e32 v7, 5, v11
	v_add_co_u32 v0, vcc_lo, v0, s4
	v_add_co_ci_u32_e32 v1, vcc_lo, s5, v1, vcc_lo
	s_delay_alu instid0(VALU_DEP_3) | instskip(SKIP_4) | instid1(VALU_DEP_1)
	v_add_lshl_u32 v7, v7, v2, 2
	s_waitcnt vmcnt(0) lgkmcnt(0)
	ds_store_b32 v7, v8
	flat_load_b32 v13, v[0:1]
	v_lshlrev_b32_e32 v8, 5, v10
	v_add_lshl_u32 v8, v8, v2, 2
	s_waitcnt vmcnt(0) lgkmcnt(0)
	ds_store_b32 v8, v13
	v_cmpx_lt_u32_e32 15, v2
	s_cbranch_execz .LBB143_25
; %bb.24:
	v_add_co_u32 v0, vcc_lo, v0, s4
	v_add_co_ci_u32_e32 v1, vcc_lo, s5, v1, vcc_lo
	s_lshl_b64 s[8:9], s[12:13], 2
	s_delay_alu instid0(SALU_CYCLE_1)
	s_lshl_b64 s[8:9], s[8:9], 2
	flat_load_b32 v13, v[0:1]
	v_add_co_u32 v0, vcc_lo, v0, s8
	v_add_co_ci_u32_e32 v1, vcc_lo, s9, v1, vcc_lo
	s_waitcnt vmcnt(0) lgkmcnt(0)
	ds_store_b32 v6, v13 offset:2048
	flat_load_b32 v13, v[0:1]
	v_add_co_u32 v0, vcc_lo, v0, s4
	v_add_co_ci_u32_e32 v1, vcc_lo, s5, v1, vcc_lo
	s_waitcnt vmcnt(0) lgkmcnt(0)
	ds_store_b32 v6, v13 offset:2560
	;; [unrolled: 5-line block ×3, first 2 shown]
	flat_load_b32 v0, v[0:1]
	s_waitcnt vmcnt(0) lgkmcnt(0)
	ds_store_b32 v6, v0 offset:3584
.LBB143_25:
	s_or_b32 exec_lo, exec_lo, s7
	v_lshlrev_b32_e32 v1, 5, v2
	s_mov_b32 s4, exec_lo
	s_waitcnt lgkmcnt(0)
	s_waitcnt_vscnt null, 0x0
	s_barrier
	buffer_gl0_inv
	v_cmpx_lt_u32_e64 v2, v3
	s_cbranch_execz .LBB143_27
; %bb.26:
	v_add_lshl_u32 v0, v1, v3, 2
	ds_load_b32 v0, v0
	s_waitcnt lgkmcnt(0)
	ds_store_b32 v6, v0
.LBB143_27:
	s_or_b32 exec_lo, exec_lo, s4
	v_sub_nc_u32_e32 v0, v2, v3
	v_add_lshl_u32 v14, v3, v1, 2
	s_mov_b32 s4, exec_lo
	s_delay_alu instid0(VALU_DEP_2) | instskip(NEXT) | instid1(VALU_DEP_1)
	v_sub_nc_u32_e32 v13, 0, v0
	v_max_i32_e32 v13, v0, v13
	s_delay_alu instid0(VALU_DEP_1)
	v_cmpx_gt_u32_e32 4, v13
	s_cbranch_execz .LBB143_29
; %bb.28:
	ds_load_b32 v0, v14 offset:16
	s_waitcnt lgkmcnt(0)
	ds_store_b32 v9, v0
.LBB143_29:
	s_or_b32 exec_lo, exec_lo, s4
	s_delay_alu instid0(SALU_CYCLE_1)
	s_mov_b32 s4, exec_lo
	v_cmpx_gt_u32_e32 8, v13
	s_cbranch_execz .LBB143_31
; %bb.30:
	ds_load_b32 v0, v14 offset:32
	s_waitcnt lgkmcnt(0)
	ds_store_b32 v7, v0
.LBB143_31:
	s_or_b32 exec_lo, exec_lo, s4
	s_delay_alu instid0(SALU_CYCLE_1)
	s_mov_b32 s4, exec_lo
	v_cmpx_gt_u32_e32 12, v13
	s_cbranch_execz .LBB143_33
; %bb.32:
	ds_load_b32 v0, v14 offset:48
	s_waitcnt lgkmcnt(0)
	ds_store_b32 v8, v0
.LBB143_33:
	s_or_b32 exec_lo, exec_lo, s4
	v_add_nc_u32_e32 v0, 16, v3
	s_mov_b32 s4, exec_lo
	s_delay_alu instid0(VALU_DEP_1)
	v_lshlrev_b32_e32 v0, 5, v0
	v_cmpx_gt_u32_e32 16, v13
	s_cbranch_execz .LBB143_35
; %bb.34:
	ds_load_b32 v14, v14 offset:64
	v_add_lshl_u32 v15, v0, v2, 2
	s_waitcnt lgkmcnt(0)
	ds_store_b32 v15, v14
.LBB143_35:
	s_or_b32 exec_lo, exec_lo, s4
	s_delay_alu instid0(SALU_CYCLE_1)
	s_mov_b32 s4, exec_lo
	v_cmpx_gt_u32_e32 20, v13
	s_cbranch_execz .LBB143_37
; %bb.36:
	v_add_lshl_u32 v12, v12, v1, 2
	ds_load_b32 v12, v12 offset:64
	s_waitcnt lgkmcnt(0)
	ds_store_b32 v6, v12 offset:2560
.LBB143_37:
	s_or_b32 exec_lo, exec_lo, s4
	s_delay_alu instid0(SALU_CYCLE_1)
	s_mov_b32 s4, exec_lo
	v_cmpx_gt_u32_e32 24, v13
	s_cbranch_execz .LBB143_39
; %bb.38:
	v_add_lshl_u32 v11, v11, v1, 2
	ds_load_b32 v11, v11 offset:64
	s_waitcnt lgkmcnt(0)
	ds_store_b32 v6, v11 offset:3072
.LBB143_39:
	s_or_b32 exec_lo, exec_lo, s4
	v_add_nc_u32_e32 v11, 28, v3
	s_mov_b32 s4, exec_lo
                                        ; implicit-def: $vgpr12
	v_cmpx_lt_u32_e32 27, v13
	s_xor_b32 s4, exec_lo, s4
; %bb.40:
	v_add_nc_u32_e32 v11, 28, v3
                                        ; implicit-def: $vgpr10
                                        ; implicit-def: $vgpr1
	s_delay_alu instid0(VALU_DEP_1)
	v_lshl_add_u32 v12, v11, 5, v2
; %bb.41:
	s_and_not1_saveexec_b32 s4, s4
	s_cbranch_execz .LBB143_43
; %bb.42:
	v_add_lshl_u32 v1, v10, v1, 2
	v_lshl_add_u32 v12, v11, 5, v2
	ds_load_b32 v1, v1 offset:64
	v_lshlrev_b32_e32 v10, 2, v12
	s_waitcnt lgkmcnt(0)
	ds_store_b32 v10, v1
.LBB143_43:
	s_or_b32 exec_lo, exec_lo, s4
	v_lshlrev_b32_e32 v1, 2, v3
	s_waitcnt lgkmcnt(0)
	s_barrier
	buffer_gl0_inv
	v_lshlrev_b32_e32 v3, 5, v3
	v_add_nc_u32_e32 v15, 0x1400, v1
	v_add_lshl_u32 v0, v0, v2, 2
	ds_load_2addr_b32 v[13:14], v15 offset1:4
	ds_load_b32 v16, v6
	ds_load_b32 v17, v9
	ds_load_2addr_b32 v[9:10], v15 offset0:8 offset1:12
	ds_load_b32 v18, v7
	v_lshlrev_b32_e32 v7, 2, v11
	ds_load_b32 v11, v8
	v_add_lshl_u32 v3, v3, v2, 2
	s_waitcnt lgkmcnt(4)
	v_fma_f32 v13, v16, v13, 0
	s_waitcnt lgkmcnt(3)
	s_delay_alu instid0(VALU_DEP_1)
	v_dual_fmac_f32 v13, v17, v14 :: v_dual_lshlrev_b32 v12, 2, v12
	ds_load_b32 v12, v12
	ds_load_b32 v19, v7 offset:5120
	ds_load_b32 v20, v0
	ds_load_b32 v21, v1 offset:5216
	ds_load_2addr_b32 v[0:1], v15 offset0:16 offset1:20
	ds_load_2addr_stride64_b32 v[7:8], v3 offset0:10 offset1:12
	s_waitcnt lgkmcnt(7)
	v_fmac_f32_e32 v13, v18, v9
	s_waitcnt lgkmcnt(6)
	s_delay_alu instid0(VALU_DEP_1) | instskip(SKIP_1) | instid1(VALU_DEP_1)
	v_fmac_f32_e32 v13, v11, v10
	s_waitcnt lgkmcnt(1)
	v_fmac_f32_e32 v13, v20, v0
	s_waitcnt lgkmcnt(0)
	s_delay_alu instid0(VALU_DEP_1) | instskip(NEXT) | instid1(VALU_DEP_1)
	v_fmac_f32_e32 v13, v7, v1
	v_fmac_f32_e32 v13, v8, v21
	s_delay_alu instid0(VALU_DEP_1)
	v_fmac_f32_e32 v13, v12, v19
	ds_store_b32 v6, v13 offset:4096
	s_waitcnt lgkmcnt(0)
	s_barrier
	buffer_gl0_inv
	s_and_saveexec_b32 s4, s0
	s_cbranch_execz .LBB143_45
; %bb.44:
	v_mad_u64_u32 v[7:8], null, v2, s2, 0
	v_add_nc_u32_e32 v3, 0x1000, v5
	v_cmp_neq_f32_e64 vcc_lo, s16, 0
	ds_load_2addr_b32 v[0:1], v3 offset1:32
	ds_load_2addr_b32 v[5:6], v3 offset0:64 offset1:96
	s_waitcnt lgkmcnt(1)
	v_dual_add_f32 v3, 0, v0 :: v_dual_mov_b32 v0, v8
	s_delay_alu instid0(VALU_DEP_1) | instskip(NEXT) | instid1(VALU_DEP_1)
	v_add_f32_e32 v1, v3, v1
	v_mad_u64_u32 v[8:9], null, v2, s3, v[0:1]
	s_waitcnt lgkmcnt(0)
	v_add_f32_e32 v0, v1, v5
	s_delay_alu instid0(VALU_DEP_1) | instskip(NEXT) | instid1(VALU_DEP_1)
	v_add_f32_e32 v0, v0, v6
	v_mul_f32_e32 v2, s15, v0
	v_fmac_f32_e32 v4, s15, v0
	v_lshlrev_b64 v[0:1], 2, v[7:8]
	s_delay_alu instid0(VALU_DEP_2) | instskip(NEXT) | instid1(VALU_DEP_2)
	v_cndmask_b32_e32 v2, v2, v4, vcc_lo
	v_add_co_u32 v0, vcc_lo, s1, v0
	s_delay_alu instid0(VALU_DEP_3)
	v_add_co_ci_u32_e32 v1, vcc_lo, s6, v1, vcc_lo
	global_store_b32 v[0:1], v2, off
.LBB143_45:
	s_nop 0
	s_sendmsg sendmsg(MSG_DEALLOC_VGPRS)
	s_endpgm
	.section	.rodata,"a",@progbits
	.p2align	6, 0x0
	.amdhsa_kernel _ZL50rocblas_symv_kernel_lower_double_buffered_diagonalILi32ELi4E24rocblas_internal_val_ptrIfEPKPKfPKPfEvbiT1_lT2_lllSA_lllS9_lT3_llli
		.amdhsa_group_segment_fixed_size 5248
		.amdhsa_private_segment_fixed_size 0
		.amdhsa_kernarg_size 140
		.amdhsa_user_sgpr_count 14
		.amdhsa_user_sgpr_dispatch_ptr 0
		.amdhsa_user_sgpr_queue_ptr 0
		.amdhsa_user_sgpr_kernarg_segment_ptr 1
		.amdhsa_user_sgpr_dispatch_id 0
		.amdhsa_user_sgpr_private_segment_size 0
		.amdhsa_wavefront_size32 1
		.amdhsa_uses_dynamic_stack 0
		.amdhsa_enable_private_segment 0
		.amdhsa_system_sgpr_workgroup_id_x 1
		.amdhsa_system_sgpr_workgroup_id_y 0
		.amdhsa_system_sgpr_workgroup_id_z 1
		.amdhsa_system_sgpr_workgroup_info 0
		.amdhsa_system_vgpr_workitem_id 1
		.amdhsa_next_free_vgpr 22
		.amdhsa_next_free_sgpr 23
		.amdhsa_reserve_vcc 1
		.amdhsa_float_round_mode_32 0
		.amdhsa_float_round_mode_16_64 0
		.amdhsa_float_denorm_mode_32 3
		.amdhsa_float_denorm_mode_16_64 3
		.amdhsa_dx10_clamp 1
		.amdhsa_ieee_mode 1
		.amdhsa_fp16_overflow 0
		.amdhsa_workgroup_processor_mode 1
		.amdhsa_memory_ordered 1
		.amdhsa_forward_progress 0
		.amdhsa_shared_vgpr_count 0
		.amdhsa_exception_fp_ieee_invalid_op 0
		.amdhsa_exception_fp_denorm_src 0
		.amdhsa_exception_fp_ieee_div_zero 0
		.amdhsa_exception_fp_ieee_overflow 0
		.amdhsa_exception_fp_ieee_underflow 0
		.amdhsa_exception_fp_ieee_inexact 0
		.amdhsa_exception_int_div_zero 0
	.end_amdhsa_kernel
	.section	.text._ZL50rocblas_symv_kernel_lower_double_buffered_diagonalILi32ELi4E24rocblas_internal_val_ptrIfEPKPKfPKPfEvbiT1_lT2_lllSA_lllS9_lT3_llli,"axG",@progbits,_ZL50rocblas_symv_kernel_lower_double_buffered_diagonalILi32ELi4E24rocblas_internal_val_ptrIfEPKPKfPKPfEvbiT1_lT2_lllSA_lllS9_lT3_llli,comdat
.Lfunc_end143:
	.size	_ZL50rocblas_symv_kernel_lower_double_buffered_diagonalILi32ELi4E24rocblas_internal_val_ptrIfEPKPKfPKPfEvbiT1_lT2_lllSA_lllS9_lT3_llli, .Lfunc_end143-_ZL50rocblas_symv_kernel_lower_double_buffered_diagonalILi32ELi4E24rocblas_internal_val_ptrIfEPKPKfPKPfEvbiT1_lT2_lllSA_lllS9_lT3_llli
                                        ; -- End function
	.section	.AMDGPU.csdata,"",@progbits
; Kernel info:
; codeLenInByte = 2208
; NumSgprs: 25
; NumVgprs: 22
; ScratchSize: 0
; MemoryBound: 0
; FloatMode: 240
; IeeeMode: 1
; LDSByteSize: 5248 bytes/workgroup (compile time only)
; SGPRBlocks: 3
; VGPRBlocks: 2
; NumSGPRsForWavesPerEU: 25
; NumVGPRsForWavesPerEU: 22
; Occupancy: 16
; WaveLimiterHint : 1
; COMPUTE_PGM_RSRC2:SCRATCH_EN: 0
; COMPUTE_PGM_RSRC2:USER_SGPR: 14
; COMPUTE_PGM_RSRC2:TRAP_HANDLER: 0
; COMPUTE_PGM_RSRC2:TGID_X_EN: 1
; COMPUTE_PGM_RSRC2:TGID_Y_EN: 0
; COMPUTE_PGM_RSRC2:TGID_Z_EN: 1
; COMPUTE_PGM_RSRC2:TIDIG_COMP_CNT: 1
	.section	.text._ZL54rocblas_symv_kernel_lower_double_buffered_non_diagonalILi32ELi4ELi4E24rocblas_internal_val_ptrIfEPKPKfPKPfEvbiT2_lT3_lllSA_lllT4_llli,"axG",@progbits,_ZL54rocblas_symv_kernel_lower_double_buffered_non_diagonalILi32ELi4ELi4E24rocblas_internal_val_ptrIfEPKPKfPKPfEvbiT2_lT3_lllSA_lllT4_llli,comdat
	.globl	_ZL54rocblas_symv_kernel_lower_double_buffered_non_diagonalILi32ELi4ELi4E24rocblas_internal_val_ptrIfEPKPKfPKPfEvbiT2_lT3_lllSA_lllT4_llli ; -- Begin function _ZL54rocblas_symv_kernel_lower_double_buffered_non_diagonalILi32ELi4ELi4E24rocblas_internal_val_ptrIfEPKPKfPKPfEvbiT2_lT3_lllSA_lllT4_llli
	.p2align	8
	.type	_ZL54rocblas_symv_kernel_lower_double_buffered_non_diagonalILi32ELi4ELi4E24rocblas_internal_val_ptrIfEPKPKfPKPfEvbiT2_lT3_lllSA_lllT4_llli,@function
_ZL54rocblas_symv_kernel_lower_double_buffered_non_diagonalILi32ELi4ELi4E24rocblas_internal_val_ptrIfEPKPKfPKPfEvbiT2_lT3_lllSA_lllT4_llli: ; @_ZL54rocblas_symv_kernel_lower_double_buffered_non_diagonalILi32ELi4ELi4E24rocblas_internal_val_ptrIfEPKPKfPKPfEvbiT2_lT3_lllSA_lllT4_llli
; %bb.0:
	s_clause 0x2
	s_load_b32 s2, s[0:1], 0x0
	s_load_b256 s[4:11], s[0:1], 0x8
	s_load_b64 s[16:17], s[0:1], 0x28
	s_mov_b32 s18, s15
	s_waitcnt lgkmcnt(0)
	s_bitcmp0_b32 s2, 0
	s_mov_b32 s2, 0
	s_cbranch_scc0 .LBB144_2
; %bb.1:
	s_mul_i32 s3, s18, s7
	s_mul_hi_u32 s7, s18, s6
	s_mul_i32 s6, s18, s6
	s_add_i32 s7, s7, s3
	s_delay_alu instid0(SALU_CYCLE_1) | instskip(NEXT) | instid1(SALU_CYCLE_1)
	s_lshl_b64 s[6:7], s[6:7], 2
	s_add_u32 s6, s4, s6
	s_addc_u32 s7, s5, s7
	s_load_b32 s15, s[6:7], 0x0
	s_and_not1_b32 vcc_lo, exec_lo, s2
	s_cbranch_vccz .LBB144_3
	s_branch .LBB144_4
.LBB144_2:
                                        ; implicit-def: $sgpr15
.LBB144_3:
	s_waitcnt lgkmcnt(0)
	s_mov_b32 s15, s4
.LBB144_4:
	s_waitcnt lgkmcnt(0)
	v_cmp_eq_f32_e64 s2, s15, 0
	s_delay_alu instid0(VALU_DEP_1)
	s_and_b32 vcc_lo, exec_lo, s2
	s_cbranch_vccnz .LBB144_24
; %bb.5:
	s_load_b64 s[2:3], s[0:1], 0x80
	s_waitcnt lgkmcnt(0)
	v_cvt_f32_u32_e32 v1, s3
	s_add_i32 s5, s2, -1
	s_delay_alu instid0(SALU_CYCLE_1) | instskip(NEXT) | instid1(VALU_DEP_1)
	s_cmp_eq_u32 s13, s5
	v_rcp_iflag_f32_e32 v1, v1
	s_waitcnt_depctr 0xfff
	v_mul_f32_e32 v1, 0x4f7ffffe, v1
	s_delay_alu instid0(VALU_DEP_1) | instskip(NEXT) | instid1(VALU_DEP_1)
	v_cvt_u32_f32_e32 v1, v1
	v_readfirstlane_b32 s4, v1
	s_cbranch_scc1 .LBB144_24
; %bb.6:
	s_clause 0x1
	s_load_b128 s[24:27], s[0:1], 0x38
	s_load_b64 s[22:23], s[0:1], 0x58
	s_sub_i32 s12, 0, s3
	s_not_b32 s5, s13
	s_mul_i32 s12, s12, s4
	s_mov_b32 s19, 0
	s_add_i32 s20, s2, s5
	s_mul_hi_u32 s2, s4, s12
	s_lshl_b64 s[18:19], s[18:19], 3
	s_add_i32 s2, s4, s2
	s_add_u32 s4, s8, s18
	s_addc_u32 s5, s9, s19
	s_load_b64 s[6:7], s[0:1], 0x48
	v_bfe_u32 v1, v0, 10, 10
	v_and_b32_e32 v24, 0x3ff, v0
	s_delay_alu instid0(VALU_DEP_2)
	v_cmp_eq_u32_e32 vcc_lo, 0, v1
	s_waitcnt lgkmcnt(0)
	s_add_u32 s8, s24, s18
	s_addc_u32 s9, s25, s19
	s_load_b64 s[24:25], s[8:9], 0x0
	s_add_u32 s8, s22, s18
	s_addc_u32 s9, s23, s19
	s_lshl_b64 s[18:19], s[26:27], 2
	s_waitcnt lgkmcnt(0)
	s_add_u32 s21, s24, s18
	s_addc_u32 s22, s25, s19
	s_lshl_b32 s23, s13, 5
	s_delay_alu instid0(SALU_CYCLE_1)
	s_mul_i32 s12, s23, s7
	s_mul_hi_u32 s13, s23, s6
	s_ashr_i32 s24, s23, 31
	s_add_i32 s13, s13, s12
	s_mul_i32 s18, s24, s6
	s_mul_i32 s12, s23, s6
	s_add_i32 s13, s13, s18
	s_delay_alu instid0(SALU_CYCLE_1)
	s_lshl_b64 s[18:19], s[12:13], 2
	s_mul_hi_u32 s12, s20, s2
	s_add_u32 s21, s21, s18
	s_addc_u32 s22, s22, s19
	s_and_saveexec_b32 s13, vcc_lo
	s_cbranch_execz .LBB144_8
; %bb.7:
	v_mad_u64_u32 v[2:3], null, v24, s6, 0
	s_delay_alu instid0(VALU_DEP_1) | instskip(NEXT) | instid1(VALU_DEP_1)
	v_mov_b32_e32 v0, v3
	v_mad_u64_u32 v[3:4], null, v24, s7, v[0:1]
	s_delay_alu instid0(VALU_DEP_1) | instskip(NEXT) | instid1(VALU_DEP_1)
	v_lshlrev_b64 v[2:3], 2, v[2:3]
	v_add_co_u32 v2, s2, s21, v2
	s_delay_alu instid0(VALU_DEP_1)
	v_add_co_ci_u32_e64 v3, s2, s22, v3, s2
	global_load_b32 v0, v[2:3], off
	v_lshlrev_b32_e32 v2, 2, v24
	s_waitcnt vmcnt(0)
	ds_store_b32 v2, v0 offset:3072
.LBB144_8:
	s_or_b32 exec_lo, exec_lo, s13
	s_mul_i32 s2, s12, s3
	s_add_i32 s13, s12, 1
	s_sub_i32 s2, s20, s2
	s_delay_alu instid0(SALU_CYCLE_1)
	s_sub_i32 s18, s2, s3
	s_cmp_ge_u32 s2, s3
	s_cselect_b32 s12, s13, s12
	s_cselect_b32 s2, s18, s2
	s_add_i32 s13, s12, 1
	s_cmp_ge_u32 s2, s3
	s_cselect_b32 s12, s13, s12
	s_add_i32 s2, s3, -1
	s_mov_b32 s19, s12
	s_cmp_lg_u32 s14, s2
	s_cbranch_scc1 .LBB144_10
; %bb.9:
	s_mul_i32 s2, s12, s3
	s_delay_alu instid0(SALU_CYCLE_1) | instskip(NEXT) | instid1(SALU_CYCLE_1)
	s_sub_i32 s2, s20, s2
	s_add_i32 s19, s2, s12
.LBB144_10:
	s_delay_alu instid0(SALU_CYCLE_1)
	s_cmp_eq_u32 s19, 0
	s_cbranch_scc1 .LBB144_24
; %bb.11:
	s_load_b128 s[0:3], s[0:1], 0x60
	s_load_b64 s[8:9], s[8:9], 0x0
	v_lshl_add_u32 v0, v1, 5, v24
	v_dual_mov_b32 v27, 0 :: v_dual_and_b32 v4, 15, v24
	v_dual_mov_b32 v28, 0 :: v_dual_mov_b32 v29, 0
	s_delay_alu instid0(VALU_DEP_2) | instskip(NEXT) | instid1(VALU_DEP_4)
	v_dual_mov_b32 v5, 0 :: v_dual_lshlrev_b32 v26, 2, v4
	v_lshrrev_b32_e32 v25, 4, v0
	s_waitcnt lgkmcnt(0)
	s_barrier
	buffer_gl0_inv
	s_lshl_b64 s[0:1], s[0:1], 2
	s_mul_i32 s13, s23, s3
	s_mul_hi_u32 s18, s23, s2
	s_add_u32 s25, s8, s0
	s_mul_i32 s20, s24, s2
	s_addc_u32 s26, s9, s1
	s_add_i32 s1, s18, s13
	s_mul_i32 s0, s23, s2
	s_add_i32 s1, s1, s20
	s_mov_b32 s20, 0
	s_lshl_b64 s[8:9], s[0:1], 2
	s_delay_alu instid0(SALU_CYCLE_1)
	s_add_u32 s1, s25, s8
	s_addc_u32 s18, s26, s9
	s_cmp_lt_i32 s19, 1
	s_cbranch_scc1 .LBB144_21
; %bb.12:
	s_load_b64 s[8:9], s[4:5], 0x0
	s_mul_i32 s14, s14, s12
	v_dual_mov_b32 v5, 0 :: v_dual_lshlrev_b32 v6, 2, v25
	s_lshl_b32 s26, s14, 5
	v_mad_u64_u32 v[14:15], null, v24, s2, 0
	s_mul_i32 s0, s26, s3
	s_mul_hi_u32 s4, s26, s2
	s_ashr_i32 s27, s26, 31
	s_add_i32 s0, s4, s0
	s_mul_i32 s4, s27, s2
	s_mul_i32 s12, s26, s2
	s_add_i32 s13, s0, s4
	s_lshl_b64 s[4:5], s[6:7], 7
	s_lshl_b64 s[12:13], s[12:13], 2
	v_mad_u64_u32 v[0:1], null, v6, s16, v[4:5]
	s_add_u32 s12, s1, s12
	s_addc_u32 s13, s18, s13
	s_lshl_b64 s[10:11], s[10:11], 2
	v_or_b32_e32 v12, 16, v4
	s_waitcnt lgkmcnt(0)
	s_add_u32 s0, s8, s10
	s_addc_u32 s10, s9, s11
	s_add_u32 s8, s16, 1
	s_addc_u32 s14, s17, 0
	s_mul_i32 s9, s8, s24
	s_mul_hi_u32 s11, s8, s23
	s_mul_i32 s14, s14, s23
	s_add_i32 s9, s11, s9
	v_mad_u64_u32 v[2:3], null, v6, s17, v[1:2]
	s_mul_i32 s8, s8, s23
	s_add_i32 s9, s9, s14
	s_mul_hi_u32 s11, s26, s6
	s_lshl_b64 s[8:9], s[8:9], 2
	v_lshl_add_u32 v34, v25, 4, 0xc00
	s_add_u32 s0, s0, s8
	s_addc_u32 s10, s10, s9
	s_lshl_b64 s[8:9], s[26:27], 2
	v_mov_b32_e32 v1, v2
	s_add_u32 s0, s0, s8
	s_mul_i32 s8, s26, s7
	s_addc_u32 s23, s10, s9
	s_add_i32 s8, s11, s8
	s_mul_i32 s9, s27, s6
	v_lshlrev_b64 v[6:7], 2, v[0:1]
	s_add_i32 s9, s8, s9
	s_mul_i32 s8, s26, s6
	v_lshl_add_u32 v36, v24, 2, 0x800
	s_lshl_b64 s[8:9], s[8:9], 2
	v_mov_b32_e32 v27, v5
	s_add_u32 s10, s21, s8
	s_addc_u32 s11, s22, s9
	s_add_u32 s14, s0, 0x80
	v_add_co_u32 v0, s0, s0, v6
	s_delay_alu instid0(VALU_DEP_1) | instskip(SKIP_4) | instid1(VALU_DEP_1)
	v_add_co_ci_u32_e64 v1, s0, s23, v7, s0
	s_addc_u32 s21, s23, 0
	s_lshl_b64 s[8:9], s[16:17], 2
	v_mov_b32_e32 v28, v5
	v_add_co_u32 v2, s0, v0, s8
	v_add_co_ci_u32_e64 v3, s0, s9, v1, s0
	s_delay_alu instid0(VALU_DEP_2) | instskip(NEXT) | instid1(VALU_DEP_1)
	v_add_co_u32 v8, s0, v2, s8
	v_add_co_ci_u32_e64 v9, s0, s9, v3, s0
	s_delay_alu instid0(VALU_DEP_2) | instskip(NEXT) | instid1(VALU_DEP_1)
	v_add_co_u32 v10, s0, v8, s8
	v_add_co_ci_u32_e64 v11, s0, s9, v9, s0
	global_load_b32 v31, v[0:1], off offset:128
	global_load_b32 v32, v[2:3], off offset:128
	;; [unrolled: 1-line block ×4, first 2 shown]
	v_mov_b32_e32 v8, v15
	v_mad_u64_u32 v[0:1], null, v4, s6, 0
	v_mad_u64_u32 v[2:3], null, v12, s6, 0
	v_mov_b32_e32 v29, v5
	s_delay_alu instid0(VALU_DEP_2) | instskip(NEXT) | instid1(VALU_DEP_3)
	v_mad_u64_u32 v[9:10], null, v4, s7, v[1:2]
	v_mad_u64_u32 v[10:11], null, v12, s7, v[3:4]
	s_lshl_b64 s[6:7], s[2:3], 7
	s_delay_alu instid0(VALU_DEP_2) | instskip(SKIP_2) | instid1(VALU_DEP_2)
	v_mad_u64_u32 v[11:12], null, v24, s3, v[8:9]
	v_lshl_or_b32 v8, v25, 7, v26
	v_mov_b32_e32 v1, v9
	v_dual_mov_b32 v3, v10 :: v_dual_add_nc_u32 v30, 0x800, v8
	s_delay_alu instid0(VALU_DEP_4) | instskip(NEXT) | instid1(VALU_DEP_3)
	v_dual_mov_b32 v8, s12 :: v_dual_mov_b32 v15, v11
	v_lshlrev_b64 v[10:11], 2, v[0:1]
	s_delay_alu instid0(VALU_DEP_3)
	v_lshlrev_b64 v[12:13], 2, v[2:3]
	v_mov_b32_e32 v9, s13
	s_add_i32 s12, s19, -1
	v_lshlrev_b64 v[14:15], 2, v[14:15]
	s_waitcnt vmcnt(2)
	v_dual_mov_b32 v37, v31 :: v_dual_mov_b32 v38, v32
	s_waitcnt vmcnt(0)
	v_dual_mov_b32 v39, v33 :: v_dual_mov_b32 v40, v35
.LBB144_13:                             ; =>This Loop Header: Depth=1
                                        ;     Child Loop BB144_17 Depth 2
	v_add_co_u32 v16, s0, s14, v6
	s_delay_alu instid0(VALU_DEP_1) | instskip(SKIP_1) | instid1(VALU_DEP_2)
	v_add_co_ci_u32_e64 v17, s0, s21, v7, s0
	s_add_u32 s10, s10, s4
	v_add_co_u32 v18, s0, v16, s8
	s_delay_alu instid0(VALU_DEP_1) | instskip(SKIP_2) | instid1(VALU_DEP_1)
	v_add_co_ci_u32_e64 v19, s0, s9, v17, s0
	s_addc_u32 s11, s11, s5
	v_add_co_u32 v0, s0, s10, v10
	v_add_co_ci_u32_e64 v1, s0, s11, v11, s0
	v_add_co_u32 v20, s0, v18, s8
	s_delay_alu instid0(VALU_DEP_1) | instskip(SKIP_1) | instid1(VALU_DEP_1)
	v_add_co_ci_u32_e64 v21, s0, s9, v19, s0
	v_add_co_u32 v2, s0, s10, v12
	v_add_co_ci_u32_e64 v3, s0, s11, v13, s0
	s_delay_alu instid0(VALU_DEP_4) | instskip(NEXT) | instid1(VALU_DEP_1)
	v_add_co_u32 v22, s0, v20, s8
	v_add_co_ci_u32_e64 v23, s0, s9, v21, s0
	s_clause 0x1
	global_load_b32 v45, v[0:1], off
	global_load_b32 v41, v[2:3], off
	s_clause 0x3
	global_load_b32 v46, v[16:17], off offset:64
	global_load_b32 v43, v[18:19], off offset:64
	;; [unrolled: 1-line block ×4, first 2 shown]
	ds_load_b128 v[0:3], v34
	s_cmp_eq_u32 s20, s12
	s_cbranch_scc1 .LBB144_15
; %bb.14:                               ;   in Loop: Header=BB144_13 Depth=1
	s_clause 0x3
	global_load_b32 v37, v[16:17], off offset:128
	global_load_b32 v38, v[18:19], off offset:128
	;; [unrolled: 1-line block ×4, first 2 shown]
.LBB144_15:                             ;   in Loop: Header=BB144_13 Depth=1
	s_waitcnt lgkmcnt(0)
	v_fma_f32 v16, v31, v0, 0
	s_waitcnt vmcnt(3)
	v_fma_f32 v0, v46, v0, 0
	s_waitcnt vmcnt(0)
	s_barrier
	buffer_gl0_inv
	v_fmac_f32_e32 v16, v32, v1
	v_fmac_f32_e32 v0, v43, v1
	s_delay_alu instid0(VALU_DEP_2) | instskip(NEXT) | instid1(VALU_DEP_2)
	v_fmac_f32_e32 v16, v33, v2
	v_fmac_f32_e32 v0, v42, v2
	s_delay_alu instid0(VALU_DEP_2) | instskip(NEXT) | instid1(VALU_DEP_2)
	v_fmac_f32_e32 v16, v35, v3
	v_fmac_f32_e32 v0, v44, v3
	ds_store_2addr_b32 v30, v16, v0 offset1:16
	s_waitcnt lgkmcnt(0)
	s_barrier
	buffer_gl0_inv
	s_and_saveexec_b32 s13, vcc_lo
	s_cbranch_execz .LBB144_19
; %bb.16:                               ;   in Loop: Header=BB144_13 Depth=1
	v_add_co_u32 v8, s0, v8, s6
	s_delay_alu instid0(VALU_DEP_1) | instskip(SKIP_1) | instid1(VALU_DEP_2)
	v_add_co_ci_u32_e64 v9, s0, s7, v9, s0
	s_mov_b32 s16, 0
	v_add_co_u32 v0, s0, v8, v14
	s_delay_alu instid0(VALU_DEP_1)
	v_add_co_ci_u32_e64 v1, s0, v9, v15, s0
	global_load_b32 v3, v[0:1], off
	ds_load_2addr_b32 v[16:17], v36 offset1:32
	ds_load_2addr_b32 v[18:19], v36 offset0:64 offset1:96
	ds_load_2addr_b32 v[20:21], v36 offset0:128 offset1:160
	s_waitcnt lgkmcnt(2)
	v_add_f32_e32 v2, 0, v16
	s_delay_alu instid0(VALU_DEP_1) | instskip(SKIP_3) | instid1(VALU_DEP_1)
	v_add_f32_e32 v2, v2, v17
	ds_load_2addr_b32 v[16:17], v36 offset0:192 offset1:224
	s_waitcnt lgkmcnt(2)
	v_add_f32_e32 v2, v2, v18
	v_add_f32_e32 v2, v2, v19
	s_waitcnt lgkmcnt(1)
	s_delay_alu instid0(VALU_DEP_1) | instskip(NEXT) | instid1(VALU_DEP_1)
	v_add_f32_e32 v2, v2, v20
	v_add_f32_e32 v2, v2, v21
	s_waitcnt lgkmcnt(0)
	s_delay_alu instid0(VALU_DEP_1) | instskip(NEXT) | instid1(VALU_DEP_1)
	v_add_f32_e32 v2, v2, v16
	v_add_f32_e32 v2, v2, v17
	s_delay_alu instid0(VALU_DEP_1)
	v_mul_f32_e32 v16, s15, v2
.LBB144_17:                             ;   Parent Loop BB144_13 Depth=1
                                        ; =>  This Inner Loop Header: Depth=2
	s_waitcnt vmcnt(0)
	s_delay_alu instid0(VALU_DEP_1) | instskip(SKIP_4) | instid1(VALU_DEP_2)
	v_add_f32_e32 v2, v3, v16
	global_atomic_cmpswap_b32 v2, v[0:1], v[2:3], off glc
	s_waitcnt vmcnt(0)
	v_cmp_eq_u32_e64 s0, v2, v3
	v_mov_b32_e32 v3, v2
	s_or_b32 s16, s0, s16
	s_delay_alu instid0(SALU_CYCLE_1)
	s_and_not1_b32 exec_lo, exec_lo, s16
	s_cbranch_execnz .LBB144_17
; %bb.18:                               ;   in Loop: Header=BB144_13 Depth=1
	s_or_b32 exec_lo, exec_lo, s16
.LBB144_19:                             ;   in Loop: Header=BB144_13 Depth=1
	s_delay_alu instid0(SALU_CYCLE_1)
	s_or_b32 exec_lo, exec_lo, s13
	v_fmac_f32_e32 v5, v45, v31
	v_fmac_f32_e32 v29, v45, v32
	;; [unrolled: 1-line block ×4, first 2 shown]
	s_add_u32 s14, s14, 0x80
	v_fmac_f32_e32 v5, v41, v46
	v_fmac_f32_e32 v29, v41, v43
	;; [unrolled: 1-line block ×4, first 2 shown]
	s_addc_u32 s21, s21, 0
	s_add_i32 s20, s20, 1
	s_delay_alu instid0(SALU_CYCLE_1)
	s_cmp_eq_u32 s20, s19
	s_cbranch_scc1 .LBB144_21
; %bb.20:                               ;   in Loop: Header=BB144_13 Depth=1
	v_dual_mov_b32 v31, v37 :: v_dual_mov_b32 v32, v38
	v_mov_b32_e32 v33, v39
	v_mov_b32_e32 v35, v40
	s_branch .LBB144_13
.LBB144_21:
	v_lshl_or_b32 v0, v25, 8, v26
	ds_store_2addr_b32 v0, v5, v29 offset1:16
	ds_store_2addr_b32 v0, v28, v27 offset0:32 offset1:48
	s_waitcnt lgkmcnt(0)
	s_barrier
	buffer_gl0_inv
	s_and_saveexec_b32 s0, vcc_lo
	s_cbranch_execz .LBB144_24
; %bb.22:
	v_mad_u64_u32 v[0:1], null, v24, s2, 0
	v_add_nc_u32_e32 v5, 1, v24
	v_add_nc_u32_e32 v7, 3, v24
	;; [unrolled: 1-line block ×6, first 2 shown]
	v_mad_u64_u32 v[2:3], null, v24, s3, v[1:2]
	s_mov_b32 s0, 0
	s_delay_alu instid0(VALU_DEP_1) | instskip(NEXT) | instid1(VALU_DEP_1)
	v_dual_mov_b32 v1, v2 :: v_dual_lshlrev_b32 v2, 4, v24
	v_lshlrev_b64 v[0:1], 2, v[0:1]
	s_delay_alu instid0(VALU_DEP_2)
	v_or_b32_e32 v4, v4, v2
	v_and_or_b32 v5, v5, 15, v2
	v_and_or_b32 v7, v7, 15, v2
	;; [unrolled: 1-line block ×4, first 2 shown]
	v_add_co_u32 v0, vcc_lo, s1, v0
	v_add_co_ci_u32_e32 v1, vcc_lo, s18, v1, vcc_lo
	v_lshlrev_b32_e32 v8, 2, v4
	v_and_or_b32 v11, v11, 15, v2
	v_and_or_b32 v12, v12, 15, v2
	global_load_b32 v3, v[0:1], off
	v_lshlrev_b32_e32 v7, 2, v7
	ds_load_b32 v8, v8
	v_lshlrev_b32_e32 v5, 2, v5
	v_lshlrev_b32_e32 v9, 2, v9
	;; [unrolled: 1-line block ×5, first 2 shown]
	ds_load_b32 v5, v5
	v_add_nc_u32_e32 v6, 2, v24
	v_xor_b32_e32 v4, 8, v4
	s_delay_alu instid0(VALU_DEP_2) | instskip(NEXT) | instid1(VALU_DEP_2)
	v_and_or_b32 v6, v6, 15, v2
	v_lshlrev_b32_e32 v4, 2, v4
	s_delay_alu instid0(VALU_DEP_2)
	v_lshlrev_b32_e32 v6, 2, v6
	ds_load_b32 v6, v6
	ds_load_b32 v7, v7
	;; [unrolled: 1-line block ×6, first 2 shown]
	s_waitcnt lgkmcnt(7)
	v_add_f32_e32 v8, 0, v8
	ds_load_b32 v4, v4
	s_waitcnt lgkmcnt(7)
	v_dual_add_f32 v5, v8, v5 :: v_dual_add_nc_u32 v8, 11, v24
	s_delay_alu instid0(VALU_DEP_1) | instskip(SKIP_1) | instid1(VALU_DEP_1)
	v_and_or_b32 v8, v8, 15, v2
	s_waitcnt lgkmcnt(6)
	v_dual_add_f32 v5, v5, v6 :: v_dual_lshlrev_b32 v8, 2, v8
	s_waitcnt lgkmcnt(5)
	s_delay_alu instid0(VALU_DEP_1) | instskip(SKIP_1) | instid1(VALU_DEP_2)
	v_dual_add_f32 v5, v5, v7 :: v_dual_add_nc_u32 v6, 9, v24
	v_add_nc_u32_e32 v7, 10, v24
	v_and_or_b32 v6, v6, 15, v2
	s_waitcnt lgkmcnt(4)
	s_delay_alu instid0(VALU_DEP_3) | instskip(NEXT) | instid1(VALU_DEP_3)
	v_add_f32_e32 v5, v5, v9
	v_and_or_b32 v7, v7, 15, v2
	v_add_nc_u32_e32 v9, 12, v24
	v_lshlrev_b32_e32 v6, 2, v6
	s_waitcnt lgkmcnt(3)
	v_add_f32_e32 v5, v5, v10
	v_lshlrev_b32_e32 v7, 2, v7
	v_add_nc_u32_e32 v10, 13, v24
	v_and_or_b32 v9, v9, 15, v2
	ds_load_b32 v6, v6
	s_waitcnt lgkmcnt(3)
	v_add_f32_e32 v5, v5, v11
	ds_load_b32 v7, v7
	v_add_nc_u32_e32 v11, 14, v24
	v_and_or_b32 v10, v10, 15, v2
	v_lshlrev_b32_e32 v9, 2, v9
	s_waitcnt lgkmcnt(3)
	v_add_f32_e32 v5, v5, v12
	v_add_nc_u32_e32 v12, -1, v24
	v_and_or_b32 v11, v11, 15, v2
	v_lshlrev_b32_e32 v10, 2, v10
	s_waitcnt lgkmcnt(2)
	v_add_f32_e32 v4, v5, v4
	v_and_or_b32 v2, v12, 15, v2
	v_lshlrev_b32_e32 v11, 2, v11
	s_delay_alu instid0(VALU_DEP_2)
	v_lshlrev_b32_e32 v2, 2, v2
	ds_load_b32 v8, v8
	ds_load_b32 v9, v9
	;; [unrolled: 1-line block ×5, first 2 shown]
	s_waitcnt lgkmcnt(6)
	v_add_f32_e32 v4, v4, v6
	s_waitcnt lgkmcnt(5)
	s_delay_alu instid0(VALU_DEP_1) | instskip(SKIP_1) | instid1(VALU_DEP_1)
	v_add_f32_e32 v4, v4, v7
	s_waitcnt lgkmcnt(4)
	v_add_f32_e32 v4, v4, v8
	s_waitcnt lgkmcnt(3)
	s_delay_alu instid0(VALU_DEP_1) | instskip(SKIP_1) | instid1(VALU_DEP_1)
	v_add_f32_e32 v4, v4, v9
	;; [unrolled: 5-line block ×3, first 2 shown]
	s_waitcnt lgkmcnt(0)
	v_add_f32_e32 v2, v4, v2
	s_delay_alu instid0(VALU_DEP_1)
	v_mul_f32_e32 v4, s15, v2
.LBB144_23:                             ; =>This Inner Loop Header: Depth=1
	s_waitcnt vmcnt(0)
	s_delay_alu instid0(VALU_DEP_1)
	v_add_f32_e32 v2, v3, v4
	global_atomic_cmpswap_b32 v2, v[0:1], v[2:3], off glc
	s_waitcnt vmcnt(0)
	v_cmp_eq_u32_e32 vcc_lo, v2, v3
	v_mov_b32_e32 v3, v2
	s_or_b32 s0, vcc_lo, s0
	s_delay_alu instid0(SALU_CYCLE_1)
	s_and_not1_b32 exec_lo, exec_lo, s0
	s_cbranch_execnz .LBB144_23
.LBB144_24:
	s_endpgm
	.section	.rodata,"a",@progbits
	.p2align	6, 0x0
	.amdhsa_kernel _ZL54rocblas_symv_kernel_lower_double_buffered_non_diagonalILi32ELi4ELi4E24rocblas_internal_val_ptrIfEPKPKfPKPfEvbiT2_lT3_lllSA_lllT4_llli
		.amdhsa_group_segment_fixed_size 3200
		.amdhsa_private_segment_fixed_size 0
		.amdhsa_kernarg_size 384
		.amdhsa_user_sgpr_count 13
		.amdhsa_user_sgpr_dispatch_ptr 0
		.amdhsa_user_sgpr_queue_ptr 0
		.amdhsa_user_sgpr_kernarg_segment_ptr 1
		.amdhsa_user_sgpr_dispatch_id 0
		.amdhsa_user_sgpr_private_segment_size 0
		.amdhsa_wavefront_size32 1
		.amdhsa_uses_dynamic_stack 0
		.amdhsa_enable_private_segment 0
		.amdhsa_system_sgpr_workgroup_id_x 1
		.amdhsa_system_sgpr_workgroup_id_y 1
		.amdhsa_system_sgpr_workgroup_id_z 1
		.amdhsa_system_sgpr_workgroup_info 0
		.amdhsa_system_vgpr_workitem_id 1
		.amdhsa_next_free_vgpr 47
		.amdhsa_next_free_sgpr 28
		.amdhsa_reserve_vcc 1
		.amdhsa_float_round_mode_32 0
		.amdhsa_float_round_mode_16_64 0
		.amdhsa_float_denorm_mode_32 3
		.amdhsa_float_denorm_mode_16_64 3
		.amdhsa_dx10_clamp 1
		.amdhsa_ieee_mode 1
		.amdhsa_fp16_overflow 0
		.amdhsa_workgroup_processor_mode 1
		.amdhsa_memory_ordered 1
		.amdhsa_forward_progress 0
		.amdhsa_shared_vgpr_count 0
		.amdhsa_exception_fp_ieee_invalid_op 0
		.amdhsa_exception_fp_denorm_src 0
		.amdhsa_exception_fp_ieee_div_zero 0
		.amdhsa_exception_fp_ieee_overflow 0
		.amdhsa_exception_fp_ieee_underflow 0
		.amdhsa_exception_fp_ieee_inexact 0
		.amdhsa_exception_int_div_zero 0
	.end_amdhsa_kernel
	.section	.text._ZL54rocblas_symv_kernel_lower_double_buffered_non_diagonalILi32ELi4ELi4E24rocblas_internal_val_ptrIfEPKPKfPKPfEvbiT2_lT3_lllSA_lllT4_llli,"axG",@progbits,_ZL54rocblas_symv_kernel_lower_double_buffered_non_diagonalILi32ELi4ELi4E24rocblas_internal_val_ptrIfEPKPKfPKPfEvbiT2_lT3_lllSA_lllT4_llli,comdat
.Lfunc_end144:
	.size	_ZL54rocblas_symv_kernel_lower_double_buffered_non_diagonalILi32ELi4ELi4E24rocblas_internal_val_ptrIfEPKPKfPKPfEvbiT2_lT3_lllSA_lllT4_llli, .Lfunc_end144-_ZL54rocblas_symv_kernel_lower_double_buffered_non_diagonalILi32ELi4ELi4E24rocblas_internal_val_ptrIfEPKPKfPKPfEvbiT2_lT3_lllSA_lllT4_llli
                                        ; -- End function
	.section	.AMDGPU.csdata,"",@progbits
; Kernel info:
; codeLenInByte = 2560
; NumSgprs: 30
; NumVgprs: 47
; ScratchSize: 0
; MemoryBound: 0
; FloatMode: 240
; IeeeMode: 1
; LDSByteSize: 3200 bytes/workgroup (compile time only)
; SGPRBlocks: 3
; VGPRBlocks: 5
; NumSGPRsForWavesPerEU: 30
; NumVGPRsForWavesPerEU: 47
; Occupancy: 16
; WaveLimiterHint : 1
; COMPUTE_PGM_RSRC2:SCRATCH_EN: 0
; COMPUTE_PGM_RSRC2:USER_SGPR: 13
; COMPUTE_PGM_RSRC2:TRAP_HANDLER: 0
; COMPUTE_PGM_RSRC2:TGID_X_EN: 1
; COMPUTE_PGM_RSRC2:TGID_Y_EN: 1
; COMPUTE_PGM_RSRC2:TGID_Z_EN: 1
; COMPUTE_PGM_RSRC2:TIDIG_COMP_CNT: 1
	.section	.text._ZL58rocblas_symv_kernel_lower_double_buffered_diagonal_genericILi32ELi4E24rocblas_internal_val_ptrIfEPKPKfPKPfEvbiT1_lT2_lllSA_lllS9_lT3_lllii,"axG",@progbits,_ZL58rocblas_symv_kernel_lower_double_buffered_diagonal_genericILi32ELi4E24rocblas_internal_val_ptrIfEPKPKfPKPfEvbiT1_lT2_lllSA_lllS9_lT3_lllii,comdat
	.globl	_ZL58rocblas_symv_kernel_lower_double_buffered_diagonal_genericILi32ELi4E24rocblas_internal_val_ptrIfEPKPKfPKPfEvbiT1_lT2_lllSA_lllS9_lT3_lllii ; -- Begin function _ZL58rocblas_symv_kernel_lower_double_buffered_diagonal_genericILi32ELi4E24rocblas_internal_val_ptrIfEPKPKfPKPfEvbiT1_lT2_lllSA_lllS9_lT3_lllii
	.p2align	8
	.type	_ZL58rocblas_symv_kernel_lower_double_buffered_diagonal_genericILi32ELi4E24rocblas_internal_val_ptrIfEPKPKfPKPfEvbiT1_lT2_lllSA_lllS9_lT3_lllii,@function
_ZL58rocblas_symv_kernel_lower_double_buffered_diagonal_genericILi32ELi4E24rocblas_internal_val_ptrIfEPKPKfPKPfEvbiT1_lT2_lllSA_lllS9_lT3_lllii: ; @_ZL58rocblas_symv_kernel_lower_double_buffered_diagonal_genericILi32ELi4E24rocblas_internal_val_ptrIfEPKPKfPKPfEvbiT1_lT2_lllSA_lllS9_lT3_lllii
; %bb.0:
	s_clause 0x2
	s_load_b32 s3, s[0:1], 0x0
	s_load_b256 s[4:11], s[0:1], 0x8
	s_load_b64 s[12:13], s[0:1], 0x28
	s_mov_b32 s2, s15
	s_mov_b32 s20, -1
                                        ; implicit-def: $sgpr15
	s_waitcnt lgkmcnt(0)
	s_bitcmp1_b32 s3, 0
	s_cselect_b32 s3, -1, 0
	s_delay_alu instid0(SALU_CYCLE_1) | instskip(NEXT) | instid1(SALU_CYCLE_1)
	s_xor_b32 s3, s3, -1
	s_and_b32 vcc_lo, exec_lo, s3
	s_cbranch_vccnz .LBB145_7
; %bb.1:
	s_load_b128 s[16:19], s[0:1], 0x58
	s_and_not1_b32 vcc_lo, exec_lo, s20
	s_cbranch_vccz .LBB145_8
.LBB145_2:
	s_and_not1_b32 vcc_lo, exec_lo, s3
	s_cbranch_vccnz .LBB145_4
.LBB145_3:
	s_waitcnt lgkmcnt(0)
	s_mul_i32 s3, s2, s19
	s_mul_hi_u32 s4, s2, s18
	s_delay_alu instid0(SALU_CYCLE_1) | instskip(SKIP_1) | instid1(SALU_CYCLE_1)
	s_add_i32 s5, s4, s3
	s_mul_i32 s4, s2, s18
	s_lshl_b64 s[4:5], s[4:5], 2
	s_delay_alu instid0(SALU_CYCLE_1)
	s_add_u32 s4, s16, s4
	s_addc_u32 s5, s17, s5
	s_load_b32 s16, s[4:5], 0x0
.LBB145_4:
	s_waitcnt lgkmcnt(0)
	v_cmp_eq_f32_e64 s22, s15, 0
	v_cmp_eq_f32_e64 s3, s16, 1.0
	s_delay_alu instid0(VALU_DEP_1) | instskip(NEXT) | instid1(SALU_CYCLE_1)
	s_and_b32 s3, s22, s3
	s_and_b32 vcc_lo, exec_lo, s3
	s_cbranch_vccnz .LBB145_79
; %bb.5:
	v_cmp_neq_f32_e64 s17, s15, 0
	s_delay_alu instid0(VALU_DEP_1)
	s_and_b32 vcc_lo, exec_lo, s17
	s_cbranch_vccnz .LBB145_9
; %bb.6:
	s_mov_b32 s3, 0
	s_mov_b64 s[18:19], 0
	s_load_b64 s[20:21], s[0:1], 0x68
	s_cbranch_execz .LBB145_10
	s_branch .LBB145_11
.LBB145_7:
	s_mul_i32 s7, s2, s7
	s_mul_hi_u32 s15, s2, s6
	s_mul_i32 s6, s2, s6
	s_add_i32 s7, s15, s7
	s_delay_alu instid0(SALU_CYCLE_1) | instskip(NEXT) | instid1(SALU_CYCLE_1)
	s_lshl_b64 s[6:7], s[6:7], 2
	s_add_u32 s6, s4, s6
	s_addc_u32 s7, s5, s7
	s_load_b32 s15, s[6:7], 0x0
	s_load_b128 s[16:19], s[0:1], 0x58
	s_cbranch_execnz .LBB145_2
.LBB145_8:
	s_waitcnt lgkmcnt(0)
	s_mov_b32 s15, s4
	s_and_not1_b32 vcc_lo, exec_lo, s3
	s_cbranch_vccz .LBB145_3
	s_branch .LBB145_4
.LBB145_9:
	s_mov_b32 s3, -1
                                        ; implicit-def: $sgpr18_sgpr19
	s_load_b64 s[20:21], s[0:1], 0x68
.LBB145_10:
	s_mov_b32 s3, 0
	s_delay_alu instid0(SALU_CYCLE_1) | instskip(NEXT) | instid1(SALU_CYCLE_1)
	s_lshl_b64 s[4:5], s[2:3], 3
	s_add_u32 s4, s8, s4
	s_addc_u32 s5, s9, s5
	s_lshl_b64 s[6:7], s[10:11], 2
	s_load_b64 s[4:5], s[4:5], 0x0
	s_waitcnt lgkmcnt(0)
	s_add_u32 s18, s4, s6
	s_addc_u32 s19, s5, s7
.LBB145_11:
	s_clause 0x1
	s_load_b128 s[4:7], s[0:1], 0x38
	s_load_b64 s[8:9], s[0:1], 0x48
	s_and_not1_b32 vcc_lo, exec_lo, s17
	s_cbranch_vccnz .LBB145_13
; %bb.12:
	s_lshl_b64 s[10:11], s[2:3], 3
	s_waitcnt lgkmcnt(0)
	s_add_u32 s4, s4, s10
	s_addc_u32 s5, s5, s11
	s_lshl_b64 s[6:7], s[6:7], 2
	s_load_b64 s[4:5], s[4:5], 0x0
	s_waitcnt lgkmcnt(0)
	s_add_u32 s10, s4, s6
	s_addc_u32 s11, s5, s7
	s_branch .LBB145_14
.LBB145_13:
	s_mov_b64 s[10:11], 0
.LBB145_14:
	s_lshl_b64 s[2:3], s[2:3], 3
	v_bfe_u32 v9, v0, 10, 10
	s_waitcnt lgkmcnt(0)
	s_add_u32 s2, s20, s2
	s_addc_u32 s3, s21, s3
	s_load_b128 s[4:7], s[0:1], 0x70
	s_load_b64 s[2:3], s[2:3], 0x0
	s_load_b32 s17, s[0:1], 0x88
	v_and_b32_e32 v8, 0x3ff, v0
	s_waitcnt lgkmcnt(0)
	s_lshl_b64 s[4:5], s[4:5], 2
	s_delay_alu instid0(SALU_CYCLE_1) | instskip(SKIP_2) | instid1(SALU_CYCLE_1)
	s_add_u32 s23, s2, s4
	s_addc_u32 s5, s3, s5
	s_lshl_b32 s3, s14, 5
	s_mul_i32 s2, s3, s7
	s_mul_hi_u32 s20, s3, s6
	s_ashr_i32 s4, s3, 31
	s_add_i32 s2, s20, s2
	s_mul_i32 s21, s4, s6
	s_mul_i32 s20, s3, s6
	s_add_i32 s21, s2, s21
	v_cmp_eq_u32_e64 s2, 0, v9
	s_lshl_b64 s[20:21], s[20:21], 2
	s_delay_alu instid0(SALU_CYCLE_1)
	s_add_u32 s20, s23, s20
	s_addc_u32 s21, s5, s21
	s_and_not1_b32 vcc_lo, exec_lo, s22
	s_mov_b32 s5, -1
	s_cbranch_vccnz .LBB145_21
; %bb.15:
	s_mov_b32 s5, 0
	s_and_saveexec_b32 s22, s2
	s_cbranch_execz .LBB145_20
; %bb.16:
	v_cmp_gt_i32_e64 s2, s17, v8
	s_mov_b32 s23, exec_lo
	v_cmpx_le_i32_e64 s17, v8
	s_cbranch_execz .LBB145_18
; %bb.17:
	s_load_b32 s24, s[0:1], 0x90
	s_waitcnt lgkmcnt(0)
	s_add_i32 s24, s24, -1
	s_delay_alu instid0(SALU_CYCLE_1) | instskip(SKIP_3) | instid1(SALU_CYCLE_1)
	s_cmp_lt_u32 s14, s24
	s_cselect_b32 s24, -1, 0
	s_and_not1_b32 s2, s2, exec_lo
	s_and_b32 s24, s24, exec_lo
	s_or_b32 s2, s2, s24
.LBB145_18:
	s_or_b32 exec_lo, exec_lo, s23
	s_delay_alu instid0(SALU_CYCLE_1)
	s_and_b32 exec_lo, exec_lo, s2
	s_cbranch_execz .LBB145_20
; %bb.19:
	v_mad_u64_u32 v[0:1], null, v8, s6, 0
	s_delay_alu instid0(VALU_DEP_1) | instskip(NEXT) | instid1(VALU_DEP_1)
	v_mad_u64_u32 v[2:3], null, v8, s7, v[1:2]
	v_mov_b32_e32 v1, v2
	s_delay_alu instid0(VALU_DEP_1) | instskip(NEXT) | instid1(VALU_DEP_1)
	v_lshlrev_b64 v[0:1], 2, v[0:1]
	v_add_co_u32 v0, vcc_lo, s20, v0
	s_delay_alu instid0(VALU_DEP_2)
	v_add_co_ci_u32_e32 v1, vcc_lo, s21, v1, vcc_lo
	global_load_b32 v2, v[0:1], off
	s_waitcnt vmcnt(0)
	v_mul_f32_e32 v2, s16, v2
	global_store_b32 v[0:1], v2, off
.LBB145_20:
	s_or_b32 exec_lo, exec_lo, s22
.LBB145_21:
	s_delay_alu instid0(SALU_CYCLE_1)
	s_and_not1_b32 vcc_lo, exec_lo, s5
	s_cbranch_vccnz .LBB145_79
; %bb.22:
	s_load_b32 s22, s[0:1], 0x90
	s_mul_i32 s0, s3, s9
	s_mul_hi_u32 s1, s3, s8
	v_mov_b32_e32 v10, 0
	s_add_i32 s0, s1, s0
	s_mul_i32 s1, s4, s8
	s_delay_alu instid0(SALU_CYCLE_1) | instskip(SKIP_1) | instid1(SALU_CYCLE_1)
	s_add_i32 s1, s0, s1
	s_mul_i32 s0, s3, s8
	s_lshl_b64 s[0:1], s[0:1], 2
	s_delay_alu instid0(SALU_CYCLE_1)
	s_add_u32 s2, s10, s0
	s_addc_u32 s5, s11, s1
	v_cmp_eq_u32_e64 s0, 0, v9
	s_mov_b32 s10, -1
	s_waitcnt lgkmcnt(0)
	s_add_i32 s22, s22, -1
	s_delay_alu instid0(SALU_CYCLE_1) | instskip(SKIP_1) | instid1(SALU_CYCLE_1)
	s_cmp_lg_u32 s14, s22
	s_cselect_b32 s1, -1, 0
	s_and_b32 vcc_lo, exec_lo, s1
	s_cbranch_vccz .LBB145_27
; %bb.23:
	s_and_saveexec_b32 s10, s0
	s_cbranch_execz .LBB145_26
; %bb.24:
	v_mad_u64_u32 v[0:1], null, v8, s8, 0
	v_cmp_eq_f32_e64 s11, s16, 0
	v_mov_b32_e32 v10, 0
	s_delay_alu instid0(VALU_DEP_3) | instskip(NEXT) | instid1(VALU_DEP_1)
	v_mad_u64_u32 v[2:3], null, v8, s9, v[1:2]
	v_mov_b32_e32 v1, v2
	s_delay_alu instid0(VALU_DEP_1) | instskip(NEXT) | instid1(VALU_DEP_1)
	v_lshlrev_b64 v[0:1], 2, v[0:1]
	v_add_co_u32 v0, vcc_lo, s2, v0
	s_delay_alu instid0(VALU_DEP_2)
	v_add_co_ci_u32_e32 v1, vcc_lo, s5, v1, vcc_lo
	s_and_b32 vcc_lo, exec_lo, s11
	flat_load_b32 v0, v[0:1]
	v_lshlrev_b32_e32 v1, 2, v8
	s_waitcnt vmcnt(0) lgkmcnt(0)
	ds_store_b32 v1, v0 offset:5120
	s_cbranch_vccnz .LBB145_26
; %bb.25:
	v_mad_u64_u32 v[0:1], null, v8, s6, 0
	s_delay_alu instid0(VALU_DEP_1) | instskip(NEXT) | instid1(VALU_DEP_1)
	v_mad_u64_u32 v[2:3], null, v8, s7, v[1:2]
	v_mov_b32_e32 v1, v2
	s_delay_alu instid0(VALU_DEP_1) | instskip(NEXT) | instid1(VALU_DEP_1)
	v_lshlrev_b64 v[0:1], 2, v[0:1]
	v_add_co_u32 v0, vcc_lo, s20, v0
	s_delay_alu instid0(VALU_DEP_2)
	v_add_co_ci_u32_e32 v1, vcc_lo, s21, v1, vcc_lo
	global_load_b32 v0, v[0:1], off
	s_waitcnt vmcnt(0)
	v_mul_f32_e32 v10, s16, v0
.LBB145_26:
	s_or_b32 exec_lo, exec_lo, s10
	s_cbranch_execz .LBB145_28
	s_branch .LBB145_36
.LBB145_27:
                                        ; implicit-def: $vgpr10
	s_and_not1_b32 vcc_lo, exec_lo, s10
	s_cbranch_vccnz .LBB145_36
.LBB145_28:
	v_mov_b32_e32 v10, 0
	s_and_saveexec_b32 s10, s0
	s_cbranch_execz .LBB145_35
; %bb.29:
	s_mov_b32 s11, exec_lo
                                        ; implicit-def: $sgpr14
	v_cmpx_le_i32_e64 s17, v8
	s_xor_b32 s11, exec_lo, s11
	s_cbranch_execz .LBB145_31
; %bb.30:
	v_dual_mov_b32 v1, 0 :: v_dual_lshlrev_b32 v0, 2, v8
	s_mov_b32 s14, 0
	ds_store_b32 v0, v1 offset:5120
.LBB145_31:
	s_or_saveexec_b32 s11, s11
	v_mov_b32_e32 v10, s14
	s_xor_b32 exec_lo, exec_lo, s11
	s_cbranch_execz .LBB145_34
; %bb.32:
	v_mad_u64_u32 v[0:1], null, v8, s8, 0
	v_mov_b32_e32 v10, 0
	s_delay_alu instid0(VALU_DEP_2) | instskip(NEXT) | instid1(VALU_DEP_1)
	v_mad_u64_u32 v[2:3], null, v8, s9, v[1:2]
	v_mov_b32_e32 v1, v2
	s_delay_alu instid0(VALU_DEP_1) | instskip(NEXT) | instid1(VALU_DEP_1)
	v_lshlrev_b64 v[0:1], 2, v[0:1]
	v_add_co_u32 v0, vcc_lo, s2, v0
	s_delay_alu instid0(VALU_DEP_2)
	v_add_co_ci_u32_e32 v1, vcc_lo, s5, v1, vcc_lo
	v_cmp_eq_f32_e64 s2, s16, 0
	flat_load_b32 v0, v[0:1]
	v_lshlrev_b32_e32 v1, 2, v8
	s_and_b32 vcc_lo, exec_lo, s2
	s_waitcnt vmcnt(0) lgkmcnt(0)
	ds_store_b32 v1, v0 offset:5120
	s_cbranch_vccnz .LBB145_34
; %bb.33:
	v_mad_u64_u32 v[0:1], null, v8, s6, 0
	s_delay_alu instid0(VALU_DEP_1) | instskip(NEXT) | instid1(VALU_DEP_1)
	v_mad_u64_u32 v[2:3], null, v8, s7, v[1:2]
	v_mov_b32_e32 v1, v2
	s_delay_alu instid0(VALU_DEP_1) | instskip(NEXT) | instid1(VALU_DEP_1)
	v_lshlrev_b64 v[0:1], 2, v[0:1]
	v_add_co_u32 v0, vcc_lo, s20, v0
	s_delay_alu instid0(VALU_DEP_2)
	v_add_co_ci_u32_e32 v1, vcc_lo, s21, v1, vcc_lo
	global_load_b32 v0, v[0:1], off
	s_waitcnt vmcnt(0)
	v_mul_f32_e32 v10, s16, v0
.LBB145_34:
	s_or_b32 exec_lo, exec_lo, s11
.LBB145_35:
	s_delay_alu instid0(SALU_CYCLE_1)
	s_or_b32 exec_lo, exec_lo, s10
.LBB145_36:
	v_mad_u64_u32 v[0:1], null, v9, s12, 0
	s_add_u32 s2, s12, 1
	v_lshl_add_u32 v13, v9, 5, v8
	s_addc_u32 s5, s13, 0
	s_mul_i32 s4, s2, s4
	s_mul_hi_u32 s8, s2, s3
	s_mul_i32 s5, s5, s3
	s_delay_alu instid0(VALU_DEP_2)
	v_mad_u64_u32 v[2:3], null, v9, s13, v[1:2]
	s_add_i32 s4, s8, s4
	s_mul_i32 s2, s2, s3
	s_add_i32 s3, s4, s5
	v_lshlrev_b32_e32 v11, 2, v8
	s_lshl_b64 s[2:3], s[2:3], 2
	s_mov_b32 s8, 0
	s_delay_alu instid0(VALU_DEP_2) | instskip(SKIP_2) | instid1(VALU_DEP_1)
	v_dual_mov_b32 v1, v2 :: v_dual_lshlrev_b32 v12, 2, v13
	s_add_u32 s4, s18, s2
	s_addc_u32 s5, s19, s3
	v_lshlrev_b64 v[0:1], 2, v[0:1]
	s_delay_alu instid0(VALU_DEP_1) | instskip(NEXT) | instid1(VALU_DEP_2)
	v_add_co_u32 v14, vcc_lo, s4, v0
	v_add_co_ci_u32_e32 v15, vcc_lo, s5, v1, vcc_lo
	s_delay_alu instid0(VALU_DEP_2) | instskip(NEXT) | instid1(VALU_DEP_2)
	v_add_co_u32 v0, vcc_lo, v14, v11
	v_add_co_ci_u32_e32 v1, vcc_lo, 0, v15, vcc_lo
	s_and_not1_b32 vcc_lo, exec_lo, s1
	s_cbranch_vccnz .LBB145_38
; %bb.37:
	flat_load_b32 v4, v[0:1]
	s_lshl_b64 s[4:5], s[12:13], 4
	v_lshlrev_b32_e32 v16, 2, v13
	v_add_co_u32 v2, vcc_lo, v0, s4
	v_add_co_ci_u32_e32 v3, vcc_lo, s5, v1, vcc_lo
	s_mov_b32 s8, -1
	s_waitcnt vmcnt(0) lgkmcnt(0)
	ds_store_b32 v16, v4
	flat_load_b32 v4, v[2:3]
	v_add_co_u32 v2, vcc_lo, v2, s4
	v_add_co_ci_u32_e32 v3, vcc_lo, s5, v3, vcc_lo
	s_lshl_b64 s[4:5], s[12:13], 5
	s_waitcnt vmcnt(0) lgkmcnt(0)
	ds_store_b32 v16, v4 offset:512
	flat_load_b32 v17, v[2:3]
	v_mad_u64_u32 v[4:5], null, s12, 48, v[0:1]
	v_add_co_u32 v2, vcc_lo, v2, s4
	v_add_co_ci_u32_e32 v3, vcc_lo, s5, v3, vcc_lo
	s_delay_alu instid0(VALU_DEP_3) | instskip(NEXT) | instid1(VALU_DEP_1)
	v_mad_u64_u32 v[6:7], null, s13, 48, v[5:6]
	v_mov_b32_e32 v5, v6
	s_waitcnt vmcnt(0) lgkmcnt(0)
	ds_store_b32 v16, v17 offset:1024
	flat_load_b32 v4, v[4:5]
	s_waitcnt vmcnt(0) lgkmcnt(0)
	ds_store_b32 v16, v4 offset:1536
	flat_load_b32 v6, v[2:3]
	v_mad_u64_u32 v[2:3], null, 0x50, s12, v[0:1]
	s_delay_alu instid0(VALU_DEP_1) | instskip(NEXT) | instid1(VALU_DEP_1)
	v_mad_u64_u32 v[4:5], null, 0x50, s13, v[3:4]
	v_mov_b32_e32 v3, v4
	s_waitcnt vmcnt(0) lgkmcnt(0)
	ds_store_b32 v16, v6 offset:2048
	flat_load_b32 v6, v[2:3]
	v_mad_u64_u32 v[2:3], null, 0x60, s12, v[0:1]
	s_delay_alu instid0(VALU_DEP_1) | instskip(NEXT) | instid1(VALU_DEP_1)
	v_mad_u64_u32 v[4:5], null, 0x60, s13, v[3:4]
	v_mov_b32_e32 v3, v4
	s_waitcnt vmcnt(0) lgkmcnt(0)
	ds_store_b32 v16, v6 offset:2560
	flat_load_b32 v6, v[2:3]
	v_mad_u64_u32 v[2:3], null, 0x70, s12, v[0:1]
	s_delay_alu instid0(VALU_DEP_1) | instskip(NEXT) | instid1(VALU_DEP_1)
	v_mad_u64_u32 v[4:5], null, 0x70, s13, v[3:4]
	v_dual_mov_b32 v3, v4 :: v_dual_add_nc_u32 v4, 0x380, v13
	s_waitcnt vmcnt(0) lgkmcnt(0)
	ds_store_b32 v16, v6 offset:3072
	s_cbranch_execz .LBB145_39
	s_branch .LBB145_51
.LBB145_38:
                                        ; implicit-def: $vgpr2_vgpr3
                                        ; implicit-def: $vgpr4
.LBB145_39:
	v_mov_b32_e32 v2, 0
	s_mov_b32 s9, exec_lo
                                        ; implicit-def: $vgpr4
	ds_store_2addr_stride64_b32 v12, v2, v2 offset1:2
	ds_store_2addr_stride64_b32 v12, v2, v2 offset0:4 offset1:6
	ds_store_2addr_stride64_b32 v12, v2, v2 offset0:8 offset1:10
	;; [unrolled: 1-line block ×3, first 2 shown]
                                        ; implicit-def: $vgpr2_vgpr3
	v_cmpx_gt_i32_e64 s17, v8
	s_cbranch_execz .LBB145_50
; %bb.40:
	s_cmp_lt_u32 s17, 4
	s_mov_b32 s10, 0
	s_cbranch_scc1 .LBB145_47
; %bb.41:
	s_lshr_b32 s10, s17, 2
	s_mov_b32 s11, 0
	s_add_i32 s4, s10, -1
	s_delay_alu instid0(SALU_CYCLE_1)
	s_cmp_lt_u32 s4, 3
	s_cbranch_scc1 .LBB145_44
; %bb.42:
	v_lshlrev_b32_e32 v2, 2, v9
	s_and_b32 s11, s10, 0x3ffffffc
	s_add_u32 s4, s18, s2
	s_addc_u32 s5, s19, s3
	s_mov_b32 s14, 0
	v_add_nc_u32_e32 v18, 48, v2
	v_add_nc_u32_e32 v19, 32, v2
	;; [unrolled: 1-line block ×3, first 2 shown]
	s_delay_alu instid0(VALU_DEP_3) | instskip(NEXT) | instid1(VALU_DEP_3)
	v_mad_u64_u32 v[2:3], null, s12, v18, s[4:5]
	v_mad_u64_u32 v[4:5], null, s12, v19, s[4:5]
	s_delay_alu instid0(VALU_DEP_3) | instskip(SKIP_1) | instid1(VALU_DEP_2)
	v_mad_u64_u32 v[6:7], null, s12, v20, s[4:5]
	s_lshl_b64 s[4:5], s[12:13], 6
	v_mad_u64_u32 v[16:17], null, s13, v18, v[3:4]
	s_delay_alu instid0(VALU_DEP_1) | instskip(SKIP_1) | instid1(VALU_DEP_4)
	v_mov_b32_e32 v3, v16
	v_mov_b32_e32 v16, v12
	v_mad_u64_u32 v[17:18], null, s13, v19, v[5:6]
	v_mad_u64_u32 v[18:19], null, s13, v20, v[7:8]
	s_delay_alu instid0(VALU_DEP_2) | instskip(NEXT) | instid1(VALU_DEP_2)
	v_mov_b32_e32 v5, v17
	v_mov_b32_e32 v7, v18
	s_set_inst_prefetch_distance 0x1
	.p2align	6
.LBB145_43:                             ; =>This Inner Loop Header: Depth=1
	v_add_co_u32 v17, vcc_lo, v14, v11
	v_add_co_ci_u32_e32 v18, vcc_lo, 0, v15, vcc_lo
	s_add_i32 s14, s14, 4
	s_delay_alu instid0(SALU_CYCLE_1)
	s_cmp_lg_u32 s11, s14
	flat_load_b32 v19, v[17:18]
	v_add_co_u32 v17, vcc_lo, v6, v11
	v_add_co_ci_u32_e32 v18, vcc_lo, 0, v7, vcc_lo
	s_waitcnt vmcnt(0) lgkmcnt(0)
	ds_store_b32 v16, v19
	flat_load_b32 v19, v[17:18]
	v_add_co_u32 v17, vcc_lo, v4, v11
	v_add_co_ci_u32_e32 v18, vcc_lo, 0, v5, vcc_lo
	s_waitcnt vmcnt(0) lgkmcnt(0)
	ds_store_b32 v16, v19 offset:512
	flat_load_b32 v19, v[17:18]
	v_add_co_u32 v17, vcc_lo, v2, v11
	v_add_co_ci_u32_e32 v18, vcc_lo, 0, v3, vcc_lo
	v_add_co_u32 v2, vcc_lo, v2, s4
	v_add_co_ci_u32_e32 v3, vcc_lo, s5, v3, vcc_lo
	;; [unrolled: 2-line block ×5, first 2 shown]
	s_waitcnt vmcnt(0) lgkmcnt(0)
	ds_store_b32 v16, v19 offset:1024
	flat_load_b32 v17, v[17:18]
	s_waitcnt vmcnt(0) lgkmcnt(0)
	ds_store_b32 v16, v17 offset:1536
	v_add_nc_u32_e32 v16, 0x800, v16
	s_cbranch_scc1 .LBB145_43
.LBB145_44:
	s_set_inst_prefetch_distance 0x2
	s_bfe_u32 s14, s17, 0x20002
	s_mov_b32 s5, 0
	s_cmp_eq_u32 s14, 0
	s_cbranch_scc1 .LBB145_47
; %bb.45:
	v_lshlrev_b32_e32 v2, 2, v9
	s_lshl_b32 s4, s11, 2
	s_delay_alu instid0(SALU_CYCLE_1)
	s_lshl_b64 s[4:5], s[4:5], 2
	s_delay_alu instid0(VALU_DEP_1) | instid1(SALU_CYCLE_1)
	v_add_co_u32 v4, s4, v2, s4
	s_delay_alu instid0(VALU_DEP_1) | instskip(NEXT) | instid1(VALU_DEP_2)
	v_add_co_ci_u32_e64 v2, null, 0, s5, s4
	v_mul_lo_u32 v6, s13, v4
	s_delay_alu instid0(VALU_DEP_2)
	v_mul_lo_u32 v5, s12, v2
	v_mad_u64_u32 v[2:3], null, s12, v4, s[2:3]
	v_lshlrev_b32_e32 v4, 7, v9
	s_lshl_b32 s2, s11, 9
	s_delay_alu instid0(VALU_DEP_1) | instid1(SALU_CYCLE_1)
	v_add3_u32 v4, s2, v4, v11
	s_delay_alu instid0(VALU_DEP_3) | instskip(NEXT) | instid1(VALU_DEP_4)
	v_add3_u32 v3, v6, v3, v5
	v_add_co_u32 v2, vcc_lo, v2, v11
	s_lshl_b64 s[2:3], s[12:13], 4
	s_delay_alu instid0(VALU_DEP_2) | instskip(NEXT) | instid1(VALU_DEP_2)
	v_add_co_ci_u32_e32 v3, vcc_lo, 0, v3, vcc_lo
	v_add_co_u32 v2, vcc_lo, s18, v2
	s_delay_alu instid0(VALU_DEP_2)
	v_add_co_ci_u32_e32 v3, vcc_lo, s19, v3, vcc_lo
.LBB145_46:                             ; =>This Inner Loop Header: Depth=1
	flat_load_b32 v5, v[2:3]
	v_add_co_u32 v2, vcc_lo, v2, s2
	v_add_co_ci_u32_e32 v3, vcc_lo, s3, v3, vcc_lo
	s_add_i32 s14, s14, -1
	s_delay_alu instid0(SALU_CYCLE_1)
	s_cmp_lg_u32 s14, 0
	s_waitcnt vmcnt(0) lgkmcnt(0)
	ds_store_b32 v4, v5
	v_add_nc_u32_e32 v4, 0x200, v4
	s_cbranch_scc1 .LBB145_46
.LBB145_47:
	s_and_b32 s2, s17, 3
	s_mov_b32 s3, s8
	v_cmp_gt_u32_e32 vcc_lo, s2, v9
                                        ; implicit-def: $vgpr2_vgpr3
                                        ; implicit-def: $vgpr4
	s_and_saveexec_b32 s2, vcc_lo
; %bb.48:
	s_lshl_b32 s3, s10, 2
	v_lshl_add_u32 v4, s10, 7, v13
	s_mul_i32 s5, s3, s13
	s_mul_hi_u32 s11, s3, s12
	s_mul_i32 s4, s3, s12
	s_add_i32 s5, s11, s5
	s_or_b32 s3, s8, exec_lo
	s_lshl_b64 s[4:5], s[4:5], 2
	s_delay_alu instid0(SALU_CYCLE_1)
	v_add_co_u32 v2, vcc_lo, v0, s4
	v_add_co_ci_u32_e32 v3, vcc_lo, s5, v1, vcc_lo
; %bb.49:
	s_or_b32 exec_lo, exec_lo, s2
	s_delay_alu instid0(SALU_CYCLE_1) | instskip(SKIP_1) | instid1(SALU_CYCLE_1)
	s_and_not1_b32 s2, s8, exec_lo
	s_and_b32 s3, s3, exec_lo
	s_or_b32 s8, s2, s3
.LBB145_50:
	s_or_b32 exec_lo, exec_lo, s9
.LBB145_51:
	s_and_saveexec_b32 s2, s8
	s_cbranch_execz .LBB145_53
; %bb.52:
	flat_load_b32 v0, v[2:3]
	v_lshlrev_b32_e32 v1, 2, v4
	s_waitcnt vmcnt(0) lgkmcnt(0)
	ds_store_b32 v1, v0
.LBB145_53:
	s_or_b32 exec_lo, exec_lo, s2
	v_lshlrev_b32_e32 v1, 5, v8
	s_mov_b32 s2, exec_lo
	s_waitcnt lgkmcnt(0)
	s_waitcnt_vscnt null, 0x0
	s_barrier
	buffer_gl0_inv
	v_cmpx_ge_u32_e64 v8, v9
	s_xor_b32 s2, exec_lo, s2
; %bb.54:
	v_lshlrev_b32_e32 v1, 5, v8
; %bb.55:
	s_and_not1_saveexec_b32 s2, s2
	s_cbranch_execz .LBB145_57
; %bb.56:
	s_delay_alu instid0(VALU_DEP_1)
	v_add_lshl_u32 v0, v1, v9, 2
	ds_load_b32 v0, v0
	s_waitcnt lgkmcnt(0)
	ds_store_b32 v12, v0
.LBB145_57:
	s_or_b32 exec_lo, exec_lo, s2
	v_sub_nc_u32_e32 v0, v8, v9
	s_mov_b32 s2, exec_lo
	s_delay_alu instid0(VALU_DEP_1) | instskip(NEXT) | instid1(VALU_DEP_1)
	v_sub_nc_u32_e32 v2, 0, v0
	v_max_i32_e32 v3, v0, v2
	v_lshlrev_b32_e32 v0, 5, v9
	v_add_lshl_u32 v2, v1, v9, 2
	s_delay_alu instid0(VALU_DEP_3)
	v_cmpx_gt_u32_e32 4, v3
	s_cbranch_execz .LBB145_59
; %bb.58:
	ds_load_b32 v1, v2 offset:16
	v_add_lshl_u32 v4, v0, v8, 2
	s_waitcnt lgkmcnt(0)
	ds_store_b32 v4, v1 offset:512
.LBB145_59:
	s_or_b32 exec_lo, exec_lo, s2
	s_delay_alu instid0(SALU_CYCLE_1)
	s_mov_b32 s2, exec_lo
	v_cmpx_gt_u32_e32 8, v3
	s_cbranch_execz .LBB145_61
; %bb.60:
	ds_load_b32 v1, v2 offset:32
	v_add_lshl_u32 v4, v0, v8, 2
	s_waitcnt lgkmcnt(0)
	ds_store_b32 v4, v1 offset:1024
.LBB145_61:
	s_or_b32 exec_lo, exec_lo, s2
	s_delay_alu instid0(SALU_CYCLE_1)
	s_mov_b32 s2, exec_lo
	v_cmpx_gt_u32_e32 12, v3
	s_cbranch_execz .LBB145_63
; %bb.62:
	ds_load_b32 v1, v2 offset:48
	v_add_lshl_u32 v4, v0, v8, 2
	s_waitcnt lgkmcnt(0)
	ds_store_b32 v4, v1 offset:1536
.LBB145_63:
	s_or_b32 exec_lo, exec_lo, s2
	v_add_nc_u32_e32 v1, 16, v9
	s_mov_b32 s2, exec_lo
	s_delay_alu instid0(VALU_DEP_1)
	v_lshlrev_b32_e32 v1, 5, v1
	v_cmpx_gt_u32_e32 16, v3
	s_cbranch_execz .LBB145_65
; %bb.64:
	ds_load_b32 v4, v2 offset:64
	v_add_lshl_u32 v5, v1, v8, 2
	s_waitcnt lgkmcnt(0)
	ds_store_b32 v5, v4
.LBB145_65:
	s_or_b32 exec_lo, exec_lo, s2
	s_delay_alu instid0(SALU_CYCLE_1)
	s_mov_b32 s2, exec_lo
	v_cmpx_gt_u32_e32 20, v3
	s_cbranch_execz .LBB145_67
; %bb.66:
	ds_load_b32 v4, v2 offset:80
	s_waitcnt lgkmcnt(0)
	ds_store_b32 v12, v4 offset:2560
.LBB145_67:
	s_or_b32 exec_lo, exec_lo, s2
	s_delay_alu instid0(SALU_CYCLE_1)
	s_mov_b32 s2, exec_lo
	v_cmpx_gt_u32_e32 24, v3
	s_cbranch_execz .LBB145_69
; %bb.68:
	ds_load_b32 v4, v2 offset:96
	s_waitcnt lgkmcnt(0)
	ds_store_b32 v12, v4 offset:3072
.LBB145_69:
	s_or_b32 exec_lo, exec_lo, s2
	v_cmp_lt_u32_e32 vcc_lo, 27, v3
	v_add_nc_u32_e32 v4, 28, v9
                                        ; implicit-def: $vgpr3
	s_and_saveexec_b32 s2, vcc_lo
	s_delay_alu instid0(SALU_CYCLE_1)
	s_xor_b32 s2, exec_lo, s2
; %bb.70:
	v_add_nc_u32_e32 v4, 28, v9
                                        ; implicit-def: $vgpr2
	s_delay_alu instid0(VALU_DEP_1)
	v_lshl_add_u32 v3, v4, 5, v8
; %bb.71:
	s_and_not1_saveexec_b32 s2, s2
	s_cbranch_execz .LBB145_73
; %bb.72:
	ds_load_b32 v2, v2 offset:112
	v_lshl_add_u32 v3, v4, 5, v8
	s_delay_alu instid0(VALU_DEP_1)
	v_lshlrev_b32_e32 v5, 2, v3
	s_waitcnt lgkmcnt(0)
	ds_store_b32 v5, v2
.LBB145_73:
	s_or_b32 exec_lo, exec_lo, s2
	v_lshlrev_b32_e32 v2, 2, v9
	s_waitcnt lgkmcnt(0)
	s_barrier
	buffer_gl0_inv
	v_add_lshl_u32 v19, v0, v8, 2
	v_add_nc_u32_e32 v7, 0x1400, v2
	v_add_lshl_u32 v20, v1, v8, 2
	v_lshlrev_b32_e32 v3, 2, v3
	ds_load_2addr_b32 v[5:6], v7 offset1:4
	ds_load_b32 v9, v12
	ds_load_2addr_stride64_b32 v[13:14], v19 offset0:2 offset1:4
	ds_load_2addr_b32 v[15:16], v7 offset0:8 offset1:12
	s_waitcnt lgkmcnt(2)
	v_fma_f32 v5, v9, v5, 0
	s_waitcnt lgkmcnt(1)
	s_delay_alu instid0(VALU_DEP_1) | instskip(SKIP_1) | instid1(VALU_DEP_1)
	v_dual_fmac_f32 v5, v13, v6 :: v_dual_lshlrev_b32 v4, 2, v4
	s_waitcnt lgkmcnt(0)
	v_fmac_f32_e32 v5, v14, v15
	ds_load_2addr_stride64_b32 v[0:1], v19 offset0:6 offset1:10
	ds_load_b32 v4, v4 offset:5120
	ds_load_2addr_b32 v[17:18], v7 offset0:16 offset1:20
	ds_load_b32 v7, v20
	ds_load_b32 v3, v3
	ds_load_b32 v6, v19 offset:3072
	ds_load_b32 v2, v2 offset:5216
	s_waitcnt lgkmcnt(6)
	v_fmac_f32_e32 v5, v0, v16
	s_waitcnt lgkmcnt(3)
	s_delay_alu instid0(VALU_DEP_1) | instskip(NEXT) | instid1(VALU_DEP_1)
	v_fmac_f32_e32 v5, v7, v17
	v_fmac_f32_e32 v5, v1, v18
	s_waitcnt lgkmcnt(0)
	s_delay_alu instid0(VALU_DEP_1) | instskip(NEXT) | instid1(VALU_DEP_1)
	v_fmac_f32_e32 v5, v6, v2
	v_fmac_f32_e32 v5, v3, v4
	ds_store_b32 v12, v5 offset:4096
	s_waitcnt lgkmcnt(0)
	s_barrier
	buffer_gl0_inv
	s_and_saveexec_b32 s2, s0
	s_cbranch_execz .LBB145_79
; %bb.74:
	v_add_nc_u32_e32 v2, 0x1000, v11
	v_cmp_neq_f32_e64 vcc_lo, s16, 0
	s_mov_b32 s0, -1
	ds_load_2addr_b32 v[0:1], v2 offset1:32
	ds_load_2addr_b32 v[2:3], v2 offset0:64 offset1:96
	s_waitcnt lgkmcnt(1)
	v_add_f32_e32 v0, 0, v0
	s_delay_alu instid0(VALU_DEP_1) | instskip(SKIP_1) | instid1(VALU_DEP_1)
	v_add_f32_e32 v0, v0, v1
	s_waitcnt lgkmcnt(0)
	v_add_f32_e32 v0, v0, v2
	s_delay_alu instid0(VALU_DEP_1) | instskip(NEXT) | instid1(VALU_DEP_1)
	v_add_f32_e32 v0, v0, v3
	v_mul_f32_e32 v1, s15, v0
	v_fmac_f32_e32 v10, s15, v0
	s_delay_alu instid0(VALU_DEP_1)
	v_cndmask_b32_e32 v0, v1, v10, vcc_lo
	s_and_b32 vcc_lo, exec_lo, s1
	s_cbranch_vccz .LBB145_76
; %bb.75:
	v_mad_u64_u32 v[1:2], null, v8, s6, 0
	s_mov_b32 s0, 0
	s_delay_alu instid0(VALU_DEP_1) | instskip(NEXT) | instid1(VALU_DEP_1)
	v_mad_u64_u32 v[3:4], null, v8, s7, v[2:3]
	v_mov_b32_e32 v2, v3
	s_delay_alu instid0(VALU_DEP_1) | instskip(NEXT) | instid1(VALU_DEP_1)
	v_lshlrev_b64 v[1:2], 2, v[1:2]
	v_add_co_u32 v1, vcc_lo, s20, v1
	s_delay_alu instid0(VALU_DEP_2)
	v_add_co_ci_u32_e32 v2, vcc_lo, s21, v2, vcc_lo
	global_store_b32 v[1:2], v0, off
.LBB145_76:
	s_and_not1_b32 vcc_lo, exec_lo, s0
	s_cbranch_vccnz .LBB145_79
; %bb.77:
	v_cmp_gt_i32_e32 vcc_lo, s17, v8
	s_and_b32 exec_lo, exec_lo, vcc_lo
	s_cbranch_execz .LBB145_79
; %bb.78:
	v_mad_u64_u32 v[1:2], null, v8, s6, 0
	s_delay_alu instid0(VALU_DEP_1) | instskip(NEXT) | instid1(VALU_DEP_1)
	v_mad_u64_u32 v[3:4], null, v8, s7, v[2:3]
	v_mov_b32_e32 v2, v3
	s_delay_alu instid0(VALU_DEP_1) | instskip(NEXT) | instid1(VALU_DEP_1)
	v_lshlrev_b64 v[1:2], 2, v[1:2]
	v_add_co_u32 v1, vcc_lo, s20, v1
	s_delay_alu instid0(VALU_DEP_2)
	v_add_co_ci_u32_e32 v2, vcc_lo, s21, v2, vcc_lo
	global_store_b32 v[1:2], v0, off
.LBB145_79:
	s_nop 0
	s_sendmsg sendmsg(MSG_DEALLOC_VGPRS)
	s_endpgm
	.section	.rodata,"a",@progbits
	.p2align	6, 0x0
	.amdhsa_kernel _ZL58rocblas_symv_kernel_lower_double_buffered_diagonal_genericILi32ELi4E24rocblas_internal_val_ptrIfEPKPKfPKPfEvbiT1_lT2_lllSA_lllS9_lT3_lllii
		.amdhsa_group_segment_fixed_size 5248
		.amdhsa_private_segment_fixed_size 0
		.amdhsa_kernarg_size 400
		.amdhsa_user_sgpr_count 14
		.amdhsa_user_sgpr_dispatch_ptr 0
		.amdhsa_user_sgpr_queue_ptr 0
		.amdhsa_user_sgpr_kernarg_segment_ptr 1
		.amdhsa_user_sgpr_dispatch_id 0
		.amdhsa_user_sgpr_private_segment_size 0
		.amdhsa_wavefront_size32 1
		.amdhsa_uses_dynamic_stack 0
		.amdhsa_enable_private_segment 0
		.amdhsa_system_sgpr_workgroup_id_x 1
		.amdhsa_system_sgpr_workgroup_id_y 0
		.amdhsa_system_sgpr_workgroup_id_z 1
		.amdhsa_system_sgpr_workgroup_info 0
		.amdhsa_system_vgpr_workitem_id 1
		.amdhsa_next_free_vgpr 21
		.amdhsa_next_free_sgpr 25
		.amdhsa_reserve_vcc 1
		.amdhsa_float_round_mode_32 0
		.amdhsa_float_round_mode_16_64 0
		.amdhsa_float_denorm_mode_32 3
		.amdhsa_float_denorm_mode_16_64 3
		.amdhsa_dx10_clamp 1
		.amdhsa_ieee_mode 1
		.amdhsa_fp16_overflow 0
		.amdhsa_workgroup_processor_mode 1
		.amdhsa_memory_ordered 1
		.amdhsa_forward_progress 0
		.amdhsa_shared_vgpr_count 0
		.amdhsa_exception_fp_ieee_invalid_op 0
		.amdhsa_exception_fp_denorm_src 0
		.amdhsa_exception_fp_ieee_div_zero 0
		.amdhsa_exception_fp_ieee_overflow 0
		.amdhsa_exception_fp_ieee_underflow 0
		.amdhsa_exception_fp_ieee_inexact 0
		.amdhsa_exception_int_div_zero 0
	.end_amdhsa_kernel
	.section	.text._ZL58rocblas_symv_kernel_lower_double_buffered_diagonal_genericILi32ELi4E24rocblas_internal_val_ptrIfEPKPKfPKPfEvbiT1_lT2_lllSA_lllS9_lT3_lllii,"axG",@progbits,_ZL58rocblas_symv_kernel_lower_double_buffered_diagonal_genericILi32ELi4E24rocblas_internal_val_ptrIfEPKPKfPKPfEvbiT1_lT2_lllSA_lllS9_lT3_lllii,comdat
.Lfunc_end145:
	.size	_ZL58rocblas_symv_kernel_lower_double_buffered_diagonal_genericILi32ELi4E24rocblas_internal_val_ptrIfEPKPKfPKPfEvbiT1_lT2_lllSA_lllS9_lT3_lllii, .Lfunc_end145-_ZL58rocblas_symv_kernel_lower_double_buffered_diagonal_genericILi32ELi4E24rocblas_internal_val_ptrIfEPKPKfPKPfEvbiT1_lT2_lllSA_lllS9_lT3_lllii
                                        ; -- End function
	.section	.AMDGPU.csdata,"",@progbits
; Kernel info:
; codeLenInByte = 3476
; NumSgprs: 27
; NumVgprs: 21
; ScratchSize: 0
; MemoryBound: 0
; FloatMode: 240
; IeeeMode: 1
; LDSByteSize: 5248 bytes/workgroup (compile time only)
; SGPRBlocks: 3
; VGPRBlocks: 2
; NumSGPRsForWavesPerEU: 27
; NumVGPRsForWavesPerEU: 21
; Occupancy: 16
; WaveLimiterHint : 1
; COMPUTE_PGM_RSRC2:SCRATCH_EN: 0
; COMPUTE_PGM_RSRC2:USER_SGPR: 14
; COMPUTE_PGM_RSRC2:TRAP_HANDLER: 0
; COMPUTE_PGM_RSRC2:TGID_X_EN: 1
; COMPUTE_PGM_RSRC2:TGID_Y_EN: 0
; COMPUTE_PGM_RSRC2:TGID_Z_EN: 1
; COMPUTE_PGM_RSRC2:TIDIG_COMP_CNT: 1
	.section	.text._ZL62rocblas_symv_kernel_lower_double_buffered_non_diagonal_genericILi32ELi4ELi4E24rocblas_internal_val_ptrIfEPKPKfPKPfEvbiT2_lT3_lllSA_lllT4_lllii,"axG",@progbits,_ZL62rocblas_symv_kernel_lower_double_buffered_non_diagonal_genericILi32ELi4ELi4E24rocblas_internal_val_ptrIfEPKPKfPKPfEvbiT2_lT3_lllSA_lllT4_lllii,comdat
	.globl	_ZL62rocblas_symv_kernel_lower_double_buffered_non_diagonal_genericILi32ELi4ELi4E24rocblas_internal_val_ptrIfEPKPKfPKPfEvbiT2_lT3_lllSA_lllT4_lllii ; -- Begin function _ZL62rocblas_symv_kernel_lower_double_buffered_non_diagonal_genericILi32ELi4ELi4E24rocblas_internal_val_ptrIfEPKPKfPKPfEvbiT2_lT3_lllSA_lllT4_lllii
	.p2align	8
	.type	_ZL62rocblas_symv_kernel_lower_double_buffered_non_diagonal_genericILi32ELi4ELi4E24rocblas_internal_val_ptrIfEPKPKfPKPfEvbiT2_lT3_lllSA_lllT4_lllii,@function
_ZL62rocblas_symv_kernel_lower_double_buffered_non_diagonal_genericILi32ELi4ELi4E24rocblas_internal_val_ptrIfEPKPKfPKPfEvbiT2_lT3_lllSA_lllT4_lllii: ; @_ZL62rocblas_symv_kernel_lower_double_buffered_non_diagonal_genericILi32ELi4ELi4E24rocblas_internal_val_ptrIfEPKPKfPKPfEvbiT2_lT3_lllSA_lllT4_lllii
; %bb.0:
	s_clause 0x2
	s_load_b32 s3, s[0:1], 0x0
	s_load_b256 s[4:11], s[0:1], 0x8
	s_load_b64 s[16:17], s[0:1], 0x28
	s_mov_b32 s2, s15
	s_waitcnt lgkmcnt(0)
	s_bitcmp0_b32 s3, 0
	s_mov_b32 s3, 0
	s_cbranch_scc0 .LBB146_2
; %bb.1:
	s_mul_i32 s7, s2, s7
	s_mul_hi_u32 s12, s2, s6
	s_mul_i32 s6, s2, s6
	s_add_i32 s7, s12, s7
	s_delay_alu instid0(SALU_CYCLE_1) | instskip(NEXT) | instid1(SALU_CYCLE_1)
	s_lshl_b64 s[6:7], s[6:7], 2
	s_add_u32 s6, s4, s6
	s_addc_u32 s7, s5, s7
	s_load_b32 s15, s[6:7], 0x0
	s_and_not1_b32 vcc_lo, exec_lo, s3
	s_cbranch_vccz .LBB146_3
	s_branch .LBB146_4
.LBB146_2:
                                        ; implicit-def: $sgpr15
.LBB146_3:
	s_waitcnt lgkmcnt(0)
	s_mov_b32 s15, s4
.LBB146_4:
	s_waitcnt lgkmcnt(0)
	v_cmp_eq_f32_e64 s3, s15, 0
	s_delay_alu instid0(VALU_DEP_1)
	s_and_b32 vcc_lo, exec_lo, s3
	s_cbranch_vccnz .LBB146_37
; %bb.5:
	s_load_b64 s[4:5], s[0:1], 0x80
	s_waitcnt lgkmcnt(0)
	v_cvt_f32_u32_e32 v1, s5
	s_add_i32 s20, s4, -1
	s_delay_alu instid0(SALU_CYCLE_1) | instskip(NEXT) | instid1(VALU_DEP_1)
	s_cmp_eq_u32 s13, s20
	v_rcp_iflag_f32_e32 v1, v1
	s_waitcnt_depctr 0xfff
	v_mul_f32_e32 v1, 0x4f7ffffe, v1
	s_delay_alu instid0(VALU_DEP_1) | instskip(NEXT) | instid1(VALU_DEP_1)
	v_cvt_u32_f32_e32 v1, v1
	v_readfirstlane_b32 s6, v1
	s_cbranch_scc1 .LBB146_37
; %bb.6:
	s_clause 0x1
	s_load_b128 s[24:27], s[0:1], 0x38
	s_load_b64 s[22:23], s[0:1], 0x58
	s_sub_i32 s12, 0, s5
	s_not_b32 s7, s13
	s_mul_i32 s12, s12, s6
	s_mov_b32 s3, 0
	s_add_i32 s20, s20, s7
	s_mul_hi_u32 s7, s6, s12
	s_lshl_b64 s[2:3], s[2:3], 3
	s_add_i32 s21, s6, s7
	s_add_u32 s8, s8, s2
	s_addc_u32 s9, s9, s3
	s_load_b64 s[18:19], s[0:1], 0x48
	v_bfe_u32 v1, v0, 10, 10
	v_and_b32_e32 v22, 0x3ff, v0
	s_mul_hi_u32 s21, s20, s21
	s_waitcnt lgkmcnt(0)
	s_add_u32 s6, s24, s2
	s_addc_u32 s7, s25, s3
	s_load_b64 s[24:25], s[6:7], 0x0
	s_add_u32 s6, s22, s2
	s_addc_u32 s7, s23, s3
	s_lshl_b64 s[2:3], s[26:27], 2
	s_waitcnt lgkmcnt(0)
	s_add_u32 s24, s24, s2
	s_addc_u32 s25, s25, s3
	s_lshl_b32 s3, s13, 5
	s_delay_alu instid0(SALU_CYCLE_1)
	s_mul_i32 s2, s3, s19
	s_mul_hi_u32 s22, s3, s18
	s_ashr_i32 s12, s3, 31
	s_add_i32 s2, s22, s2
	s_mul_i32 s23, s12, s18
	s_mul_i32 s22, s3, s18
	s_add_i32 s23, s2, s23
	v_cmp_eq_u32_e64 s2, 0, v1
	s_lshl_b64 s[22:23], s[22:23], 2
	s_delay_alu instid0(SALU_CYCLE_1) | instskip(SKIP_1) | instid1(VALU_DEP_1)
	s_add_u32 s26, s24, s22
	s_addc_u32 s27, s25, s23
	s_and_saveexec_b32 s22, s2
	s_cbranch_execz .LBB146_8
; %bb.7:
	v_mad_u64_u32 v[2:3], null, v22, s18, 0
	s_delay_alu instid0(VALU_DEP_1) | instskip(NEXT) | instid1(VALU_DEP_1)
	v_mov_b32_e32 v0, v3
	v_mad_u64_u32 v[3:4], null, v22, s19, v[0:1]
	s_delay_alu instid0(VALU_DEP_1) | instskip(NEXT) | instid1(VALU_DEP_1)
	v_lshlrev_b64 v[2:3], 2, v[2:3]
	v_add_co_u32 v2, vcc_lo, s26, v2
	s_delay_alu instid0(VALU_DEP_2)
	v_add_co_ci_u32_e32 v3, vcc_lo, s27, v3, vcc_lo
	global_load_b32 v0, v[2:3], off
	v_lshlrev_b32_e32 v2, 2, v22
	s_waitcnt vmcnt(0)
	ds_store_b32 v2, v0 offset:3072
.LBB146_8:
	s_or_b32 exec_lo, exec_lo, s22
	s_mul_i32 s22, s21, s5
	s_add_i32 s23, s21, 1
	s_sub_i32 s22, s20, s22
	s_delay_alu instid0(SALU_CYCLE_1)
	s_sub_i32 s24, s22, s5
	s_cmp_ge_u32 s22, s5
	s_cselect_b32 s21, s23, s21
	s_cselect_b32 s22, s24, s22
	s_add_i32 s23, s21, 1
	s_cmp_ge_u32 s22, s5
	s_cselect_b32 s22, s23, s21
	s_add_i32 s21, s5, -1
	s_mov_b32 s25, s22
	s_cmp_eq_u32 s14, s21
	s_cselect_b32 s24, -1, 0
	s_cmp_lg_u32 s14, s21
	s_cbranch_scc1 .LBB146_10
; %bb.9:
	s_mul_i32 s5, s22, s5
	s_delay_alu instid0(SALU_CYCLE_1) | instskip(NEXT) | instid1(SALU_CYCLE_1)
	s_sub_i32 s5, s20, s5
	s_add_i32 s25, s5, s22
.LBB146_10:
	s_cmp_lg_u32 s14, s21
	s_cselect_b32 s5, -1, 0
	s_cmp_eq_u32 s25, 0
	s_cselect_b32 s20, -1, 0
	s_delay_alu instid0(SALU_CYCLE_1) | instskip(NEXT) | instid1(SALU_CYCLE_1)
	s_and_b32 s5, s5, s20
	s_and_b32 vcc_lo, exec_lo, s5
	s_cbranch_vccnz .LBB146_37
; %bb.11:
	s_load_b64 s[8:9], s[8:9], 0x0
	v_lshl_add_u32 v0, v1, 5, v22
	s_mul_i32 s14, s14, s22
	v_dual_mov_b32 v5, 0 :: v_dual_and_b32 v4, 15, v22
	s_load_b64 s[20:21], s[6:7], 0x0
	s_delay_alu instid0(VALU_DEP_2)
	v_lshrrev_b32_e32 v23, 4, v0
	s_lshl_b64 s[6:7], s[10:11], 2
	s_lshl_b32 s10, s14, 5
	s_waitcnt lgkmcnt(0)
	s_ashr_i32 s11, s10, 31
	v_lshlrev_b32_e32 v24, 2, v23
	s_mul_i32 s5, s10, s19
	s_mul_hi_u32 s14, s10, s18
	s_mul_i32 s28, s11, s18
	s_barrier
	v_mad_u64_u32 v[6:7], null, v24, s16, v[4:5]
	buffer_gl0_inv
	s_add_u32 s8, s8, s6
	s_addc_u32 s9, s9, s7
	s_add_u32 s6, s16, 1
	s_addc_u32 s7, s17, 0
	s_mul_i32 s22, s6, s12
	s_mul_hi_u32 s23, s6, s3
	s_mul_i32 s7, s7, s3
	s_add_i32 s22, s23, s22
	s_mul_i32 s6, s6, s3
	s_add_i32 s7, s22, s7
	v_mov_b32_e32 v0, v7
	s_lshl_b64 s[6:7], s[6:7], 2
	s_delay_alu instid0(SALU_CYCLE_1)
	s_add_u32 s8, s8, s6
	s_addc_u32 s9, s9, s7
	s_lshl_b64 s[6:7], s[10:11], 2
	v_mad_u64_u32 v[1:2], null, v24, s17, v[0:1]
	s_add_u32 s22, s8, s6
	s_addc_u32 s23, s9, s7
	s_add_i32 s5, s14, s5
	s_mul_i32 s6, s10, s18
	s_add_i32 s7, s5, s28
	s_delay_alu instid0(VALU_DEP_1) | instskip(SKIP_1) | instid1(SALU_CYCLE_1)
	v_mov_b32_e32 v7, v1
	s_lshl_b64 s[6:7], s[6:7], 2
	s_add_u32 s26, s26, s6
	s_addc_u32 s27, s27, s7
	s_add_i32 s4, s4, -2
	s_lshl_b64 s[8:9], s[18:19], 5
	s_cmp_ge_u32 s13, s4
	s_cbranch_scc1 .LBB146_13
; %bb.12:
	v_lshlrev_b64 v[0:1], 2, v[6:7]
	v_mad_u64_u32 v[2:3], null, v4, s18, 0
	s_lshl_b64 s[4:5], s[8:9], 2
	s_delay_alu instid0(SALU_CYCLE_1) | instskip(NEXT) | instid1(VALU_DEP_2)
	s_add_u32 s13, s26, s4
	v_add_co_u32 v0, vcc_lo, s22, v0
	s_delay_alu instid0(VALU_DEP_3) | instskip(NEXT) | instid1(VALU_DEP_3)
	v_add_co_ci_u32_e32 v1, vcc_lo, s23, v1, vcc_lo
	v_mad_u64_u32 v[10:11], null, v4, s19, v[3:4]
	s_addc_u32 s14, s27, s5
	s_delay_alu instid0(VALU_DEP_2) | instskip(SKIP_2) | instid1(VALU_DEP_2)
	v_mad_u64_u32 v[8:9], null, s16, 12, v[0:1]
	s_lshl_b64 s[4:5], s[16:17], 2
	s_lshl_b64 s[6:7], s[16:17], 3
	v_mov_b32_e32 v3, v10
	s_delay_alu instid0(VALU_DEP_2) | instskip(NEXT) | instid1(VALU_DEP_2)
	v_mov_b32_e32 v5, v9
	v_lshlrev_b64 v[2:3], 2, v[2:3]
	s_delay_alu instid0(VALU_DEP_2)
	v_mad_u64_u32 v[9:10], null, s17, 12, v[5:6]
	v_add_co_u32 v10, vcc_lo, v0, s4
	v_add_co_ci_u32_e32 v11, vcc_lo, s5, v1, vcc_lo
	v_add_co_u32 v12, vcc_lo, v0, s6
	v_add_co_ci_u32_e32 v13, vcc_lo, s7, v1, vcc_lo
	;; [unrolled: 2-line block ×3, first 2 shown]
	global_load_b32 v32, v[0:1], off offset:128
	s_clause 0x2
	global_load_b32 v33, v[10:11], off offset:128
	global_load_b32 v34, v[12:13], off offset:128
	global_load_b32 v35, v[8:9], off offset:128
	global_load_b32 v5, v[2:3], off
	s_branch .LBB146_14
.LBB146_13:
                                        ; implicit-def: $vgpr32
                                        ; implicit-def: $vgpr33
                                        ; implicit-def: $vgpr34
                                        ; implicit-def: $vgpr35
.LBB146_14:
	s_load_b128 s[4:7], s[0:1], 0x60
	v_dual_mov_b32 v26, 0 :: v_dual_lshlrev_b32 v25, 2, v4
	v_or_b32_e32 v30, 16, v4
	s_waitcnt lgkmcnt(0)
	s_lshl_b64 s[4:5], s[4:5], 2
	s_mul_i32 s13, s3, s7
	s_mul_hi_u32 s14, s3, s6
	s_mul_i32 s28, s12, s6
	s_mul_i32 s12, s3, s6
	s_add_u32 s3, s20, s4
	s_addc_u32 s20, s21, s5
	s_add_i32 s4, s14, s13
	s_mul_i32 s21, s10, s7
	s_add_i32 s13, s4, s28
	s_mul_hi_u32 s28, s10, s6
	s_lshl_b64 s[4:5], s[12:13], 2
	s_mul_i32 s11, s11, s6
	s_add_u32 s3, s3, s4
	s_addc_u32 s14, s20, s5
	s_add_i32 s5, s28, s21
	s_mul_i32 s4, s10, s6
	s_add_i32 s5, s5, s11
	s_mov_b32 s20, 0
	s_lshl_b64 s[4:5], s[4:5], 2
	s_delay_alu instid0(SALU_CYCLE_1)
	s_add_u32 s12, s3, s4
	s_addc_u32 s13, s14, s5
	s_cmp_lt_i32 s25, 1
	s_cbranch_scc1 .LBB146_24
; %bb.15:
	v_mad_u64_u32 v[0:1], null, v30, s18, 0
	v_mad_u64_u32 v[2:3], null, v4, s18, 0
	;; [unrolled: 1-line block ×3, first 2 shown]
	v_lshl_or_b32 v13, v23, 7, v25
	v_lshl_add_u32 v38, v24, 2, 0xc00
	v_lshl_add_u32 v39, v22, 2, 0x800
	s_lshl_b64 s[28:29], s[16:17], 3
	v_mad_u64_u32 v[9:10], null, v30, s19, v[1:2]
	v_dual_mov_b32 v8, v17 :: v_dual_add_nc_u32 v37, 0x800, v13
	v_mad_u64_u32 v[10:11], null, v4, s19, v[3:4]
	s_waitcnt vmcnt(2)
	v_dual_mov_b32 v27, 0 :: v_dual_mov_b32 v42, v34
	s_delay_alu instid0(VALU_DEP_3) | instskip(SKIP_1) | instid1(VALU_DEP_4)
	v_mad_u64_u32 v[11:12], null, v22, s7, v[8:9]
	v_dual_mov_b32 v1, v9 :: v_dual_mov_b32 v8, s12
	v_dual_mov_b32 v3, v10 :: v_dual_mov_b32 v28, 0
	v_lshlrev_b64 v[12:13], 2, v[6:7]
	s_delay_alu instid0(VALU_DEP_4) | instskip(NEXT) | instid1(VALU_DEP_4)
	v_dual_mov_b32 v26, 0 :: v_dual_mov_b32 v17, v11
	v_lshlrev_b64 v[10:11], 2, v[0:1]
	s_delay_alu instid0(VALU_DEP_4) | instskip(SKIP_1) | instid1(VALU_DEP_4)
	v_lshlrev_b64 v[14:15], 2, v[2:3]
	v_dual_mov_b32 v9, s13 :: v_dual_mov_b32 v40, v32
	v_lshlrev_b64 v[16:17], 2, v[16:17]
	v_mov_b32_e32 v29, 0
	v_mov_b32_e32 v41, v33
	s_waitcnt vmcnt(1)
	v_mov_b32_e32 v43, v35
	s_add_i32 s21, s25, -1
	s_lshl_b64 s[4:5], s[6:7], 7
	s_lshl_b64 s[10:11], s[16:17], 2
	s_sub_u32 s28, 0, s28
	s_subb_u32 s29, 0, s29
	s_lshl_b64 s[12:13], s[8:9], 2
.LBB146_16:                             ; =>This Loop Header: Depth=1
                                        ;     Child Loop BB146_20 Depth 2
	v_add_co_u32 v18, vcc_lo, s22, v12
	v_add_co_ci_u32_e32 v19, vcc_lo, s23, v13, vcc_lo
	s_add_u32 s26, s26, s12
	s_delay_alu instid0(VALU_DEP_2) | instskip(NEXT) | instid1(VALU_DEP_2)
	v_add_co_u32 v0, vcc_lo, v18, s10
	v_add_co_ci_u32_e32 v1, vcc_lo, s11, v19, vcc_lo
	s_addc_u32 s27, s27, s13
	s_delay_alu instid0(VALU_DEP_2) | instskip(NEXT) | instid1(VALU_DEP_2)
	v_add_co_u32 v2, vcc_lo, v0, s10
	v_add_co_ci_u32_e32 v3, vcc_lo, s11, v1, vcc_lo
	v_add_co_u32 v44, vcc_lo, s26, v10
	v_add_co_ci_u32_e32 v45, vcc_lo, s27, v11, vcc_lo
	s_delay_alu instid0(VALU_DEP_4) | instskip(NEXT) | instid1(VALU_DEP_4)
	v_add_co_u32 v20, vcc_lo, v2, s10
	v_add_co_ci_u32_e32 v21, vcc_lo, s11, v3, vcc_lo
	global_load_b32 v31, v[44:45], off
	s_clause 0x3
	global_load_b32 v45, v[0:1], off offset:192
	global_load_b32 v44, v[2:3], off offset:192
	;; [unrolled: 1-line block ×4, first 2 shown]
	ds_load_b128 v[0:3], v38
	s_waitcnt vmcnt(5)
	v_mov_b32_e32 v36, v5
	s_cmp_eq_u32 s20, s21
	s_cbranch_scc1 .LBB146_18
; %bb.17:                               ;   in Loop: Header=BB146_16 Depth=1
	v_add_co_u32 v20, vcc_lo, v20, s28
	v_add_co_ci_u32_e32 v21, vcc_lo, s29, v21, vcc_lo
	s_add_u32 s30, s26, s12
	s_delay_alu instid0(VALU_DEP_2) | instskip(NEXT) | instid1(VALU_DEP_2)
	v_add_co_u32 v42, vcc_lo, v20, s10
	v_add_co_ci_u32_e32 v43, vcc_lo, s11, v21, vcc_lo
	s_addc_u32 s31, s27, s13
	s_delay_alu instid0(VALU_DEP_2) | instskip(NEXT) | instid1(VALU_DEP_2)
	v_add_co_u32 v48, vcc_lo, v42, s10
	v_add_co_ci_u32_e32 v49, vcc_lo, s11, v43, vcc_lo
	v_add_co_u32 v50, vcc_lo, s30, v14
	v_add_co_ci_u32_e32 v51, vcc_lo, s31, v15, vcc_lo
	s_clause 0x1
	global_load_b32 v40, v[18:19], off offset:256
	global_load_b32 v41, v[20:21], off offset:256
	;; [unrolled: 1-line block ×4, first 2 shown]
	global_load_b32 v36, v[50:51], off
.LBB146_18:                             ;   in Loop: Header=BB146_16 Depth=1
	s_waitcnt lgkmcnt(0)
	v_fma_f32 v18, v32, v0, 0
	s_waitcnt vmcnt(1)
	v_fma_f32 v0, v47, v0, 0
	s_waitcnt vmcnt(0)
	s_barrier
	buffer_gl0_inv
	v_fmac_f32_e32 v18, v33, v1
	v_fmac_f32_e32 v0, v45, v1
	s_delay_alu instid0(VALU_DEP_2) | instskip(NEXT) | instid1(VALU_DEP_2)
	v_fmac_f32_e32 v18, v34, v2
	v_fmac_f32_e32 v0, v44, v2
	s_delay_alu instid0(VALU_DEP_2) | instskip(NEXT) | instid1(VALU_DEP_2)
	v_fmac_f32_e32 v18, v35, v3
	v_fmac_f32_e32 v0, v46, v3
	ds_store_2addr_b32 v37, v18, v0 offset1:16
	s_waitcnt lgkmcnt(0)
	s_barrier
	buffer_gl0_inv
	s_and_saveexec_b32 s30, s2
	s_cbranch_execz .LBB146_22
; %bb.19:                               ;   in Loop: Header=BB146_16 Depth=1
	v_add_co_u32 v8, vcc_lo, v8, s4
	v_add_co_ci_u32_e32 v9, vcc_lo, s5, v9, vcc_lo
	s_mov_b32 s31, 0
	s_delay_alu instid0(VALU_DEP_2) | instskip(NEXT) | instid1(VALU_DEP_2)
	v_add_co_u32 v0, vcc_lo, v8, v16
	v_add_co_ci_u32_e32 v1, vcc_lo, v9, v17, vcc_lo
	global_load_b32 v3, v[0:1], off
	ds_load_2addr_b32 v[18:19], v39 offset1:32
	ds_load_2addr_b32 v[20:21], v39 offset0:64 offset1:96
	ds_load_2addr_b32 v[48:49], v39 offset0:128 offset1:160
	s_waitcnt lgkmcnt(2)
	v_add_f32_e32 v2, 0, v18
	s_delay_alu instid0(VALU_DEP_1) | instskip(SKIP_3) | instid1(VALU_DEP_1)
	v_add_f32_e32 v2, v2, v19
	ds_load_2addr_b32 v[18:19], v39 offset0:192 offset1:224
	s_waitcnt lgkmcnt(2)
	v_add_f32_e32 v2, v2, v20
	v_add_f32_e32 v2, v2, v21
	s_waitcnt lgkmcnt(1)
	s_delay_alu instid0(VALU_DEP_1) | instskip(NEXT) | instid1(VALU_DEP_1)
	v_add_f32_e32 v2, v2, v48
	v_add_f32_e32 v2, v2, v49
	s_waitcnt lgkmcnt(0)
	s_delay_alu instid0(VALU_DEP_1) | instskip(NEXT) | instid1(VALU_DEP_1)
	v_add_f32_e32 v2, v2, v18
	v_add_f32_e32 v2, v2, v19
	s_delay_alu instid0(VALU_DEP_1)
	v_mul_f32_e32 v18, s15, v2
.LBB146_20:                             ;   Parent Loop BB146_16 Depth=1
                                        ; =>  This Inner Loop Header: Depth=2
	s_waitcnt vmcnt(0)
	s_delay_alu instid0(VALU_DEP_1)
	v_add_f32_e32 v2, v3, v18
	global_atomic_cmpswap_b32 v2, v[0:1], v[2:3], off glc
	s_waitcnt vmcnt(0)
	v_cmp_eq_u32_e32 vcc_lo, v2, v3
	v_mov_b32_e32 v3, v2
	s_or_b32 s31, vcc_lo, s31
	s_delay_alu instid0(SALU_CYCLE_1)
	s_and_not1_b32 exec_lo, exec_lo, s31
	s_cbranch_execnz .LBB146_20
; %bb.21:                               ;   in Loop: Header=BB146_16 Depth=1
	s_or_b32 exec_lo, exec_lo, s31
.LBB146_22:                             ;   in Loop: Header=BB146_16 Depth=1
	s_delay_alu instid0(SALU_CYCLE_1)
	s_or_b32 exec_lo, exec_lo, s30
	v_fmac_f32_e32 v26, v5, v35
	v_fmac_f32_e32 v27, v5, v32
	s_add_u32 s22, s22, 0x80
	s_addc_u32 s23, s23, 0
	s_add_i32 s20, s20, 1
	v_fmac_f32_e32 v26, v31, v46
	v_dual_fmac_f32 v28, v5, v34 :: v_dual_fmac_f32 v27, v31, v47
	v_fmac_f32_e32 v29, v5, v33
	s_cmp_eq_u32 s20, s25
	s_delay_alu instid0(VALU_DEP_2) | instskip(NEXT) | instid1(VALU_DEP_2)
	v_fmac_f32_e32 v28, v31, v44
	v_fmac_f32_e32 v29, v31, v45
	s_cbranch_scc1 .LBB146_25
; %bb.23:                               ;   in Loop: Header=BB146_16 Depth=1
	v_dual_mov_b32 v5, v36 :: v_dual_mov_b32 v34, v42
	v_dual_mov_b32 v32, v40 :: v_dual_mov_b32 v33, v41
	v_mov_b32_e32 v35, v43
	s_branch .LBB146_16
.LBB146_24:
	v_dual_mov_b32 v8, s12 :: v_dual_mov_b32 v9, s13
	v_dual_mov_b32 v28, 0 :: v_dual_mov_b32 v29, 0
	s_waitcnt vmcnt(0)
	v_dual_mov_b32 v27, 0 :: v_dual_mov_b32 v36, v5
	v_mov_b32_e32 v31, 0
.LBB146_25:
	s_and_b32 vcc_lo, exec_lo, s24
	s_cbranch_vccz .LBB146_34
; %bb.26:
	s_load_b32 s0, s[0:1], 0x78
	s_lshl_b64 s[4:5], s[8:9], 2
	v_dual_mov_b32 v5, 0 :: v_dual_mov_b32 v2, 0
	v_dual_mov_b32 v3, 0 :: v_dual_mov_b32 v0, 0
	v_mov_b32_e32 v1, 0
	s_add_u32 s1, s26, s4
	s_addc_u32 s4, s27, s5
	s_mov_b32 s5, exec_lo
	s_waitcnt lgkmcnt(0)
	v_cmpx_gt_i32_e64 s0, v4
	s_cbranch_execz .LBB146_28
; %bb.27:
	v_lshlrev_b64 v[0:1], 2, v[6:7]
	v_mad_u64_u32 v[2:3], null, v4, s18, 0
	s_lshl_b64 s[8:9], s[16:17], 2
	s_lshl_b64 s[10:11], s[16:17], 3
	s_delay_alu instid0(VALU_DEP_2) | instskip(NEXT) | instid1(VALU_DEP_3)
	v_add_co_u32 v0, vcc_lo, s22, v0
	v_add_co_ci_u32_e32 v1, vcc_lo, s23, v1, vcc_lo
	s_delay_alu instid0(VALU_DEP_3) | instskip(NEXT) | instid1(VALU_DEP_2)
	v_mad_u64_u32 v[12:13], null, v4, s19, v[3:4]
	v_mad_u64_u32 v[10:11], null, s16, 12, v[0:1]
	s_delay_alu instid0(VALU_DEP_2) | instskip(NEXT) | instid1(VALU_DEP_2)
	v_mov_b32_e32 v3, v12
	v_mad_u64_u32 v[12:13], null, s17, 12, v[11:12]
	v_add_co_u32 v13, vcc_lo, v0, s8
	s_delay_alu instid0(VALU_DEP_3) | instskip(SKIP_3) | instid1(VALU_DEP_4)
	v_lshlrev_b64 v[2:3], 2, v[2:3]
	v_add_co_ci_u32_e32 v14, vcc_lo, s9, v1, vcc_lo
	v_add_co_u32 v15, vcc_lo, v0, s10
	v_add_co_ci_u32_e32 v16, vcc_lo, s11, v1, vcc_lo
	v_add_co_u32 v17, vcc_lo, s1, v2
	v_mov_b32_e32 v11, v12
	v_add_co_ci_u32_e32 v18, vcc_lo, s4, v3, vcc_lo
	s_clause 0x3
	global_load_b32 v3, v[0:1], off offset:128
	global_load_b32 v2, v[13:14], off offset:128
	;; [unrolled: 1-line block ×4, first 2 shown]
	global_load_b32 v36, v[17:18], off
.LBB146_28:
	s_or_b32 exec_lo, exec_lo, s5
	v_dual_mov_b32 v10, 0 :: v_dual_mov_b32 v11, 0
	v_mov_b32_e32 v12, 0
	s_mov_b32 s5, exec_lo
	v_cmpx_gt_i32_e64 s0, v30
	s_cbranch_execz .LBB146_30
; %bb.29:
	v_lshlrev_b64 v[5:6], 2, v[6:7]
	v_mad_u64_u32 v[10:11], null, v30, s18, 0
	s_lshl_b64 s[8:9], s[16:17], 2
	s_lshl_b64 s[10:11], s[16:17], 3
	s_delay_alu instid0(VALU_DEP_2) | instskip(NEXT) | instid1(VALU_DEP_3)
	v_add_co_u32 v5, vcc_lo, s22, v5
	v_add_co_ci_u32_e32 v6, vcc_lo, s23, v6, vcc_lo
	s_delay_alu instid0(VALU_DEP_3) | instskip(NEXT) | instid1(VALU_DEP_3)
	v_mov_b32_e32 v7, v11
	v_add_co_u32 v12, vcc_lo, 0x80, v5
	s_delay_alu instid0(VALU_DEP_3) | instskip(NEXT) | instid1(VALU_DEP_3)
	v_add_co_ci_u32_e32 v13, vcc_lo, 0, v6, vcc_lo
	v_mad_u64_u32 v[16:17], null, v30, s19, v[7:8]
	s_delay_alu instid0(VALU_DEP_2) | instskip(NEXT) | instid1(VALU_DEP_2)
	v_mad_u64_u32 v[14:15], null, s16, 12, v[12:13]
	v_mov_b32_e32 v11, v16
	s_delay_alu instid0(VALU_DEP_2) | instskip(NEXT) | instid1(VALU_DEP_2)
	v_mov_b32_e32 v7, v15
	v_lshlrev_b64 v[10:11], 2, v[10:11]
	s_delay_alu instid0(VALU_DEP_2)
	v_mad_u64_u32 v[15:16], null, s17, 12, v[7:8]
	v_add_co_u32 v16, vcc_lo, v12, s8
	v_add_co_ci_u32_e32 v17, vcc_lo, s9, v13, vcc_lo
	v_add_co_u32 v12, vcc_lo, v12, s10
	v_add_co_ci_u32_e32 v13, vcc_lo, s11, v13, vcc_lo
	;; [unrolled: 2-line block ×3, first 2 shown]
	s_clause 0x3
	global_load_b32 v5, v[5:6], off offset:192
	global_load_b32 v10, v[16:17], off offset:64
	;; [unrolled: 1-line block ×4, first 2 shown]
	global_load_b32 v31, v[18:19], off
.LBB146_30:
	s_or_b32 exec_lo, exec_lo, s5
	s_waitcnt vmcnt(0)
	v_dual_fmac_f32 v27, v36, v3 :: v_dual_lshlrev_b32 v6, 2, v24
	v_cmp_gt_i32_e32 vcc_lo, s0, v22
	v_fmac_f32_e32 v28, v36, v1
	ds_load_b128 v[13:16], v6 offset:3072
	s_waitcnt lgkmcnt(0)
	s_and_b32 s1, s2, vcc_lo
	s_barrier
	buffer_gl0_inv
	v_fma_f32 v6, v5, v13, 0
	v_fma_f32 v7, v3, v13, 0
	s_delay_alu instid0(VALU_DEP_1) | instskip(NEXT) | instid1(VALU_DEP_1)
	v_fmac_f32_e32 v7, v2, v14
	v_dual_fmac_f32 v6, v10, v14 :: v_dual_fmac_f32 v7, v1, v15
	s_delay_alu instid0(VALU_DEP_1) | instskip(SKIP_2) | instid1(VALU_DEP_4)
	v_dual_fmac_f32 v29, v36, v2 :: v_dual_fmac_f32 v6, v11, v15
	v_lshl_or_b32 v2, v23, 7, v25
	v_fmac_f32_e32 v26, v36, v0
	v_fmac_f32_e32 v7, v0, v16
	s_delay_alu instid0(VALU_DEP_3)
	v_dual_fmac_f32 v6, v12, v16 :: v_dual_add_nc_u32 v1, 0x800, v2
	ds_store_2addr_b32 v1, v7, v6 offset1:16
	s_waitcnt lgkmcnt(0)
	s_barrier
	buffer_gl0_inv
	s_and_saveexec_b32 s0, s1
	s_cbranch_execz .LBB146_33
; %bb.31:
	v_mad_u64_u32 v[0:1], null, v22, s6, 0
	s_lshl_b64 s[4:5], s[6:7], 7
	s_mov_b32 s1, 0
	s_delay_alu instid0(VALU_DEP_1) | instskip(NEXT) | instid1(VALU_DEP_1)
	v_mad_u64_u32 v[2:3], null, v22, s7, v[1:2]
	v_mov_b32_e32 v1, v2
	v_add_co_u32 v2, vcc_lo, v8, s4
	v_add_co_ci_u32_e32 v3, vcc_lo, s5, v9, vcc_lo
	s_delay_alu instid0(VALU_DEP_3) | instskip(NEXT) | instid1(VALU_DEP_1)
	v_lshlrev_b64 v[0:1], 2, v[0:1]
	v_add_co_u32 v0, vcc_lo, v2, v0
	v_lshlrev_b32_e32 v2, 2, v22
	s_delay_alu instid0(VALU_DEP_3) | instskip(NEXT) | instid1(VALU_DEP_2)
	v_add_co_ci_u32_e32 v1, vcc_lo, v3, v1, vcc_lo
	v_add_nc_u32_e32 v2, 0x800, v2
	global_load_b32 v3, v[0:1], off
	ds_load_2addr_b32 v[6:7], v2 offset1:32
	ds_load_2addr_b32 v[8:9], v2 offset0:64 offset1:96
	ds_load_2addr_b32 v[13:14], v2 offset0:128 offset1:160
	s_waitcnt lgkmcnt(2)
	v_add_f32_e32 v6, 0, v6
	s_delay_alu instid0(VALU_DEP_1) | instskip(SKIP_1) | instid1(VALU_DEP_1)
	v_add_f32_e32 v6, v6, v7
	s_waitcnt lgkmcnt(1)
	v_add_f32_e32 v8, v6, v8
	ds_load_2addr_b32 v[6:7], v2 offset0:192 offset1:224
	v_add_f32_e32 v2, v8, v9
	s_waitcnt lgkmcnt(1)
	s_delay_alu instid0(VALU_DEP_1) | instskip(NEXT) | instid1(VALU_DEP_1)
	v_add_f32_e32 v2, v2, v13
	v_add_f32_e32 v2, v2, v14
	s_waitcnt lgkmcnt(0)
	s_delay_alu instid0(VALU_DEP_1) | instskip(NEXT) | instid1(VALU_DEP_1)
	v_add_f32_e32 v2, v2, v6
	v_add_f32_e32 v2, v2, v7
	s_delay_alu instid0(VALU_DEP_1)
	v_mul_f32_e32 v6, s15, v2
.LBB146_32:                             ; =>This Inner Loop Header: Depth=1
	s_waitcnt vmcnt(0)
	s_delay_alu instid0(VALU_DEP_1)
	v_add_f32_e32 v2, v3, v6
	global_atomic_cmpswap_b32 v2, v[0:1], v[2:3], off glc
	s_waitcnt vmcnt(0)
	v_cmp_eq_u32_e32 vcc_lo, v2, v3
	v_mov_b32_e32 v3, v2
	s_or_b32 s1, vcc_lo, s1
	s_delay_alu instid0(SALU_CYCLE_1)
	s_and_not1_b32 exec_lo, exec_lo, s1
	s_cbranch_execnz .LBB146_32
.LBB146_33:
	s_or_b32 exec_lo, exec_lo, s0
	v_fmac_f32_e32 v27, v31, v5
	v_fmac_f32_e32 v29, v31, v10
	;; [unrolled: 1-line block ×4, first 2 shown]
.LBB146_34:
	v_lshl_or_b32 v0, v23, 8, v25
	ds_store_2addr_b32 v0, v27, v29 offset1:16
	ds_store_2addr_b32 v0, v28, v26 offset0:32 offset1:48
	s_waitcnt lgkmcnt(0)
	s_barrier
	buffer_gl0_inv
	s_and_saveexec_b32 s0, s2
	s_cbranch_execz .LBB146_37
; %bb.35:
	v_mad_u64_u32 v[0:1], null, v22, s6, 0
	v_add_nc_u32_e32 v7, 3, v22
	v_add_nc_u32_e32 v9, 4, v22
	;; [unrolled: 1-line block ×5, first 2 shown]
	s_mov_b32 s0, 0
	v_mad_u64_u32 v[2:3], null, v22, s7, v[1:2]
	s_delay_alu instid0(VALU_DEP_1) | instskip(NEXT) | instid1(VALU_DEP_1)
	v_dual_mov_b32 v1, v2 :: v_dual_lshlrev_b32 v2, 4, v22
	v_lshlrev_b64 v[0:1], 2, v[0:1]
	s_delay_alu instid0(VALU_DEP_2)
	v_or_b32_e32 v4, v4, v2
	v_and_or_b32 v7, v7, 15, v2
	v_and_or_b32 v9, v9, 15, v2
	;; [unrolled: 1-line block ×4, first 2 shown]
	v_add_co_u32 v0, vcc_lo, s3, v0
	v_add_co_ci_u32_e32 v1, vcc_lo, s14, v1, vcc_lo
	v_lshlrev_b32_e32 v8, 2, v4
	v_and_or_b32 v12, v12, 15, v2
	v_lshlrev_b32_e32 v7, 2, v7
	global_load_b32 v3, v[0:1], off
	v_lshlrev_b32_e32 v9, 2, v9
	ds_load_b32 v8, v8
	v_add_nc_u32_e32 v5, 1, v22
	v_lshlrev_b32_e32 v10, 2, v10
	v_lshlrev_b32_e32 v11, 2, v11
	;; [unrolled: 1-line block ×3, first 2 shown]
	v_xor_b32_e32 v4, 8, v4
	v_and_or_b32 v5, v5, 15, v2
	s_delay_alu instid0(VALU_DEP_2) | instskip(NEXT) | instid1(VALU_DEP_2)
	v_lshlrev_b32_e32 v4, 2, v4
	v_lshlrev_b32_e32 v5, 2, v5
	ds_load_b32 v5, v5
	v_add_nc_u32_e32 v6, 2, v22
	s_delay_alu instid0(VALU_DEP_1) | instskip(NEXT) | instid1(VALU_DEP_1)
	v_and_or_b32 v6, v6, 15, v2
	v_lshlrev_b32_e32 v6, 2, v6
	ds_load_b32 v6, v6
	ds_load_b32 v7, v7
	;; [unrolled: 1-line block ×6, first 2 shown]
	s_waitcnt lgkmcnt(7)
	v_add_f32_e32 v8, 0, v8
	ds_load_b32 v4, v4
	s_waitcnt lgkmcnt(7)
	v_dual_add_f32 v5, v8, v5 :: v_dual_add_nc_u32 v8, 11, v22
	s_delay_alu instid0(VALU_DEP_1) | instskip(SKIP_1) | instid1(VALU_DEP_1)
	v_and_or_b32 v8, v8, 15, v2
	s_waitcnt lgkmcnt(6)
	v_dual_add_f32 v5, v5, v6 :: v_dual_lshlrev_b32 v8, 2, v8
	s_waitcnt lgkmcnt(5)
	s_delay_alu instid0(VALU_DEP_1) | instskip(SKIP_1) | instid1(VALU_DEP_2)
	v_dual_add_f32 v5, v5, v7 :: v_dual_add_nc_u32 v6, 9, v22
	v_add_nc_u32_e32 v7, 10, v22
	v_and_or_b32 v6, v6, 15, v2
	s_waitcnt lgkmcnt(4)
	s_delay_alu instid0(VALU_DEP_3) | instskip(NEXT) | instid1(VALU_DEP_3)
	v_add_f32_e32 v5, v5, v9
	v_and_or_b32 v7, v7, 15, v2
	s_delay_alu instid0(VALU_DEP_3)
	v_lshlrev_b32_e32 v6, 2, v6
	v_add_nc_u32_e32 v9, 12, v22
	s_waitcnt lgkmcnt(3)
	v_add_f32_e32 v5, v5, v10
	v_lshlrev_b32_e32 v7, 2, v7
	ds_load_b32 v6, v6
	v_add_nc_u32_e32 v10, 13, v22
	v_and_or_b32 v9, v9, 15, v2
	s_waitcnt lgkmcnt(3)
	v_add_f32_e32 v5, v5, v11
	ds_load_b32 v7, v7
	v_add_nc_u32_e32 v11, 14, v22
	v_and_or_b32 v10, v10, 15, v2
	v_lshlrev_b32_e32 v9, 2, v9
	s_waitcnt lgkmcnt(3)
	v_dual_add_f32 v5, v5, v12 :: v_dual_add_nc_u32 v12, -1, v22
	v_and_or_b32 v11, v11, 15, v2
	v_lshlrev_b32_e32 v10, 2, v10
	s_waitcnt lgkmcnt(2)
	s_delay_alu instid0(VALU_DEP_3) | instskip(SKIP_2) | instid1(VALU_DEP_2)
	v_add_f32_e32 v4, v5, v4
	v_and_or_b32 v2, v12, 15, v2
	v_lshlrev_b32_e32 v11, 2, v11
	v_lshlrev_b32_e32 v2, 2, v2
	ds_load_b32 v8, v8
	ds_load_b32 v9, v9
	;; [unrolled: 1-line block ×5, first 2 shown]
	s_waitcnt lgkmcnt(6)
	v_add_f32_e32 v4, v4, v6
	s_waitcnt lgkmcnt(5)
	s_delay_alu instid0(VALU_DEP_1) | instskip(SKIP_1) | instid1(VALU_DEP_1)
	v_add_f32_e32 v4, v4, v7
	s_waitcnt lgkmcnt(4)
	v_add_f32_e32 v4, v4, v8
	s_waitcnt lgkmcnt(3)
	s_delay_alu instid0(VALU_DEP_1) | instskip(SKIP_1) | instid1(VALU_DEP_1)
	v_add_f32_e32 v4, v4, v9
	;; [unrolled: 5-line block ×3, first 2 shown]
	s_waitcnt lgkmcnt(0)
	v_add_f32_e32 v2, v4, v2
	s_delay_alu instid0(VALU_DEP_1)
	v_mul_f32_e32 v4, s15, v2
.LBB146_36:                             ; =>This Inner Loop Header: Depth=1
	s_waitcnt vmcnt(0)
	s_delay_alu instid0(VALU_DEP_1)
	v_add_f32_e32 v2, v3, v4
	global_atomic_cmpswap_b32 v2, v[0:1], v[2:3], off glc
	s_waitcnt vmcnt(0)
	v_cmp_eq_u32_e32 vcc_lo, v2, v3
	v_mov_b32_e32 v3, v2
	s_or_b32 s0, vcc_lo, s0
	s_delay_alu instid0(SALU_CYCLE_1)
	s_and_not1_b32 exec_lo, exec_lo, s0
	s_cbranch_execnz .LBB146_36
.LBB146_37:
	s_endpgm
	.section	.rodata,"a",@progbits
	.p2align	6, 0x0
	.amdhsa_kernel _ZL62rocblas_symv_kernel_lower_double_buffered_non_diagonal_genericILi32ELi4ELi4E24rocblas_internal_val_ptrIfEPKPKfPKPfEvbiT2_lT3_lllSA_lllT4_lllii
		.amdhsa_group_segment_fixed_size 3200
		.amdhsa_private_segment_fixed_size 0
		.amdhsa_kernarg_size 384
		.amdhsa_user_sgpr_count 13
		.amdhsa_user_sgpr_dispatch_ptr 0
		.amdhsa_user_sgpr_queue_ptr 0
		.amdhsa_user_sgpr_kernarg_segment_ptr 1
		.amdhsa_user_sgpr_dispatch_id 0
		.amdhsa_user_sgpr_private_segment_size 0
		.amdhsa_wavefront_size32 1
		.amdhsa_uses_dynamic_stack 0
		.amdhsa_enable_private_segment 0
		.amdhsa_system_sgpr_workgroup_id_x 1
		.amdhsa_system_sgpr_workgroup_id_y 1
		.amdhsa_system_sgpr_workgroup_id_z 1
		.amdhsa_system_sgpr_workgroup_info 0
		.amdhsa_system_vgpr_workitem_id 1
		.amdhsa_next_free_vgpr 52
		.amdhsa_next_free_sgpr 32
		.amdhsa_reserve_vcc 1
		.amdhsa_float_round_mode_32 0
		.amdhsa_float_round_mode_16_64 0
		.amdhsa_float_denorm_mode_32 3
		.amdhsa_float_denorm_mode_16_64 3
		.amdhsa_dx10_clamp 1
		.amdhsa_ieee_mode 1
		.amdhsa_fp16_overflow 0
		.amdhsa_workgroup_processor_mode 1
		.amdhsa_memory_ordered 1
		.amdhsa_forward_progress 0
		.amdhsa_shared_vgpr_count 0
		.amdhsa_exception_fp_ieee_invalid_op 0
		.amdhsa_exception_fp_denorm_src 0
		.amdhsa_exception_fp_ieee_div_zero 0
		.amdhsa_exception_fp_ieee_overflow 0
		.amdhsa_exception_fp_ieee_underflow 0
		.amdhsa_exception_fp_ieee_inexact 0
		.amdhsa_exception_int_div_zero 0
	.end_amdhsa_kernel
	.section	.text._ZL62rocblas_symv_kernel_lower_double_buffered_non_diagonal_genericILi32ELi4ELi4E24rocblas_internal_val_ptrIfEPKPKfPKPfEvbiT2_lT3_lllSA_lllT4_lllii,"axG",@progbits,_ZL62rocblas_symv_kernel_lower_double_buffered_non_diagonal_genericILi32ELi4ELi4E24rocblas_internal_val_ptrIfEPKPKfPKPfEvbiT2_lT3_lllSA_lllT4_lllii,comdat
.Lfunc_end146:
	.size	_ZL62rocblas_symv_kernel_lower_double_buffered_non_diagonal_genericILi32ELi4ELi4E24rocblas_internal_val_ptrIfEPKPKfPKPfEvbiT2_lT3_lllSA_lllT4_lllii, .Lfunc_end146-_ZL62rocblas_symv_kernel_lower_double_buffered_non_diagonal_genericILi32ELi4ELi4E24rocblas_internal_val_ptrIfEPKPKfPKPfEvbiT2_lT3_lllSA_lllT4_lllii
                                        ; -- End function
	.section	.AMDGPU.csdata,"",@progbits
; Kernel info:
; codeLenInByte = 3628
; NumSgprs: 34
; NumVgprs: 52
; ScratchSize: 0
; MemoryBound: 0
; FloatMode: 240
; IeeeMode: 1
; LDSByteSize: 3200 bytes/workgroup (compile time only)
; SGPRBlocks: 4
; VGPRBlocks: 6
; NumSGPRsForWavesPerEU: 34
; NumVGPRsForWavesPerEU: 52
; Occupancy: 16
; WaveLimiterHint : 1
; COMPUTE_PGM_RSRC2:SCRATCH_EN: 0
; COMPUTE_PGM_RSRC2:USER_SGPR: 13
; COMPUTE_PGM_RSRC2:TRAP_HANDLER: 0
; COMPUTE_PGM_RSRC2:TGID_X_EN: 1
; COMPUTE_PGM_RSRC2:TGID_Y_EN: 1
; COMPUTE_PGM_RSRC2:TGID_Z_EN: 1
; COMPUTE_PGM_RSRC2:TIDIG_COMP_CNT: 1
	.section	.text._ZL26rocblas_hemvn_kernel_lowerILb0ELi64ELi4ELi33ELi32ELi16ElPKfPKS1_PfEviT6_lT7_lT5_lS6_lS7_lS5_lT8_i,"axG",@progbits,_ZL26rocblas_hemvn_kernel_lowerILb0ELi64ELi4ELi33ELi32ELi16ElPKfPKS1_PfEviT6_lT7_lT5_lS6_lS7_lS5_lT8_i,comdat
	.globl	_ZL26rocblas_hemvn_kernel_lowerILb0ELi64ELi4ELi33ELi32ELi16ElPKfPKS1_PfEviT6_lT7_lT5_lS6_lS7_lS5_lT8_i ; -- Begin function _ZL26rocblas_hemvn_kernel_lowerILb0ELi64ELi4ELi33ELi32ELi16ElPKfPKS1_PfEviT6_lT7_lT5_lS6_lS7_lS5_lT8_i
	.p2align	8
	.type	_ZL26rocblas_hemvn_kernel_lowerILb0ELi64ELi4ELi33ELi32ELi16ElPKfPKS1_PfEviT6_lT7_lT5_lS6_lS7_lS5_lT8_i,@function
_ZL26rocblas_hemvn_kernel_lowerILb0ELi64ELi4ELi33ELi32ELi16ElPKfPKS1_PfEviT6_lT7_lT5_lS6_lS7_lS5_lT8_i: ; @_ZL26rocblas_hemvn_kernel_lowerILb0ELi64ELi4ELi33ELi32ELi16ElPKfPKS1_PfEviT6_lT7_lT5_lS6_lS7_lS5_lT8_i
; %bb.0:
	s_load_b64 s[2:3], s[0:1], 0x84
	s_add_u32 s20, s0, 0x78
	s_addc_u32 s21, s1, 0
	s_waitcnt lgkmcnt(0)
	s_lshr_b32 s4, s2, 16
	s_and_b32 s2, s2, 0xffff
	s_and_b32 s3, s3, 0xffff
	s_mul_i32 s2, s4, s2
	s_delay_alu instid0(SALU_CYCLE_1) | instskip(NEXT) | instid1(SALU_CYCLE_1)
	s_mul_i32 s2, s2, s3
	s_cmpk_lg_i32 s2, 0x100
	s_cbranch_scc1 .LBB147_80
; %bb.1:
	s_clause 0x1
	s_load_b256 s[4:11], s[0:1], 0x8
	s_load_b128 s[24:27], s[0:1], 0x58
	s_mov_b32 s16, s15
	s_mov_b32 s17, 0
	s_waitcnt lgkmcnt(0)
	s_mul_i32 s3, s15, s7
	s_mul_hi_u32 s7, s15, s6
	s_mul_i32 s2, s15, s6
	s_add_i32 s3, s7, s3
	s_mul_i32 s6, s15, s27
	s_lshl_b64 s[2:3], s[2:3], 2
	s_mul_hi_u32 s7, s15, s26
	s_add_u32 s2, s4, s2
	s_addc_u32 s3, s5, s3
	s_add_i32 s5, s7, s6
	s_mul_i32 s4, s15, s26
	s_delay_alu instid0(SALU_CYCLE_1) | instskip(NEXT) | instid1(SALU_CYCLE_1)
	s_lshl_b64 s[4:5], s[4:5], 2
	s_add_u32 s4, s24, s4
	s_addc_u32 s5, s25, s5
	s_load_b32 s2, s[2:3], 0x0
	s_load_b32 s4, s[4:5], 0x0
	s_waitcnt lgkmcnt(0)
	v_cmp_eq_f32_e64 s3, s2, 0
	v_cmp_eq_f32_e64 s4, s4, 1.0
	s_delay_alu instid0(VALU_DEP_1) | instskip(NEXT) | instid1(SALU_CYCLE_1)
	s_and_b32 s4, s3, s4
	s_and_b32 vcc_lo, exec_lo, s4
	s_cbranch_vccnz .LBB147_80
; %bb.2:
	s_load_b64 s[12:13], s[0:1], 0x28
	v_cmp_neq_f32_e64 s15, s2, 0
	s_mov_b64 s[24:25], 0
	s_and_b32 vcc_lo, exec_lo, s3
	s_mov_b64 s[2:3], 0
	s_cbranch_vccnz .LBB147_4
; %bb.3:
	s_lshl_b64 s[2:3], s[16:17], 3
	s_delay_alu instid0(SALU_CYCLE_1)
	s_add_u32 s2, s8, s2
	s_addc_u32 s3, s9, s3
	s_lshl_b64 s[4:5], s[10:11], 2
	s_load_b64 s[2:3], s[2:3], 0x0
	s_waitcnt lgkmcnt(0)
	s_add_u32 s2, s2, s4
	s_addc_u32 s3, s3, s5
.LBB147_4:
	s_clause 0x1
	s_load_b128 s[4:7], s[0:1], 0x38
	s_load_b64 s[8:9], s[0:1], 0x48
	v_cndmask_b32_e64 v1, 0, 1, s15
	s_and_not1_b32 vcc_lo, exec_lo, s15
	s_cbranch_vccnz .LBB147_6
; %bb.5:
	s_lshl_b64 s[10:11], s[16:17], 3
	s_waitcnt lgkmcnt(0)
	s_add_u32 s4, s4, s10
	s_addc_u32 s5, s5, s11
	s_lshl_b64 s[6:7], s[6:7], 2
	s_load_b64 s[4:5], s[4:5], 0x0
	s_waitcnt lgkmcnt(0)
	s_add_u32 s24, s4, s6
	s_addc_u32 s25, s5, s7
.LBB147_6:
	s_delay_alu instid0(VALU_DEP_1)
	v_cmp_ne_u32_e32 vcc_lo, 1, v1
	s_cbranch_vccnz .LBB147_80
; %bb.7:
	v_and_b32_e32 v18, 0x3ff, v0
	s_lshl_b32 s18, s14, 6
	s_clause 0x1
	s_load_b32 s15, s[0:1], 0x0
	s_load_b64 s[22:23], s[0:1], 0x68
	s_load_b32 s17, s[20:21], 0x0
	v_add_nc_u32_e32 v4, s18, v18
	v_bfe_u32 v16, v0, 10, 10
	s_delay_alu instid0(VALU_DEP_2) | instskip(SKIP_3) | instid1(VALU_DEP_3)
	v_ashrrev_i32_e32 v5, 31, v4
	s_waitcnt lgkmcnt(0)
	v_mul_lo_u32 v3, v4, s9
	v_mad_u64_u32 v[1:2], null, v4, s8, 0
	v_mul_lo_u32 v6, v5, s8
	s_ashr_i32 s30, s15, 31
	s_delay_alu instid0(VALU_DEP_1)
	v_add3_u32 v2, v2, v3, v6
	s_lshr_b32 s0, s30, 26
	s_add_i32 s4, s17, -1
	s_add_i32 s1, s15, s0
	v_cmp_ne_u32_e64 s0, 0, v16
	v_lshlrev_b64 v[0:1], 2, v[1:2]
	s_and_not1_b32 s1, s1, 63
	s_delay_alu instid0(SALU_CYCLE_1) | instskip(SKIP_2) | instid1(VALU_DEP_2)
	s_sub_i32 s5, s15, s1
	v_cmp_eq_u32_e64 s1, 0, v16
	s_cmp_eq_u32 s14, s4
	v_add_co_u32 v6, vcc_lo, s24, v0
	v_add_co_ci_u32_e32 v7, vcc_lo, s25, v1, vcc_lo
	s_cselect_b32 s20, s5, 0
	s_and_saveexec_b32 s4, s1
	s_cbranch_execz .LBB147_11
; %bb.8:
	v_cmp_gt_i32_e32 vcc_lo, s20, v18
	s_cmp_eq_u32 s20, 0
	v_mov_b32_e32 v0, 0
	s_cselect_b32 s5, -1, 0
	s_delay_alu instid0(SALU_CYCLE_1) | instskip(NEXT) | instid1(SALU_CYCLE_1)
	s_or_b32 s6, s5, vcc_lo
	s_and_saveexec_b32 s5, s6
	s_cbranch_execz .LBB147_10
; %bb.9:
	flat_load_b32 v0, v[6:7]
.LBB147_10:
	s_or_b32 exec_lo, exec_lo, s5
	v_lshlrev_b32_e32 v1, 2, v18
	s_waitcnt vmcnt(0) lgkmcnt(0)
	ds_store_b32 v1, v0 offset:4544
.LBB147_11:
	s_or_b32 exec_lo, exec_lo, s4
	v_lshl_add_u32 v19, v16, 6, v18
	v_dual_mov_b32 v1, 0 :: v_dual_and_b32 v0, 31, v18
	s_ashr_i32 s19, s18, 31
	s_mul_i32 s6, s18, s13
	s_delay_alu instid0(VALU_DEP_2)
	v_lshrrev_b32_e32 v3, 5, v19
	s_lshl_b64 s[4:5], s[18:19], 2
	s_mul_hi_u32 s7, s18, s12
	s_add_u32 s4, s2, s4
	s_mul_i32 s10, s19, s12
	v_mad_u64_u32 v[8:9], null, v3, s12, v[0:1]
	s_addc_u32 s5, s3, s5
	s_add_i32 s3, s7, s6
	s_mul_i32 s2, s18, s12
	s_add_i32 s3, s3, s10
	s_delay_alu instid0(SALU_CYCLE_1) | instskip(NEXT) | instid1(VALU_DEP_1)
	s_lshl_b64 s[24:25], s[2:3], 2
	v_mov_b32_e32 v1, v9
	s_add_u32 s2, s24, s4
	s_addc_u32 s3, s25, s5
	s_cmp_lg_u32 s20, 0
	s_cselect_b32 s31, -1, 0
	v_mad_u64_u32 v[9:10], null, v3, s13, v[1:2]
	s_cmp_eq_u32 s20, 0
	s_cselect_b32 s7, -1, 0
	s_delay_alu instid0(VALU_DEP_1) | instskip(NEXT) | instid1(VALU_DEP_1)
	v_lshlrev_b64 v[8:9], 2, v[8:9]
	v_add_co_u32 v1, vcc_lo, s2, v8
	s_delay_alu instid0(VALU_DEP_2)
	v_add_co_ci_u32_e32 v2, vcc_lo, s3, v9, vcc_lo
	s_and_b32 vcc_lo, exec_lo, s31
	s_mov_b32 s2, 0
	s_cbranch_vccnz .LBB147_13
; %bb.12:
	flat_load_b32 v12, v[1:2]
	v_mul_u32_u24_e32 v10, 33, v3
	s_lshl_b64 s[4:5], s[12:13], 5
	s_delay_alu instid0(VALU_DEP_1)
	v_add_lshl_u32 v14, v10, v0, 2
	v_add_co_u32 v10, vcc_lo, v1, s4
	v_add_co_ci_u32_e32 v11, vcc_lo, s5, v2, vcc_lo
	s_waitcnt vmcnt(0) lgkmcnt(0)
	ds_store_b32 v14, v12
	flat_load_b32 v12, v[10:11]
	v_add_co_u32 v10, vcc_lo, v10, s4
	v_add_co_ci_u32_e32 v11, vcc_lo, s5, v11, vcc_lo
	s_waitcnt vmcnt(0) lgkmcnt(0)
	ds_store_b32 v14, v12 offset:1056
	flat_load_b32 v15, v[10:11]
	v_mad_u64_u32 v[10:11], null, 0x60, s12, v[1:2]
	s_delay_alu instid0(VALU_DEP_1) | instskip(NEXT) | instid1(VALU_DEP_1)
	v_mad_u64_u32 v[12:13], null, 0x60, s13, v[11:12]
	v_mov_b32_e32 v11, v12
	s_waitcnt vmcnt(0) lgkmcnt(0)
	ds_store_b32 v14, v15 offset:2112
	flat_load_b32 v10, v[10:11]
	s_waitcnt vmcnt(0) lgkmcnt(0)
	ds_store_b32 v14, v10 offset:3168
	s_and_not1_b32 vcc_lo, exec_lo, s2
	s_cbranch_vccz .LBB147_14
	s_branch .LBB147_23
.LBB147_13:
.LBB147_14:
	v_lshlrev_b32_e32 v12, 2, v0
	s_ashr_i32 s21, s20, 31
	v_dual_mov_b32 v14, 0 :: v_dual_mov_b32 v15, 0
	s_lshl_b64 s[4:5], s[20:21], 2
	s_delay_alu instid0(VALU_DEP_2) | instskip(SKIP_2) | instid1(VALU_DEP_2)
	v_sub_co_u32 v10, vcc_lo, v1, v12
	v_subrev_co_ci_u32_e32 v11, vcc_lo, 0, v2, vcc_lo
	s_mov_b32 s3, exec_lo
	v_add_co_u32 v10, vcc_lo, v10, s4
	s_delay_alu instid0(VALU_DEP_2) | instskip(NEXT) | instid1(VALU_DEP_2)
	v_add_co_ci_u32_e32 v11, vcc_lo, s5, v11, vcc_lo
	v_add_co_u32 v10, vcc_lo, v10, -4
	s_delay_alu instid0(VALU_DEP_2) | instskip(SKIP_1) | instid1(VALU_DEP_2)
	v_add_co_ci_u32_e32 v11, vcc_lo, -1, v11, vcc_lo
	v_cmp_gt_i32_e32 vcc_lo, s20, v0
	v_dual_cndmask_b32 v11, v11, v2 :: v_dual_cndmask_b32 v10, v10, v1
	v_cmpx_gt_i32_e64 s20, v3
	s_cbranch_execz .LBB147_16
; %bb.15:
	flat_load_b32 v15, v[10:11]
.LBB147_16:
	s_or_b32 exec_lo, exec_lo, s3
	v_mul_u32_u24_e32 v13, 33, v3
	v_add_nc_u32_e32 v17, 8, v3
	s_mov_b32 s3, exec_lo
	s_delay_alu instid0(VALU_DEP_2)
	v_add_lshl_u32 v13, v13, v0, 2
	s_waitcnt vmcnt(0) lgkmcnt(0)
	ds_store_b32 v13, v15
	v_cmpx_gt_i32_e64 s20, v17
	s_cbranch_execz .LBB147_18
; %bb.17:
	s_lshl_b64 s[10:11], s[12:13], 5
	s_delay_alu instid0(SALU_CYCLE_1) | instskip(NEXT) | instid1(VALU_DEP_1)
	v_add_co_u32 v14, s2, v10, s10
	v_add_co_ci_u32_e64 v15, s2, s11, v11, s2
	flat_load_b32 v14, v[14:15]
.LBB147_18:
	s_or_b32 exec_lo, exec_lo, s3
	v_add_nc_u32_e32 v17, 16, v3
	v_mov_b32_e32 v15, 0
	s_waitcnt vmcnt(0) lgkmcnt(0)
	ds_store_b32 v13, v14 offset:1056
	v_cmp_gt_i32_e64 s2, s20, v17
	v_mov_b32_e32 v17, 0
	s_delay_alu instid0(VALU_DEP_2)
	s_and_saveexec_b32 s3, s2
	s_cbranch_execz .LBB147_20
; %bb.19:
	s_lshl_b64 s[10:11], s[12:13], 6
	s_delay_alu instid0(SALU_CYCLE_1) | instskip(NEXT) | instid1(VALU_DEP_1)
	v_add_co_u32 v20, s2, v10, s10
	v_add_co_ci_u32_e64 v21, s2, s11, v11, s2
	flat_load_b32 v17, v[20:21]
.LBB147_20:
	s_or_b32 exec_lo, exec_lo, s3
	v_add_nc_u32_e32 v14, 24, v3
	s_mov_b32 s3, exec_lo
	s_waitcnt vmcnt(0) lgkmcnt(0)
	ds_store_b32 v13, v17 offset:2112
	v_cmpx_gt_i32_e64 s20, v14
	s_cbranch_execz .LBB147_22
; %bb.21:
	v_mad_u64_u32 v[14:15], null, 0x60, s12, v[10:11]
	s_delay_alu instid0(VALU_DEP_1) | instskip(NEXT) | instid1(VALU_DEP_1)
	v_mad_u64_u32 v[20:21], null, 0x60, s13, v[15:16]
	v_mov_b32_e32 v15, v20
	flat_load_b32 v15, v[14:15]
.LBB147_22:
	s_or_b32 exec_lo, exec_lo, s3
	v_add_co_u32 v10, s2, v10, v12
	s_delay_alu instid0(VALU_DEP_1) | instskip(SKIP_3) | instid1(VALU_DEP_1)
	v_add_co_ci_u32_e64 v11, s2, 0, v11, s2
	s_waitcnt vmcnt(0) lgkmcnt(0)
	ds_store_b32 v13, v15 offset:3168
	v_sub_co_u32 v10, s2, v10, s4
	v_subrev_co_ci_u32_e64 v11, s2, s5, v11, s2
	s_delay_alu instid0(VALU_DEP_2) | instskip(NEXT) | instid1(VALU_DEP_1)
	v_add_co_u32 v10, s2, v10, 4
	v_add_co_ci_u32_e64 v11, s2, 0, v11, s2
	s_delay_alu instid0(VALU_DEP_1)
	v_dual_cndmask_b32 v1, v10, v1 :: v_dual_cndmask_b32 v2, v11, v2
.LBB147_23:
	v_lshlrev_b32_e32 v12, 2, v3
	v_mul_u32_u24_e32 v20, 33, v0
	v_mul_u32_u24_e32 v11, 0x84, v3
	s_waitcnt lgkmcnt(0)
	s_barrier
	v_cmp_lt_u32_e64 s3, v12, v0
	v_add_lshl_u32 v14, v12, v20, 2
	buffer_gl0_inv
	s_and_saveexec_b32 s2, s3
	s_cbranch_execz .LBB147_25
; %bb.24:
	v_add_lshl_u32 v10, v11, v0, 2
	ds_load_b32 v10, v10
	s_waitcnt lgkmcnt(0)
	ds_store_b32 v14, v10
.LBB147_25:
	s_or_b32 exec_lo, exec_lo, s2
	v_or_b32_e32 v10, 1, v12
	s_delay_alu instid0(VALU_DEP_1) | instskip(NEXT) | instid1(VALU_DEP_1)
	v_cmp_lt_u32_e64 s4, v10, v0
	s_and_saveexec_b32 s2, s4
	s_cbranch_execz .LBB147_27
; %bb.26:
	v_mul_u32_u24_e32 v10, 33, v10
	s_delay_alu instid0(VALU_DEP_1)
	v_add_lshl_u32 v10, v10, v0, 2
	ds_load_b32 v10, v10
	s_waitcnt lgkmcnt(0)
	ds_store_b32 v14, v10 offset:4
.LBB147_27:
	s_or_b32 exec_lo, exec_lo, s2
	v_or_b32_e32 v10, 2, v12
	s_delay_alu instid0(VALU_DEP_1) | instskip(NEXT) | instid1(VALU_DEP_1)
	v_cmp_lt_u32_e64 s5, v10, v0
	s_and_saveexec_b32 s2, s5
	s_cbranch_execz .LBB147_29
; %bb.28:
	v_mul_u32_u24_e32 v10, 33, v10
	s_delay_alu instid0(VALU_DEP_1)
	v_add_lshl_u32 v10, v10, v0, 2
	ds_load_b32 v10, v10
	s_waitcnt lgkmcnt(0)
	ds_store_b32 v14, v10 offset:8
.LBB147_29:
	s_or_b32 exec_lo, exec_lo, s2
	v_or_b32_e32 v10, 3, v12
	s_delay_alu instid0(VALU_DEP_1) | instskip(SKIP_1) | instid1(VALU_DEP_2)
	v_mad_u32_u24 v13, v10, 33, v0
	v_cmp_lt_u32_e64 s6, v10, v0
	v_lshlrev_b32_e32 v10, 2, v13
	s_delay_alu instid0(VALU_DEP_2)
	s_and_saveexec_b32 s2, s6
	s_cbranch_execz .LBB147_31
; %bb.30:
	ds_load_b32 v13, v10
	s_waitcnt lgkmcnt(0)
	ds_store_b32 v14, v13 offset:12
.LBB147_31:
	s_or_b32 exec_lo, exec_lo, s2
	v_add_lshl_u32 v11, v11, v0, 2
	v_lshlrev_b32_e32 v13, 2, v12
	v_add_nc_u32_e32 v15, 0xfffffef8, v10
	s_waitcnt lgkmcnt(0)
	s_barrier
	buffer_gl0_inv
	ds_load_b32 v17, v11
	ds_load_b128 v[21:24], v13 offset:4544
	ds_load_2addr_b32 v[25:26], v15 offset1:33
	ds_load_b32 v27, v10
	v_cmp_gt_u32_e64 s2, 32, v19
	s_waitcnt lgkmcnt(0)
	s_barrier
	buffer_gl0_inv
	v_fma_f32 v28, v17, v21, 0
	v_add_lshl_u32 v21, v3, v20, 2
	s_delay_alu instid0(VALU_DEP_2) | instskip(NEXT) | instid1(VALU_DEP_1)
	v_fmac_f32_e32 v28, v25, v22
	v_dual_fmac_f32 v28, v26, v23 :: v_dual_mov_b32 v17, 0
	s_delay_alu instid0(VALU_DEP_1)
	v_fmac_f32_e32 v28, v27, v24
	ds_store_b32 v21, v28
	s_waitcnt lgkmcnt(0)
	s_barrier
	buffer_gl0_inv
	s_and_saveexec_b32 s10, s2
	s_cbranch_execz .LBB147_33
; %bb.32:
	v_lshlrev_b32_e32 v17, 2, v20
	ds_load_2addr_b32 v[22:23], v17 offset1:1
	ds_load_2addr_b32 v[24:25], v17 offset0:2 offset1:3
	ds_load_2addr_b32 v[26:27], v17 offset0:4 offset1:5
	;; [unrolled: 1-line block ×3, first 2 shown]
	s_waitcnt lgkmcnt(3)
	v_add_f32_e32 v17, v22, v23
	s_waitcnt lgkmcnt(2)
	s_delay_alu instid0(VALU_DEP_1) | instskip(NEXT) | instid1(VALU_DEP_1)
	v_add_f32_e32 v17, v17, v24
	v_add_f32_e32 v17, v17, v25
	s_waitcnt lgkmcnt(1)
	s_delay_alu instid0(VALU_DEP_1) | instskip(NEXT) | instid1(VALU_DEP_1)
	v_add_f32_e32 v17, v17, v26
	;; [unrolled: 4-line block ×3, first 2 shown]
	v_add_f32_e32 v17, v17, v29
.LBB147_33:
	s_or_b32 exec_lo, exec_lo, s10
	s_lshl_b64 s[10:11], s[12:13], 7
	v_cndmask_b32_e64 v22, 0, 1, s7
	v_add_co_u32 v1, vcc_lo, v1, s10
	v_add_co_ci_u32_e32 v2, vcc_lo, s11, v2, vcc_lo
	s_lshl_b64 s[26:27], s[12:13], 5
	s_delay_alu instid0(VALU_DEP_2) | instskip(NEXT) | instid1(VALU_DEP_2)
	v_add_co_u32 v23, vcc_lo, 0x80, v1
	v_add_co_ci_u32_e32 v24, vcc_lo, 0, v2, vcc_lo
	s_and_not1_b32 vcc_lo, exec_lo, s7
	s_barrier
	buffer_gl0_inv
	s_cbranch_vccnz .LBB147_35
; %bb.34:
	flat_load_b32 v27, v[1:2] offset:128
	v_mul_u32_u24_e32 v25, 33, v3
	s_delay_alu instid0(VALU_DEP_1)
	v_add_lshl_u32 v28, v25, v0, 2
	v_add_co_u32 v25, vcc_lo, v1, s26
	v_add_co_ci_u32_e32 v26, vcc_lo, s27, v2, vcc_lo
	s_waitcnt vmcnt(0) lgkmcnt(0)
	ds_store_b32 v28, v27
	flat_load_b32 v27, v[25:26] offset:128
	v_add_co_u32 v25, vcc_lo, v25, s26
	v_add_co_ci_u32_e32 v26, vcc_lo, s27, v26, vcc_lo
	s_waitcnt vmcnt(0) lgkmcnt(0)
	ds_store_b32 v28, v27 offset:1056
	flat_load_b32 v29, v[25:26] offset:128
	v_mad_u64_u32 v[25:26], null, 0x60, s12, v[1:2]
	s_delay_alu instid0(VALU_DEP_1) | instskip(NEXT) | instid1(VALU_DEP_1)
	v_mov_b32_e32 v1, v26
	v_mad_u64_u32 v[26:27], null, 0x60, s13, v[1:2]
	s_waitcnt vmcnt(0) lgkmcnt(0)
	ds_store_b32 v28, v29 offset:2112
	flat_load_b32 v1, v[25:26] offset:128
	s_waitcnt vmcnt(0) lgkmcnt(0)
	ds_store_b32 v28, v1 offset:3168
	s_cbranch_execz .LBB147_36
	s_branch .LBB147_45
.LBB147_35:
.LBB147_36:
	v_or_b32_e32 v1, 32, v0
	s_ashr_i32 s21, s20, 31
	s_mov_b32 s33, exec_lo
	s_lshl_b64 s[28:29], s[20:21], 2
	s_sub_i32 s21, s20, 32
	v_dual_mov_b32 v27, 0 :: v_dual_lshlrev_b32 v2, 2, v1
	s_delay_alu instid0(VALU_DEP_1) | instskip(SKIP_1) | instid1(VALU_DEP_2)
	v_sub_co_u32 v2, vcc_lo, v23, v2
	v_subrev_co_ci_u32_e32 v25, vcc_lo, 0, v24, vcc_lo
	v_add_co_u32 v2, vcc_lo, v2, s28
	s_delay_alu instid0(VALU_DEP_2) | instskip(NEXT) | instid1(VALU_DEP_2)
	v_add_co_ci_u32_e32 v25, vcc_lo, s29, v25, vcc_lo
	v_add_co_u32 v26, vcc_lo, v2, -4
	s_delay_alu instid0(VALU_DEP_2) | instskip(SKIP_1) | instid1(VALU_DEP_2)
	v_add_co_ci_u32_e32 v2, vcc_lo, -1, v25, vcc_lo
	v_cmp_gt_i32_e32 vcc_lo, s20, v1
	v_cndmask_b32_e32 v2, v2, v24, vcc_lo
	s_delay_alu instid0(VALU_DEP_4)
	v_dual_cndmask_b32 v1, v26, v23 :: v_dual_mov_b32 v26, 0
	v_cmpx_gt_i32_e64 s21, v3
	s_cbranch_execz .LBB147_38
; %bb.37:
	flat_load_b32 v26, v[1:2]
.LBB147_38:
	s_or_b32 exec_lo, exec_lo, s33
	v_mul_u32_u24_e32 v25, 33, v3
	v_add_nc_u32_e32 v28, 8, v3
	s_mov_b32 s33, exec_lo
	s_delay_alu instid0(VALU_DEP_2)
	v_add_lshl_u32 v25, v25, v0, 2
	s_waitcnt vmcnt(0) lgkmcnt(0)
	ds_store_b32 v25, v26
	v_cmpx_gt_i32_e64 s21, v28
	s_cbranch_execz .LBB147_40
; %bb.39:
	v_add_co_u32 v26, s7, v1, s26
	s_delay_alu instid0(VALU_DEP_1)
	v_add_co_ci_u32_e64 v27, s7, s27, v2, s7
	flat_load_b32 v27, v[26:27]
.LBB147_40:
	s_or_b32 exec_lo, exec_lo, s33
	v_add_nc_u32_e32 v28, 16, v3
	v_mov_b32_e32 v26, 0
	s_waitcnt vmcnt(0) lgkmcnt(0)
	ds_store_b32 v25, v27 offset:1056
	v_cmp_gt_i32_e64 s7, s21, v28
	v_mov_b32_e32 v28, 0
	s_delay_alu instid0(VALU_DEP_2)
	s_and_saveexec_b32 s33, s7
	s_cbranch_execz .LBB147_42
; %bb.41:
	s_lshl_b64 s[34:35], s[12:13], 6
	s_delay_alu instid0(SALU_CYCLE_1) | instskip(NEXT) | instid1(VALU_DEP_1)
	v_add_co_u32 v27, s7, v1, s34
	v_add_co_ci_u32_e64 v28, s7, s35, v2, s7
	flat_load_b32 v28, v[27:28]
.LBB147_42:
	s_or_b32 exec_lo, exec_lo, s33
	v_add_nc_u32_e32 v27, 24, v3
	s_waitcnt vmcnt(0) lgkmcnt(0)
	ds_store_b32 v25, v28 offset:2112
	v_cmp_gt_i32_e64 s7, s21, v27
	s_delay_alu instid0(VALU_DEP_1)
	s_and_saveexec_b32 s21, s7
	s_cbranch_execz .LBB147_44
; %bb.43:
	v_mad_u64_u32 v[26:27], null, 0x60, s12, v[1:2]
	s_delay_alu instid0(VALU_DEP_1) | instskip(NEXT) | instid1(VALU_DEP_1)
	v_mad_u64_u32 v[28:29], null, 0x60, s13, v[27:28]
	v_mov_b32_e32 v27, v28
	flat_load_b32 v26, v[26:27]
.LBB147_44:
	s_or_b32 exec_lo, exec_lo, s21
	v_lshlrev_b32_e32 v27, 2, v0
	s_waitcnt vmcnt(0) lgkmcnt(0)
	ds_store_b32 v25, v26 offset:3168
	v_add_co_u32 v1, s7, v1, v27
	s_delay_alu instid0(VALU_DEP_1) | instskip(NEXT) | instid1(VALU_DEP_2)
	v_add_co_ci_u32_e64 v2, s7, 0, v2, s7
	v_sub_co_u32 v1, s7, v1, s28
	s_delay_alu instid0(VALU_DEP_1) | instskip(NEXT) | instid1(VALU_DEP_2)
	v_subrev_co_ci_u32_e64 v2, s7, s29, v2, s7
	v_add_co_u32 v1, s7, 0x84, v1
	s_delay_alu instid0(VALU_DEP_1) | instskip(NEXT) | instid1(VALU_DEP_1)
	v_add_co_ci_u32_e64 v2, s7, 0, v2, s7
	v_dual_cndmask_b32 v23, v1, v23 :: v_dual_cndmask_b32 v24, v2, v24
.LBB147_45:
	v_add_nc_u32_e32 v13, 0x11c0, v13
	s_waitcnt lgkmcnt(0)
	s_barrier
	buffer_gl0_inv
	s_and_saveexec_b32 s7, s3
	s_cbranch_execnz .LBB147_54
; %bb.46:
	s_or_b32 exec_lo, exec_lo, s7
	s_and_saveexec_b32 s3, s4
	s_cbranch_execnz .LBB147_55
.LBB147_47:
	s_or_b32 exec_lo, exec_lo, s3
	s_and_saveexec_b32 s3, s5
	s_cbranch_execnz .LBB147_56
.LBB147_48:
	s_or_b32 exec_lo, exec_lo, s3
	s_and_saveexec_b32 s3, s6
	s_cbranch_execz .LBB147_50
.LBB147_49:
	ds_load_b32 v1, v10
	s_waitcnt lgkmcnt(0)
	ds_store_b32 v14, v1 offset:12
.LBB147_50:
	s_or_b32 exec_lo, exec_lo, s3
	s_waitcnt lgkmcnt(0)
	s_barrier
	buffer_gl0_inv
	ds_load_b32 v11, v11
	ds_load_b128 v[25:28], v13 offset:128
	ds_load_2addr_b32 v[1:2], v15 offset1:33
	ds_load_b32 v10, v10
	v_cmp_eq_u32_e64 s3, 1, v3
	s_waitcnt lgkmcnt(0)
	s_barrier
	buffer_gl0_inv
	v_fma_f32 v11, v11, v25, 0
	s_delay_alu instid0(VALU_DEP_1) | instskip(NEXT) | instid1(VALU_DEP_1)
	v_fmac_f32_e32 v11, v1, v26
	v_fmac_f32_e32 v11, v2, v27
	s_delay_alu instid0(VALU_DEP_1)
	v_fmac_f32_e32 v11, v10, v28
	ds_store_b32 v21, v11
	s_waitcnt lgkmcnt(0)
	s_barrier
	buffer_gl0_inv
	s_and_saveexec_b32 s4, s3
	s_cbranch_execz .LBB147_52
; %bb.51:
	v_lshlrev_b32_e32 v15, 2, v20
	ds_load_2addr_b32 v[1:2], v15 offset1:1
	ds_load_2addr_b32 v[10:11], v15 offset0:2 offset1:3
	ds_load_2addr_b32 v[25:26], v15 offset0:4 offset1:5
	;; [unrolled: 1-line block ×3, first 2 shown]
	s_waitcnt lgkmcnt(3)
	v_add_f32_e32 v1, v1, v2
	s_waitcnt lgkmcnt(2)
	s_delay_alu instid0(VALU_DEP_1) | instskip(NEXT) | instid1(VALU_DEP_1)
	v_add_f32_e32 v1, v1, v10
	v_add_f32_e32 v1, v1, v11
	s_waitcnt lgkmcnt(1)
	s_delay_alu instid0(VALU_DEP_1) | instskip(NEXT) | instid1(VALU_DEP_1)
	v_add_f32_e32 v1, v1, v25
	;; [unrolled: 4-line block ×3, first 2 shown]
	v_add_f32_e32 v17, v1, v28
.LBB147_52:
	s_or_b32 exec_lo, exec_lo, s4
	s_lshl_b64 s[4:5], s[26:27], 2
	v_cmp_ne_u32_e32 vcc_lo, 1, v22
	v_sub_co_u32 v10, s4, v23, s4
	s_delay_alu instid0(VALU_DEP_1)
	v_subrev_co_ci_u32_e64 v11, s4, s5, v24, s4
	s_barrier
	buffer_gl0_inv
	s_cbranch_vccnz .LBB147_57
; %bb.53:
	flat_load_b32 v22, v[10:11]
	v_mad_u32_u24 v15, v3, 33, v0
	v_add_co_u32 v1, vcc_lo, v10, s26
	v_add_co_ci_u32_e32 v2, vcc_lo, s27, v11, vcc_lo
	s_delay_alu instid0(VALU_DEP_3)
	v_lshlrev_b32_e32 v26, 2, v15
	v_add_nc_u32_e32 v25, 0x108, v15
	s_waitcnt vmcnt(0) lgkmcnt(0)
	ds_store_b32 v26, v22
	flat_load_b32 v22, v[1:2]
	v_add_co_u32 v1, vcc_lo, v1, s26
	v_add_co_ci_u32_e32 v2, vcc_lo, s27, v2, vcc_lo
	s_waitcnt vmcnt(0) lgkmcnt(0)
	ds_store_b32 v26, v22 offset:1056
	flat_load_b32 v24, v[1:2]
	v_mad_u64_u32 v[1:2], null, 0x60, s12, v[10:11]
	s_delay_alu instid0(VALU_DEP_1) | instskip(NEXT) | instid1(VALU_DEP_1)
	v_mad_u64_u32 v[22:23], null, 0x60, s13, v[2:3]
	v_dual_mov_b32 v2, v22 :: v_dual_add_nc_u32 v23, 16, v3
	v_add_nc_u32_e32 v22, 8, v3
	s_waitcnt vmcnt(0) lgkmcnt(0)
	ds_store_b32 v26, v24 offset:2112
	flat_load_b32 v27, v[1:2]
	v_add_nc_u32_e32 v1, 0x210, v15
	v_add_nc_u32_e32 v24, 24, v3
	;; [unrolled: 1-line block ×3, first 2 shown]
	s_waitcnt vmcnt(0) lgkmcnt(0)
	ds_store_b32 v26, v27 offset:3168
	s_cbranch_execz .LBB147_58
	s_branch .LBB147_67
.LBB147_54:
	ds_load_b32 v1, v11
	s_waitcnt lgkmcnt(0)
	ds_store_b32 v14, v1
	s_or_b32 exec_lo, exec_lo, s7
	s_and_saveexec_b32 s3, s4
	s_cbranch_execz .LBB147_47
.LBB147_55:
	ds_load_b32 v1, v15
	s_waitcnt lgkmcnt(0)
	ds_store_b32 v14, v1 offset:4
	s_or_b32 exec_lo, exec_lo, s3
	s_and_saveexec_b32 s3, s5
	s_cbranch_execz .LBB147_48
.LBB147_56:
	ds_load_b32 v1, v15 offset:132
	s_waitcnt lgkmcnt(0)
	ds_store_b32 v14, v1 offset:8
	s_or_b32 exec_lo, exec_lo, s3
	s_and_saveexec_b32 s3, s6
	s_cbranch_execnz .LBB147_49
	s_branch .LBB147_50
.LBB147_57:
                                        ; implicit-def: $vgpr15
                                        ; implicit-def: $vgpr22
                                        ; implicit-def: $vgpr25
                                        ; implicit-def: $vgpr23
                                        ; implicit-def: $vgpr1
                                        ; implicit-def: $vgpr24
                                        ; implicit-def: $vgpr2
.LBB147_58:
	v_or_b32_e32 v1, 32, v0
	s_ashr_i32 s21, s20, 31
	v_dual_mov_b32 v24, 0 :: v_dual_mov_b32 v23, 0
	s_lshl_b64 s[6:7], s[20:21], 2
	s_delay_alu instid0(VALU_DEP_2) | instskip(SKIP_1) | instid1(VALU_DEP_1)
	v_lshlrev_b32_e32 v2, 2, v1
	s_mov_b32 s5, exec_lo
	v_sub_co_u32 v2, vcc_lo, v10, v2
	v_subrev_co_ci_u32_e32 v15, vcc_lo, 0, v11, vcc_lo
	s_delay_alu instid0(VALU_DEP_2) | instskip(NEXT) | instid1(VALU_DEP_2)
	v_add_co_u32 v2, vcc_lo, v2, s6
	v_add_co_ci_u32_e32 v15, vcc_lo, s7, v15, vcc_lo
	s_delay_alu instid0(VALU_DEP_2) | instskip(NEXT) | instid1(VALU_DEP_2)
	v_add_co_u32 v22, vcc_lo, v2, -4
	v_add_co_ci_u32_e32 v2, vcc_lo, -1, v15, vcc_lo
	v_cmp_gt_i32_e32 vcc_lo, s20, v1
	s_delay_alu instid0(VALU_DEP_3) | instskip(NEXT) | instid1(VALU_DEP_3)
	v_cndmask_b32_e32 v1, v22, v10, vcc_lo
	v_cndmask_b32_e32 v2, v2, v11, vcc_lo
	v_cmpx_gt_i32_e64 s20, v3
	s_cbranch_execz .LBB147_60
; %bb.59:
	flat_load_b32 v23, v[1:2]
.LBB147_60:
	s_or_b32 exec_lo, exec_lo, s5
	v_mad_u32_u24 v15, v3, 33, v0
	v_add_nc_u32_e32 v22, 8, v3
	s_mov_b32 s5, exec_lo
	s_delay_alu instid0(VALU_DEP_2)
	v_lshlrev_b32_e32 v26, 2, v15
	s_waitcnt vmcnt(0) lgkmcnt(0)
	ds_store_b32 v26, v23
	v_cmpx_gt_i32_e64 s20, v22
	s_cbranch_execz .LBB147_62
; %bb.61:
	v_add_co_u32 v23, s4, v1, s26
	s_delay_alu instid0(VALU_DEP_1)
	v_add_co_ci_u32_e64 v24, s4, s27, v2, s4
	flat_load_b32 v24, v[23:24]
.LBB147_62:
	s_or_b32 exec_lo, exec_lo, s5
	v_add_nc_u32_e32 v23, 16, v3
	v_mov_b32_e32 v27, 0
	v_mov_b32_e32 v25, 0
	s_mov_b32 s5, exec_lo
	s_waitcnt vmcnt(0) lgkmcnt(0)
	ds_store_b32 v26, v24 offset:1056
	v_cmpx_gt_i32_e64 s20, v23
	s_cbranch_execz .LBB147_64
; %bb.63:
	s_lshl_b64 s[26:27], s[12:13], 6
	s_delay_alu instid0(SALU_CYCLE_1) | instskip(NEXT) | instid1(VALU_DEP_1)
	v_add_co_u32 v24, s4, v1, s26
	v_add_co_ci_u32_e64 v25, s4, s27, v2, s4
	flat_load_b32 v25, v[24:25]
.LBB147_64:
	s_or_b32 exec_lo, exec_lo, s5
	v_add_nc_u32_e32 v24, 24, v3
	s_mov_b32 s5, exec_lo
	s_waitcnt vmcnt(0) lgkmcnt(0)
	ds_store_b32 v26, v25 offset:2112
	v_cmpx_gt_i32_e64 s20, v24
	s_cbranch_execz .LBB147_66
; %bb.65:
	v_mad_u64_u32 v[27:28], null, 0x60, s12, v[1:2]
	s_delay_alu instid0(VALU_DEP_1) | instskip(NEXT) | instid1(VALU_DEP_1)
	v_mov_b32_e32 v3, v28
	v_mad_u64_u32 v[28:29], null, 0x60, s13, v[3:4]
	flat_load_b32 v27, v[27:28]
.LBB147_66:
	s_or_b32 exec_lo, exec_lo, s5
	v_lshlrev_b32_e32 v0, 2, v0
	s_waitcnt vmcnt(0) lgkmcnt(0)
	ds_store_b32 v26, v27 offset:3168
	v_add_co_u32 v0, s4, v1, v0
	s_delay_alu instid0(VALU_DEP_1) | instskip(SKIP_1) | instid1(VALU_DEP_3)
	v_add_co_ci_u32_e64 v1, s4, 0, v2, s4
	v_add_nc_u32_e32 v2, 0x318, v15
	v_sub_co_u32 v0, s4, v0, s6
	s_delay_alu instid0(VALU_DEP_1) | instskip(NEXT) | instid1(VALU_DEP_2)
	v_subrev_co_ci_u32_e64 v1, s4, s7, v1, s4
	v_add_co_u32 v0, s4, 0x84, v0
	s_delay_alu instid0(VALU_DEP_1) | instskip(NEXT) | instid1(VALU_DEP_2)
	v_add_co_ci_u32_e64 v3, s4, 0, v1, s4
	v_dual_cndmask_b32 v10, v0, v10 :: v_dual_add_nc_u32 v25, 0x108, v15
	v_add_nc_u32_e32 v1, 0x210, v15
	s_delay_alu instid0(VALU_DEP_3)
	v_cndmask_b32_e32 v11, v3, v11, vcc_lo
.LBB147_67:
	v_lshlrev_b32_e32 v0, 2, v15
	s_delay_alu instid0(VALU_DEP_4)
	v_lshlrev_b32_e32 v3, 2, v25
	s_waitcnt lgkmcnt(0)
	s_barrier
	buffer_gl0_inv
	ds_load_b32 v12, v12 offset:4544
	v_lshlrev_b32_e32 v15, 2, v22
	ds_load_b32 v22, v0
	ds_load_b32 v25, v3
	v_lshlrev_b32_e32 v0, 2, v1
	v_lshlrev_b32_e32 v1, 2, v23
	;; [unrolled: 1-line block ×3, first 2 shown]
	ds_load_b32 v23, v15 offset:4544
	v_lshlrev_b32_e32 v3, 2, v24
	ds_load_b32 v24, v0
	ds_load_b32 v26, v1 offset:4544
	ds_load_b32 v27, v2
	ds_load_b32 v28, v3 offset:4544
	ds_load_b128 v[0:3], v13 offset:128
	s_waitcnt lgkmcnt(7)
	v_fma_f32 v22, v22, v12, 0
	ds_load_2addr_b32 v[12:13], v14 offset0:2 offset1:3
	ds_load_2addr_b32 v[14:15], v14 offset1:1
	s_waitcnt lgkmcnt(0)
	s_barrier
	buffer_gl0_inv
	v_fmac_f32_e32 v22, v25, v23
	s_delay_alu instid0(VALU_DEP_1) | instskip(NEXT) | instid1(VALU_DEP_1)
	v_fmac_f32_e32 v22, v24, v26
	v_fmac_f32_e32 v22, v27, v28
	ds_store_b32 v21, v22
	s_waitcnt lgkmcnt(0)
	s_barrier
	buffer_gl0_inv
	s_and_saveexec_b32 s4, s3
	s_cbranch_execz .LBB147_69
; %bb.68:
	v_lshlrev_b32_e32 v28, 2, v20
	ds_load_2addr_b32 v[22:23], v28 offset1:1
	ds_load_2addr_b32 v[24:25], v28 offset0:2 offset1:3
	ds_load_2addr_b32 v[26:27], v28 offset0:4 offset1:5
	;; [unrolled: 1-line block ×3, first 2 shown]
	s_waitcnt lgkmcnt(3)
	v_add_f32_e32 v17, v17, v22
	s_delay_alu instid0(VALU_DEP_1) | instskip(SKIP_1) | instid1(VALU_DEP_1)
	v_add_f32_e32 v17, v17, v23
	s_waitcnt lgkmcnt(2)
	v_add_f32_e32 v17, v17, v24
	s_delay_alu instid0(VALU_DEP_1) | instskip(SKIP_1) | instid1(VALU_DEP_1)
	v_add_f32_e32 v17, v17, v25
	;; [unrolled: 4-line block ×3, first 2 shown]
	s_waitcnt lgkmcnt(0)
	v_add_f32_e32 v17, v17, v28
	s_delay_alu instid0(VALU_DEP_1)
	v_add_f32_e32 v17, v17, v29
.LBB147_69:
	s_or_b32 exec_lo, exec_lo, s4
	v_fma_f32 v0, v14, v0, 0
	s_barrier
	buffer_gl0_inv
	v_fmac_f32_e32 v0, v15, v1
	s_delay_alu instid0(VALU_DEP_1) | instskip(NEXT) | instid1(VALU_DEP_1)
	v_fmac_f32_e32 v0, v12, v2
	v_fmac_f32_e32 v0, v13, v3
	ds_store_b32 v21, v0
	s_waitcnt lgkmcnt(0)
	s_barrier
	buffer_gl0_inv
	s_and_saveexec_b32 s3, s2
	s_cbranch_execz .LBB147_71
; %bb.70:
	v_lshlrev_b32_e32 v14, 2, v20
	ds_load_2addr_b32 v[0:1], v14 offset1:1
	ds_load_2addr_b32 v[2:3], v14 offset0:2 offset1:3
	ds_load_2addr_b32 v[12:13], v14 offset0:4 offset1:5
	;; [unrolled: 1-line block ×3, first 2 shown]
	s_waitcnt lgkmcnt(3)
	v_add_f32_e32 v0, v17, v0
	s_delay_alu instid0(VALU_DEP_1) | instskip(SKIP_1) | instid1(VALU_DEP_1)
	v_add_f32_e32 v0, v0, v1
	s_waitcnt lgkmcnt(2)
	v_add_f32_e32 v0, v0, v2
	s_delay_alu instid0(VALU_DEP_1) | instskip(SKIP_1) | instid1(VALU_DEP_1)
	v_add_f32_e32 v0, v0, v3
	;; [unrolled: 4-line block ×3, first 2 shown]
	s_waitcnt lgkmcnt(0)
	v_add_f32_e32 v0, v0, v14
	s_delay_alu instid0(VALU_DEP_1)
	v_add_f32_e32 v17, v0, v15
.LBB147_71:
	s_or_b32 exec_lo, exec_lo, s3
	s_mul_hi_u32 s2, s15, s16
	s_mul_i32 s30, s30, s16
	s_mul_i32 s3, s15, s16
	s_add_i32 s2, s2, s30
	s_mul_hi_u32 s5, s3, s17
	s_mul_i32 s4, s2, s17
	s_mul_i32 s2, s3, s17
	s_add_i32 s3, s5, s4
	s_mul_i32 s4, s14, s15
	s_lshl_b64 s[2:3], s[2:3], 2
	v_cmp_le_i32_e32 vcc_lo, s20, v18
	s_add_u32 s6, s22, s2
	s_addc_u32 s7, s23, s3
	s_ashr_i32 s5, s4, 31
	v_lshlrev_b32_e32 v12, 2, v18
	s_lshl_b64 s[2:3], s[4:5], 2
	s_delay_alu instid0(SALU_CYCLE_1)
	s_add_u32 s15, s6, s2
	s_addc_u32 s22, s7, s3
	s_and_b32 vcc_lo, s31, vcc_lo
	s_cmp_lt_i32 s14, 1
	s_barrier
	buffer_gl0_inv
	s_cbranch_scc1 .LBB147_78
; %bb.72:
	v_lshlrev_b32_e32 v1, 2, v16
	s_mul_i32 s3, s18, s9
	s_mul_hi_u32 s5, s18, s8
	s_ashr_i32 s21, s20, 31
	s_mul_i32 s16, s19, s8
	v_mad_u64_u32 v[2:3], null, v1, s12, 0
	s_add_i32 s3, s5, s3
	s_lshl_b64 s[6:7], s[20:21], 2
	s_mul_i32 s4, s18, s8
	s_add_i32 s5, s3, s16
	s_mul_i32 s3, s13, 12
	s_mul_hi_u32 s18, s12, 12
	s_delay_alu instid0(VALU_DEP_1)
	v_mov_b32_e32 v0, v3
	s_add_i32 s20, s18, s3
	s_mul_i32 s3, s13, 0x48
	s_mul_hi_u32 s23, s12, 0x48
	s_mul_hi_u32 s27, s12, 0x88
	v_mad_u64_u32 v[13:14], null, v1, s13, v[0:1]
	v_sub_co_u32 v0, s2, v10, s24
	v_add_nc_u32_e32 v10, 0x10c0, v12
	v_subrev_co_ci_u32_e64 v14, s2, s25, v11, s2
	s_delay_alu instid0(VALU_DEP_3) | instskip(SKIP_1) | instid1(VALU_DEP_3)
	v_sub_co_u32 v0, s2, v0, v8
	v_mov_b32_e32 v3, v13
	v_sub_co_ci_u32_e64 v8, s2, v14, v9, s2
	s_add_i32 s23, s23, s3
	s_mul_i32 s3, s13, 0x4c
	s_delay_alu instid0(VALU_DEP_2)
	v_lshlrev_b64 v[2:3], 2, v[2:3]
	s_mul_hi_u32 s25, s12, 0x4c
	s_mul_hi_u32 s29, s12, 0x8c
	s_add_i32 s25, s25, s3
	s_mul_i32 s3, s13, 0x88
	v_lshrrev_b32_e32 v13, 2, v19
	v_add_co_u32 v0, s2, v0, v2
	s_delay_alu instid0(VALU_DEP_1) | instskip(SKIP_1) | instid1(VALU_DEP_2)
	v_add_co_ci_u32_e64 v2, s2, v8, v3, s2
	s_add_i32 s27, s27, s3
	v_add_co_u32 v0, s2, 0xffffff80, v0
	s_delay_alu instid0(VALU_DEP_1) | instskip(SKIP_1) | instid1(VALU_DEP_2)
	v_add_co_ci_u32_e64 v2, s2, -1, v2, s2
	s_mul_i32 s3, s13, 0x8c
	v_add_co_u32 v3, s2, v0, s6
	s_delay_alu instid0(VALU_DEP_1) | instskip(SKIP_1) | instid1(VALU_DEP_1)
	v_add_co_ci_u32_e64 v9, s2, s7, v2, s2
	v_add_co_u32 v0, s2, v0, v12
	v_add_co_ci_u32_e64 v2, s2, 0, v2, s2
	s_delay_alu instid0(VALU_DEP_4)
	v_add_co_u32 v14, s2, v3, -4
	v_and_b32_e32 v21, 48, v18
	v_add_co_ci_u32_e64 v3, s2, -1, v9, s2
	s_add_i32 s29, s29, s3
	s_mul_i32 s3, s13, 0xc0
	s_mul_hi_u32 s31, s12, 0xc0
	s_mul_hi_u32 s34, s12, 0xc8
	s_add_i32 s31, s31, s3
	s_mul_i32 s3, s13, 0xc8
	v_dual_mov_b32 v1, 0 :: v_dual_and_b32 v20, 15, v18
	v_add_nc_u32_e32 v11, 0x11c0, v12
	v_dual_cndmask_b32 v3, v2, v3 :: v_dual_lshlrev_b32 v8, 2, v21
	s_lshl_b64 s[4:5], s[4:5], 2
	v_cndmask_b32_e32 v2, v0, v14, vcc_lo
	v_or_b32_e32 v0, 60, v12
	v_and_b32_e32 v14, 0x1fff0, v19
	v_and_b32_e32 v18, 0x7ffc, v13
	s_add_i32 s34, s34, s3
	s_mul_i32 s3, s13, 0xcc
	s_mul_hi_u32 s36, s12, 0xcc
	v_sub_co_u32 v6, s2, v6, s4
	s_add_i32 s36, s36, s3
	s_mul_i32 s3, s13, 0xc4
	s_mul_hi_u32 s38, s12, 0xc4
	v_subrev_co_ci_u32_e64 v7, s2, s5, v7, s2
	s_add_i32 s38, s38, s3
	s_mul_i32 s3, s13, 0x84
	s_mul_hi_u32 s40, s12, 0x84
	v_cmp_gt_u32_e64 s2, 64, v19
	v_mad_u32_u24 v8, 0x10c, v20, v8
	v_mad_u32_u24 v9, 0x10c, v20, v0
	;; [unrolled: 1-line block ×3, first 2 shown]
	v_lshl_add_u32 v14, v16, 4, 0x10c0
	v_mad_u32_u24 v15, 0x430, v16, v12
	v_mad_u32_u24 v18, 0x10c, v20, v18
	v_or_b32_e32 v19, v21, v20
	s_lshl_b64 s[4:5], s[12:13], 2
	s_lshl_b64 s[6:7], s[12:13], 3
	;; [unrolled: 1-line block ×4, first 2 shown]
	s_add_i32 s40, s40, s3
	s_mul_i32 s3, s13, 0x44
	s_mul_hi_u32 s13, s12, 0x44
	s_mul_i32 s21, s12, 12
	s_mul_i32 s24, s12, 0x48
	;; [unrolled: 1-line block ×10, first 2 shown]
	s_add_i32 s13, s13, s3
	s_mulk_i32 s12, 0x44
	s_mov_b32 s42, 0
	s_branch .LBB147_74
.LBB147_73:                             ;   in Loop: Header=BB147_74 Depth=1
	s_or_b32 exec_lo, exec_lo, s43
	v_fmac_f32_e32 v17, v20, v24
	v_add_co_u32 v2, s3, v2, s16
	s_delay_alu instid0(VALU_DEP_1) | instskip(NEXT) | instid1(VALU_DEP_3)
	v_add_co_ci_u32_e64 v3, s3, s17, v3, s3
	v_fmac_f32_e32 v17, v22, v25
	s_add_i32 s14, s14, -1
	s_add_i32 s42, s42, 64
	s_cmp_eq_u32 s14, 0
	s_waitcnt_vscnt null, 0x0
	v_fmac_f32_e32 v17, v21, v26
	s_barrier
	buffer_gl0_inv
	v_fmac_f32_e32 v17, v23, v27
	s_delay_alu instid0(VALU_DEP_1) | instskip(NEXT) | instid1(VALU_DEP_1)
	v_fmac_f32_e32 v17, v28, v32
	v_fmac_f32_e32 v17, v30, v33
	s_delay_alu instid0(VALU_DEP_1) | instskip(NEXT) | instid1(VALU_DEP_1)
	v_fmac_f32_e32 v17, v29, v34
	;; [unrolled: 3-line block ×6, first 2 shown]
	v_fmac_f32_e32 v17, v44, v49
	s_cbranch_scc1 .LBB147_78
.LBB147_74:                             ; =>This Inner Loop Header: Depth=1
	s_and_saveexec_b32 s43, s1
	s_cbranch_execz .LBB147_76
; %bb.75:                               ;   in Loop: Header=BB147_74 Depth=1
	s_mul_i32 s3, s42, s9
	s_mul_hi_u32 s45, s42, s8
	s_mul_i32 s44, s42, s8
	s_add_i32 s45, s45, s3
	s_delay_alu instid0(SALU_CYCLE_1) | instskip(NEXT) | instid1(SALU_CYCLE_1)
	s_lshl_b64 s[44:45], s[44:45], 2
	v_add_co_u32 v20, s3, v6, s44
	s_delay_alu instid0(VALU_DEP_1)
	v_add_co_ci_u32_e64 v21, s3, s45, v7, s3
	flat_load_b32 v0, v[20:21]
	s_waitcnt vmcnt(0) lgkmcnt(0)
	ds_store_b32 v10, v0
.LBB147_76:                             ;   in Loop: Header=BB147_74 Depth=1
	s_or_b32 exec_lo, exec_lo, s43
	v_add_co_u32 v21, s3, v2, s4
	s_delay_alu instid0(VALU_DEP_1) | instskip(SKIP_1) | instid1(VALU_DEP_1)
	v_add_co_ci_u32_e64 v22, s3, s5, v3, s3
	v_add_co_u32 v23, s3, v2, s6
	v_add_co_ci_u32_e64 v24, s3, s7, v3, s3
	v_add_co_u32 v25, s3, v2, s21
	s_waitcnt lgkmcnt(0)
	s_barrier
	buffer_gl0_inv
	flat_load_b32 v20, v[2:3]
	v_add_co_ci_u32_e64 v26, s3, s20, v3, s3
	s_clause 0x2
	flat_load_b32 v22, v[21:22]
	flat_load_b32 v21, v[23:24]
	;; [unrolled: 1-line block ×3, first 2 shown]
	ds_load_b32 v0, v11
	ds_load_b32 v24, v14
	v_add_co_u32 v28, s3, v2, s18
	s_delay_alu instid0(VALU_DEP_1) | instskip(SKIP_1) | instid1(VALU_DEP_1)
	v_add_co_ci_u32_e64 v29, s3, s19, v3, s3
	v_add_co_u32 v30, s3, v2, s12
	v_add_co_ci_u32_e64 v31, s3, s13, v3, s3
	v_add_co_u32 v32, s3, v2, s24
	s_delay_alu instid0(VALU_DEP_1) | instskip(SKIP_1) | instid1(VALU_DEP_1)
	v_add_co_ci_u32_e64 v33, s3, s23, v3, s3
	v_add_co_u32 v34, s3, v2, s26
	v_add_co_ci_u32_e64 v35, s3, s25, v3, s3
	;; [unrolled: 5-line block ×6, first 2 shown]
	s_waitcnt vmcnt(3) lgkmcnt(1)
	v_mul_f32_e32 v25, v20, v0
	s_waitcnt vmcnt(2)
	v_mul_f32_e32 v26, v22, v0
	s_waitcnt vmcnt(1)
	;; [unrolled: 2-line block ×3, first 2 shown]
	v_mul_f32_e32 v0, v23, v0
	ds_store_b32 v15, v25
	ds_load_b32 v25, v14 offset:4
	ds_store_b32 v15, v26 offset:268
	ds_load_b32 v26, v14 offset:8
	ds_store_b32 v15, v27 offset:536
	;; [unrolled: 2-line block ×3, first 2 shown]
	s_waitcnt lgkmcnt(0)
	s_barrier
	buffer_gl0_inv
	ds_load_2addr_b32 v[52:53], v13 offset1:1
	ds_load_2addr_b32 v[54:55], v13 offset0:2 offset1:3
	s_waitcnt lgkmcnt(0)
	s_barrier
	buffer_gl0_inv
	s_clause 0x3
	flat_load_b32 v28, v[28:29]
	flat_load_b32 v30, v[30:31]
	;; [unrolled: 1-line block ×4, first 2 shown]
	ds_load_b32 v0, v11
	ds_load_b32 v32, v14 offset:64
	s_waitcnt vmcnt(2) lgkmcnt(1)
	v_mul_f32_e32 v34, v30, v0
	v_mul_f32_e32 v33, v28, v0
	s_waitcnt vmcnt(1)
	v_mul_f32_e32 v35, v29, v0
	s_waitcnt vmcnt(0)
	v_mul_f32_e32 v0, v31, v0
	ds_store_b32 v15, v33
	ds_load_b32 v33, v14 offset:68
	ds_store_b32 v15, v34 offset:268
	ds_load_b32 v34, v14 offset:72
	ds_store_b32 v15, v35 offset:536
	;; [unrolled: 2-line block ×3, first 2 shown]
	s_waitcnt lgkmcnt(0)
	s_barrier
	buffer_gl0_inv
	ds_load_2addr_b32 v[56:57], v13 offset1:1
	ds_load_2addr_b32 v[58:59], v13 offset0:2 offset1:3
	s_waitcnt lgkmcnt(0)
	s_barrier
	buffer_gl0_inv
	s_clause 0x3
	flat_load_b32 v36, v[36:37]
	flat_load_b32 v38, v[38:39]
	;; [unrolled: 1-line block ×4, first 2 shown]
	ds_load_b32 v0, v11
	ds_load_b32 v40, v14 offset:128
	s_waitcnt vmcnt(2) lgkmcnt(1)
	v_mul_f32_e32 v42, v38, v0
	v_mul_f32_e32 v41, v36, v0
	s_waitcnt vmcnt(1)
	v_mul_f32_e32 v43, v37, v0
	s_waitcnt vmcnt(0)
	v_mul_f32_e32 v0, v39, v0
	ds_store_b32 v15, v41
	ds_load_b32 v41, v14 offset:132
	ds_store_b32 v15, v42 offset:268
	ds_load_b32 v42, v14 offset:136
	ds_store_b32 v15, v43 offset:536
	;; [unrolled: 2-line block ×3, first 2 shown]
	s_waitcnt lgkmcnt(0)
	s_barrier
	buffer_gl0_inv
	ds_load_2addr_b32 v[62:63], v13 offset1:1
	ds_load_2addr_b32 v[64:65], v13 offset0:2 offset1:3
	s_waitcnt lgkmcnt(0)
	s_barrier
	buffer_gl0_inv
	s_clause 0x3
	flat_load_b32 v47, v[44:45]
	flat_load_b32 v46, v[48:49]
	;; [unrolled: 1-line block ×4, first 2 shown]
	ds_load_b32 v0, v11
	ds_load_b32 v48, v14 offset:192
	s_waitcnt vmcnt(3) lgkmcnt(1)
	v_mul_f32_e32 v49, v47, v0
	s_waitcnt vmcnt(2)
	v_mul_f32_e32 v50, v46, v0
	s_waitcnt vmcnt(1)
	;; [unrolled: 2-line block ×3, first 2 shown]
	v_mul_f32_e32 v0, v44, v0
	ds_store_b32 v15, v49
	ds_load_b32 v51, v14 offset:196
	ds_store_b32 v15, v50 offset:268
	ds_load_b32 v50, v14 offset:200
	ds_store_b32 v15, v60 offset:536
	;; [unrolled: 2-line block ×3, first 2 shown]
	s_waitcnt lgkmcnt(0)
	s_barrier
	buffer_gl0_inv
	ds_load_2addr_b32 v[60:61], v13 offset1:1
	ds_load_2addr_b32 v[66:67], v13 offset0:2 offset1:3
	v_add_f32_e32 v0, 0, v52
	v_add_f32_e32 v52, 0, v56
	;; [unrolled: 1-line block ×3, first 2 shown]
	s_waitcnt lgkmcnt(0)
	s_barrier
	v_add_f32_e32 v0, v0, v53
	v_add_f32_e32 v52, v52, v57
	;; [unrolled: 1-line block ×3, first 2 shown]
	buffer_gl0_inv
	v_add_f32_e32 v0, v0, v54
	v_dual_add_f32 v52, v52, v58 :: v_dual_add_f32 v53, v53, v64
	s_delay_alu instid0(VALU_DEP_2) | instskip(NEXT) | instid1(VALU_DEP_2)
	v_add_f32_e32 v0, v0, v55
	v_dual_add_f32 v52, v52, v59 :: v_dual_add_f32 v53, v53, v65
	v_add_f32_e32 v60, 0, v60
	s_delay_alu instid0(VALU_DEP_1) | instskip(NEXT) | instid1(VALU_DEP_1)
	v_add_f32_e32 v56, v60, v61
	v_add_f32_e32 v54, v56, v66
	s_delay_alu instid0(VALU_DEP_1)
	v_add_f32_e32 v54, v54, v67
	ds_store_2addr_b32 v18, v0, v52 offset1:16
	ds_store_2addr_b32 v18, v53, v54 offset0:32 offset1:48
	s_waitcnt lgkmcnt(0)
	s_barrier
	buffer_gl0_inv
	s_and_saveexec_b32 s43, s2
	s_cbranch_execz .LBB147_73
; %bb.77:                               ;   in Loop: Header=BB147_74 Depth=1
	ds_load_2addr_b32 v[52:53], v8 offset1:1
	ds_load_2addr_b32 v[54:55], v8 offset0:2 offset1:3
	ds_load_2addr_b32 v[56:57], v8 offset0:4 offset1:5
	;; [unrolled: 1-line block ×3, first 2 shown]
	s_waitcnt lgkmcnt(3)
	v_add_f32_e32 v0, v52, v53
	ds_load_2addr_b32 v[52:53], v8 offset0:8 offset1:9
	s_waitcnt lgkmcnt(3)
	v_add_f32_e32 v0, v0, v54
	s_delay_alu instid0(VALU_DEP_1) | instskip(SKIP_3) | instid1(VALU_DEP_1)
	v_add_f32_e32 v0, v0, v55
	ds_load_2addr_b32 v[54:55], v8 offset0:10 offset1:11
	s_waitcnt lgkmcnt(3)
	v_add_f32_e32 v0, v0, v56
	v_add_f32_e32 v0, v0, v57
	s_waitcnt lgkmcnt(2)
	s_delay_alu instid0(VALU_DEP_1) | instskip(SKIP_4) | instid1(VALU_DEP_1)
	v_add_f32_e32 v0, v0, v58
	ds_load_2addr_b32 v[56:57], v8 offset0:12 offset1:13
	ds_load_b32 v58, v8 offset:56
	v_add_f32_e32 v0, v0, v59
	s_waitcnt lgkmcnt(3)
	v_add_f32_e32 v0, v0, v52
	s_delay_alu instid0(VALU_DEP_1) | instskip(SKIP_1) | instid1(VALU_DEP_1)
	v_add_f32_e32 v0, v0, v53
	s_waitcnt lgkmcnt(2)
	v_add_f32_e32 v0, v0, v54
	ds_load_b32 v54, v9
	v_add_f32_e32 v0, v0, v55
	s_waitcnt lgkmcnt(2)
	s_delay_alu instid0(VALU_DEP_1) | instskip(NEXT) | instid1(VALU_DEP_1)
	v_add_f32_e32 v0, v0, v56
	v_add_f32_e32 v52, v0, v57
	s_waitcnt lgkmcnt(1)
	s_delay_alu instid0(VALU_DEP_1) | instskip(NEXT) | instid1(VALU_DEP_1)
	v_dual_add_f32 v55, v52, v58 :: v_dual_add_nc_u32 v0, s42, v19
	v_lshlrev_b64 v[52:53], 2, v[0:1]
	s_waitcnt lgkmcnt(0)
	s_delay_alu instid0(VALU_DEP_2) | instskip(NEXT) | instid1(VALU_DEP_2)
	v_add_f32_e32 v0, v55, v54
	v_add_co_u32 v52, s3, s15, v52
	s_delay_alu instid0(VALU_DEP_1)
	v_add_co_ci_u32_e64 v53, s3, s22, v53, s3
	global_store_b32 v[52:53], v0, off
	s_branch .LBB147_73
.LBB147_78:
	v_mad_u32_u24 v0, 0x10c, v16, v12
	s_or_b32 s0, s0, vcc_lo
	s_delay_alu instid0(SALU_CYCLE_1)
	s_xor_b32 s0, s0, -1
	ds_store_b32 v0, v17
	s_waitcnt lgkmcnt(0)
	s_barrier
	buffer_gl0_inv
	s_and_saveexec_b32 s1, s0
	s_cbranch_execz .LBB147_80
; %bb.79:
	ds_load_2addr_b32 v[0:1], v12 offset1:67
	ds_load_2addr_b32 v[2:3], v12 offset0:134 offset1:201
	s_waitcnt lgkmcnt(1)
	v_add_f32_e32 v0, v0, v1
	s_waitcnt lgkmcnt(0)
	s_delay_alu instid0(VALU_DEP_1) | instskip(SKIP_1) | instid1(VALU_DEP_2)
	v_add_f32_e32 v2, v0, v2
	v_lshlrev_b64 v[0:1], 2, v[4:5]
	v_add_f32_e32 v2, v2, v3
	s_delay_alu instid0(VALU_DEP_2) | instskip(NEXT) | instid1(VALU_DEP_3)
	v_add_co_u32 v0, vcc_lo, s15, v0
	v_add_co_ci_u32_e32 v1, vcc_lo, s22, v1, vcc_lo
	global_store_b32 v[0:1], v2, off
.LBB147_80:
	s_nop 0
	s_sendmsg sendmsg(MSG_DEALLOC_VGPRS)
	s_endpgm
	.section	.rodata,"a",@progbits
	.p2align	6, 0x0
	.amdhsa_kernel _ZL26rocblas_hemvn_kernel_lowerILb0ELi64ELi4ELi33ELi32ELi16ElPKfPKS1_PfEviT6_lT7_lT5_lS6_lS7_lS5_lT8_i
		.amdhsa_group_segment_fixed_size 4800
		.amdhsa_private_segment_fixed_size 0
		.amdhsa_kernarg_size 376
		.amdhsa_user_sgpr_count 14
		.amdhsa_user_sgpr_dispatch_ptr 0
		.amdhsa_user_sgpr_queue_ptr 0
		.amdhsa_user_sgpr_kernarg_segment_ptr 1
		.amdhsa_user_sgpr_dispatch_id 0
		.amdhsa_user_sgpr_private_segment_size 0
		.amdhsa_wavefront_size32 1
		.amdhsa_uses_dynamic_stack 0
		.amdhsa_enable_private_segment 0
		.amdhsa_system_sgpr_workgroup_id_x 1
		.amdhsa_system_sgpr_workgroup_id_y 0
		.amdhsa_system_sgpr_workgroup_id_z 1
		.amdhsa_system_sgpr_workgroup_info 0
		.amdhsa_system_vgpr_workitem_id 1
		.amdhsa_next_free_vgpr 68
		.amdhsa_next_free_sgpr 46
		.amdhsa_reserve_vcc 1
		.amdhsa_float_round_mode_32 0
		.amdhsa_float_round_mode_16_64 0
		.amdhsa_float_denorm_mode_32 3
		.amdhsa_float_denorm_mode_16_64 3
		.amdhsa_dx10_clamp 1
		.amdhsa_ieee_mode 1
		.amdhsa_fp16_overflow 0
		.amdhsa_workgroup_processor_mode 1
		.amdhsa_memory_ordered 1
		.amdhsa_forward_progress 0
		.amdhsa_shared_vgpr_count 0
		.amdhsa_exception_fp_ieee_invalid_op 0
		.amdhsa_exception_fp_denorm_src 0
		.amdhsa_exception_fp_ieee_div_zero 0
		.amdhsa_exception_fp_ieee_overflow 0
		.amdhsa_exception_fp_ieee_underflow 0
		.amdhsa_exception_fp_ieee_inexact 0
		.amdhsa_exception_int_div_zero 0
	.end_amdhsa_kernel
	.section	.text._ZL26rocblas_hemvn_kernel_lowerILb0ELi64ELi4ELi33ELi32ELi16ElPKfPKS1_PfEviT6_lT7_lT5_lS6_lS7_lS5_lT8_i,"axG",@progbits,_ZL26rocblas_hemvn_kernel_lowerILb0ELi64ELi4ELi33ELi32ELi16ElPKfPKS1_PfEviT6_lT7_lT5_lS6_lS7_lS5_lT8_i,comdat
.Lfunc_end147:
	.size	_ZL26rocblas_hemvn_kernel_lowerILb0ELi64ELi4ELi33ELi32ELi16ElPKfPKS1_PfEviT6_lT7_lT5_lS6_lS7_lS5_lT8_i, .Lfunc_end147-_ZL26rocblas_hemvn_kernel_lowerILb0ELi64ELi4ELi33ELi32ELi16ElPKfPKS1_PfEviT6_lT7_lT5_lS6_lS7_lS5_lT8_i
                                        ; -- End function
	.section	.AMDGPU.csdata,"",@progbits
; Kernel info:
; codeLenInByte = 6728
; NumSgprs: 48
; NumVgprs: 68
; ScratchSize: 0
; MemoryBound: 0
; FloatMode: 240
; IeeeMode: 1
; LDSByteSize: 4800 bytes/workgroup (compile time only)
; SGPRBlocks: 5
; VGPRBlocks: 8
; NumSGPRsForWavesPerEU: 48
; NumVGPRsForWavesPerEU: 68
; Occupancy: 16
; WaveLimiterHint : 1
; COMPUTE_PGM_RSRC2:SCRATCH_EN: 0
; COMPUTE_PGM_RSRC2:USER_SGPR: 14
; COMPUTE_PGM_RSRC2:TRAP_HANDLER: 0
; COMPUTE_PGM_RSRC2:TGID_X_EN: 1
; COMPUTE_PGM_RSRC2:TGID_Y_EN: 0
; COMPUTE_PGM_RSRC2:TGID_Z_EN: 1
; COMPUTE_PGM_RSRC2:TIDIG_COMP_CNT: 1
	.section	.text._ZL36rocblas_hemvn_kernel_lower_block_sumILi64ElPKfPKPffEviT1_lS5_lT2_lT0_lPT3_i,"axG",@progbits,_ZL36rocblas_hemvn_kernel_lower_block_sumILi64ElPKfPKPffEviT1_lS5_lT2_lT0_lPT3_i,comdat
	.globl	_ZL36rocblas_hemvn_kernel_lower_block_sumILi64ElPKfPKPffEviT1_lS5_lT2_lT0_lPT3_i ; -- Begin function _ZL36rocblas_hemvn_kernel_lower_block_sumILi64ElPKfPKPffEviT1_lS5_lT2_lT0_lPT3_i
	.p2align	8
	.type	_ZL36rocblas_hemvn_kernel_lower_block_sumILi64ElPKfPKPffEviT1_lS5_lT2_lT0_lPT3_i,@function
_ZL36rocblas_hemvn_kernel_lower_block_sumILi64ElPKfPKPffEviT1_lS5_lT2_lT0_lPT3_i: ; @_ZL36rocblas_hemvn_kernel_lower_block_sumILi64ElPKfPKPffEviT1_lS5_lT2_lT0_lPT3_i
; %bb.0:
	s_load_b256 s[16:23], s[0:1], 0x8
	s_mov_b32 s9, 0
	s_waitcnt lgkmcnt(0)
	s_mul_i32 s3, s15, s19
	s_mul_hi_u32 s4, s15, s18
	s_mul_i32 s2, s15, s18
	s_add_i32 s3, s4, s3
	s_mul_i32 s4, s15, s23
	s_lshl_b64 s[2:3], s[2:3], 2
	s_mul_hi_u32 s5, s15, s22
	s_add_u32 s2, s16, s2
	s_addc_u32 s3, s17, s3
	s_add_i32 s5, s5, s4
	s_mul_i32 s4, s15, s22
	s_delay_alu instid0(SALU_CYCLE_1) | instskip(NEXT) | instid1(SALU_CYCLE_1)
	s_lshl_b64 s[4:5], s[4:5], 2
	s_add_u32 s4, s20, s4
	s_addc_u32 s5, s21, s5
	s_load_b32 s12, s[2:3], 0x0
	s_load_b32 s13, s[4:5], 0x0
	s_waitcnt lgkmcnt(0)
	v_cmp_eq_f32_e64 s2, s12, 0
	v_cmp_eq_f32_e64 s3, s13, 1.0
	s_delay_alu instid0(VALU_DEP_1) | instskip(NEXT) | instid1(SALU_CYCLE_1)
	s_and_b32 s2, s2, s3
	s_and_b32 vcc_lo, exec_lo, s2
	s_cbranch_vccnz .LBB148_19
; %bb.1:
	s_clause 0x1
	s_load_b64 s[2:3], s[0:1], 0x28
	s_load_b32 s10, s[0:1], 0x0
	s_mov_b32 s8, s15
	s_load_b128 s[4:7], s[0:1], 0x30
	s_lshl_b64 s[16:17], s[8:9], 3
	v_lshl_or_b32 v0, s14, 6, v0
	s_waitcnt lgkmcnt(0)
	s_add_u32 s2, s2, s16
	s_addc_u32 s3, s3, s17
	s_lshl_b64 s[4:5], s[4:5], 2
	s_load_b64 s[16:17], s[2:3], 0x0
	v_cmp_neq_f32_e64 s2, s12, 0
	s_waitcnt lgkmcnt(0)
	s_add_u32 s3, s16, s4
	s_addc_u32 s4, s17, s5
	s_delay_alu instid0(VALU_DEP_1)
	s_and_b32 vcc_lo, exec_lo, s2
	v_cmp_gt_i32_e64 s2, s10, v0
	s_cbranch_vccnz .LBB148_6
; %bb.2:
	s_mov_b32 s5, 0
                                        ; implicit-def: $vgpr3
                                        ; implicit-def: $vgpr1_vgpr2
	s_delay_alu instid0(VALU_DEP_1)
	s_and_saveexec_b32 s11, s2
	s_cbranch_execz .LBB148_7
; %bb.3:
	v_ashrrev_i32_e32 v3, 31, v0
	v_mul_lo_u32 v4, v0, s7
	v_mad_u64_u32 v[1:2], null, v0, s6, 0
	v_cmp_eq_f32_e64 s2, s13, 0
	s_delay_alu instid0(VALU_DEP_4) | instskip(NEXT) | instid1(VALU_DEP_2)
	v_mul_lo_u32 v3, v3, s6
	s_and_b32 vcc_lo, exec_lo, s2
	s_delay_alu instid0(VALU_DEP_1)
	v_add3_u32 v2, v2, v4, v3
	v_mov_b32_e32 v3, 0
	s_cbranch_vccnz .LBB148_5
; %bb.4:
	s_delay_alu instid0(VALU_DEP_2) | instskip(NEXT) | instid1(VALU_DEP_1)
	v_lshlrev_b64 v[3:4], 2, v[1:2]
	v_add_co_u32 v3, vcc_lo, s3, v3
	s_delay_alu instid0(VALU_DEP_2)
	v_add_co_ci_u32_e32 v4, vcc_lo, s4, v4, vcc_lo
	global_load_b32 v3, v[3:4], off
	s_waitcnt vmcnt(0)
	v_mul_f32_e32 v3, s13, v3
.LBB148_5:
	s_mov_b32 s9, exec_lo
	s_or_b32 exec_lo, exec_lo, s11
	s_delay_alu instid0(SALU_CYCLE_1)
	s_and_b32 vcc_lo, exec_lo, s5
	s_cbranch_vccnz .LBB148_8
	s_branch .LBB148_17
.LBB148_6:
                                        ; implicit-def: $vgpr3
                                        ; implicit-def: $vgpr1_vgpr2
	s_cbranch_execnz .LBB148_8
	s_branch .LBB148_17
.LBB148_7:
	s_or_b32 exec_lo, exec_lo, s11
	s_delay_alu instid0(SALU_CYCLE_1)
	s_and_b32 vcc_lo, exec_lo, s5
	s_cbranch_vccz .LBB148_17
.LBB148_8:
	s_mov_b32 s2, exec_lo
                                        ; implicit-def: $vgpr3
                                        ; implicit-def: $vgpr1_vgpr2
	v_cmpx_gt_i32_e64 s10, v0
	s_cbranch_execz .LBB148_16
; %bb.9:
	s_load_b32 s5, s[0:1], 0x58
	v_mov_b32_e32 v4, 0
	s_waitcnt lgkmcnt(0)
	s_cmp_ge_i32 s14, s5
	s_cbranch_scc1 .LBB148_12
; %bb.10:
	s_load_b64 s[0:1], s[0:1], 0x48
	v_mad_u64_u32 v[1:2], null, s14, s10, v[0:1]
	s_ashr_i32 s11, s10, 31
	s_mul_hi_u32 s15, s10, s8
	s_mul_i32 s16, s11, s8
	s_mul_i32 s8, s10, s8
	s_add_i32 s15, s15, s16
	s_mul_hi_u32 s17, s8, s5
	s_delay_alu instid0(VALU_DEP_1)
	v_ashrrev_i32_e32 v2, 31, v1
	s_mul_i32 s15, s15, s5
	s_mul_i32 s16, s8, s5
	s_add_i32 s17, s17, s15
	v_mov_b32_e32 v4, 0
	v_lshlrev_b64 v[1:2], 2, v[1:2]
	s_lshl_b64 s[16:17], s[16:17], 2
	s_waitcnt lgkmcnt(0)
	s_add_u32 s0, s0, s16
	s_addc_u32 s1, s1, s17
	s_delay_alu instid0(VALU_DEP_1)
	v_add_co_u32 v1, vcc_lo, s0, v1
	v_add_co_ci_u32_e32 v2, vcc_lo, s1, v2, vcc_lo
	s_lshl_b64 s[0:1], s[10:11], 2
.LBB148_11:                             ; =>This Inner Loop Header: Depth=1
	global_load_b32 v3, v[1:2], off
	v_add_co_u32 v1, vcc_lo, v1, s0
	v_add_co_ci_u32_e32 v2, vcc_lo, s1, v2, vcc_lo
	s_add_i32 s14, s14, 1
	s_delay_alu instid0(SALU_CYCLE_1)
	s_cmp_ge_i32 s14, s5
	s_waitcnt vmcnt(0)
	v_add_f32_e32 v4, v4, v3
	s_cbranch_scc0 .LBB148_11
.LBB148_12:
	v_ashrrev_i32_e32 v1, 31, v0
	v_mul_lo_u32 v5, v0, s7
	v_cmp_eq_f32_e64 s0, s13, 0
	s_delay_alu instid0(VALU_DEP_3) | instskip(NEXT) | instid1(VALU_DEP_2)
	v_mul_lo_u32 v6, v1, s6
	s_and_b32 vcc_lo, exec_lo, s0
	s_mov_b32 s0, 0
	s_cbranch_vccz .LBB148_20
; %bb.13:
	v_mad_u64_u32 v[1:2], null, v0, s6, 0
	v_mul_f32_e32 v3, s12, v4
	s_delay_alu instid0(VALU_DEP_2)
	v_add3_u32 v2, v2, v5, v6
	s_and_not1_b32 vcc_lo, exec_lo, s0
	s_cbranch_vccnz .LBB148_15
.LBB148_14:
	v_mad_u64_u32 v[1:2], null, v0, s6, 0
	s_delay_alu instid0(VALU_DEP_1) | instskip(NEXT) | instid1(VALU_DEP_1)
	v_add3_u32 v2, v2, v5, v6
	v_lshlrev_b64 v[5:6], 2, v[1:2]
	s_delay_alu instid0(VALU_DEP_1) | instskip(NEXT) | instid1(VALU_DEP_2)
	v_add_co_u32 v5, vcc_lo, s3, v5
	v_add_co_ci_u32_e32 v6, vcc_lo, s4, v6, vcc_lo
	global_load_b32 v0, v[5:6], off
	s_waitcnt vmcnt(0)
	v_mul_f32_e32 v3, s13, v0
	s_delay_alu instid0(VALU_DEP_1)
	v_fmac_f32_e32 v3, s12, v4
.LBB148_15:
	s_or_b32 s9, s9, exec_lo
.LBB148_16:
	s_or_b32 exec_lo, exec_lo, s2
.LBB148_17:
	s_and_saveexec_b32 s0, s9
	s_cbranch_execz .LBB148_19
; %bb.18:
	v_lshlrev_b64 v[0:1], 2, v[1:2]
	s_delay_alu instid0(VALU_DEP_1) | instskip(NEXT) | instid1(VALU_DEP_2)
	v_add_co_u32 v0, vcc_lo, s3, v0
	v_add_co_ci_u32_e32 v1, vcc_lo, s4, v1, vcc_lo
	global_store_b32 v[0:1], v3, off
.LBB148_19:
	s_nop 0
	s_sendmsg sendmsg(MSG_DEALLOC_VGPRS)
	s_endpgm
.LBB148_20:
                                        ; implicit-def: $vgpr3
                                        ; implicit-def: $vgpr1_vgpr2
	s_branch .LBB148_14
	.section	.rodata,"a",@progbits
	.p2align	6, 0x0
	.amdhsa_kernel _ZL36rocblas_hemvn_kernel_lower_block_sumILi64ElPKfPKPffEviT1_lS5_lT2_lT0_lPT3_i
		.amdhsa_group_segment_fixed_size 0
		.amdhsa_private_segment_fixed_size 0
		.amdhsa_kernarg_size 344
		.amdhsa_user_sgpr_count 14
		.amdhsa_user_sgpr_dispatch_ptr 0
		.amdhsa_user_sgpr_queue_ptr 0
		.amdhsa_user_sgpr_kernarg_segment_ptr 1
		.amdhsa_user_sgpr_dispatch_id 0
		.amdhsa_user_sgpr_private_segment_size 0
		.amdhsa_wavefront_size32 1
		.amdhsa_uses_dynamic_stack 0
		.amdhsa_enable_private_segment 0
		.amdhsa_system_sgpr_workgroup_id_x 1
		.amdhsa_system_sgpr_workgroup_id_y 0
		.amdhsa_system_sgpr_workgroup_id_z 1
		.amdhsa_system_sgpr_workgroup_info 0
		.amdhsa_system_vgpr_workitem_id 0
		.amdhsa_next_free_vgpr 7
		.amdhsa_next_free_sgpr 24
		.amdhsa_reserve_vcc 1
		.amdhsa_float_round_mode_32 0
		.amdhsa_float_round_mode_16_64 0
		.amdhsa_float_denorm_mode_32 3
		.amdhsa_float_denorm_mode_16_64 3
		.amdhsa_dx10_clamp 1
		.amdhsa_ieee_mode 1
		.amdhsa_fp16_overflow 0
		.amdhsa_workgroup_processor_mode 1
		.amdhsa_memory_ordered 1
		.amdhsa_forward_progress 0
		.amdhsa_shared_vgpr_count 0
		.amdhsa_exception_fp_ieee_invalid_op 0
		.amdhsa_exception_fp_denorm_src 0
		.amdhsa_exception_fp_ieee_div_zero 0
		.amdhsa_exception_fp_ieee_overflow 0
		.amdhsa_exception_fp_ieee_underflow 0
		.amdhsa_exception_fp_ieee_inexact 0
		.amdhsa_exception_int_div_zero 0
	.end_amdhsa_kernel
	.section	.text._ZL36rocblas_hemvn_kernel_lower_block_sumILi64ElPKfPKPffEviT1_lS5_lT2_lT0_lPT3_i,"axG",@progbits,_ZL36rocblas_hemvn_kernel_lower_block_sumILi64ElPKfPKPffEviT1_lS5_lT2_lT0_lPT3_i,comdat
.Lfunc_end148:
	.size	_ZL36rocblas_hemvn_kernel_lower_block_sumILi64ElPKfPKPffEviT1_lS5_lT2_lT0_lPT3_i, .Lfunc_end148-_ZL36rocblas_hemvn_kernel_lower_block_sumILi64ElPKfPKPffEviT1_lS5_lT2_lT0_lPT3_i
                                        ; -- End function
	.section	.AMDGPU.csdata,"",@progbits
; Kernel info:
; codeLenInByte = 808
; NumSgprs: 26
; NumVgprs: 7
; ScratchSize: 0
; MemoryBound: 0
; FloatMode: 240
; IeeeMode: 1
; LDSByteSize: 0 bytes/workgroup (compile time only)
; SGPRBlocks: 3
; VGPRBlocks: 0
; NumSGPRsForWavesPerEU: 26
; NumVGPRsForWavesPerEU: 7
; Occupancy: 16
; WaveLimiterHint : 1
; COMPUTE_PGM_RSRC2:SCRATCH_EN: 0
; COMPUTE_PGM_RSRC2:USER_SGPR: 14
; COMPUTE_PGM_RSRC2:TRAP_HANDLER: 0
; COMPUTE_PGM_RSRC2:TGID_X_EN: 1
; COMPUTE_PGM_RSRC2:TGID_Y_EN: 0
; COMPUTE_PGM_RSRC2:TGID_Z_EN: 1
; COMPUTE_PGM_RSRC2:TIDIG_COMP_CNT: 0
	.section	.text._ZL26rocblas_hemvn_kernel_lowerILb0ELi64ELi4ELi33ELi32ELi16EiPKfPKS1_PfEviT6_lT7_lT5_lS6_lS7_lS5_lT8_i,"axG",@progbits,_ZL26rocblas_hemvn_kernel_lowerILb0ELi64ELi4ELi33ELi32ELi16EiPKfPKS1_PfEviT6_lT7_lT5_lS6_lS7_lS5_lT8_i,comdat
	.globl	_ZL26rocblas_hemvn_kernel_lowerILb0ELi64ELi4ELi33ELi32ELi16EiPKfPKS1_PfEviT6_lT7_lT5_lS6_lS7_lS5_lT8_i ; -- Begin function _ZL26rocblas_hemvn_kernel_lowerILb0ELi64ELi4ELi33ELi32ELi16EiPKfPKS1_PfEviT6_lT7_lT5_lS6_lS7_lS5_lT8_i
	.p2align	8
	.type	_ZL26rocblas_hemvn_kernel_lowerILb0ELi64ELi4ELi33ELi32ELi16EiPKfPKS1_PfEviT6_lT7_lT5_lS6_lS7_lS5_lT8_i,@function
_ZL26rocblas_hemvn_kernel_lowerILb0ELi64ELi4ELi33ELi32ELi16EiPKfPKS1_PfEviT6_lT7_lT5_lS6_lS7_lS5_lT8_i: ; @_ZL26rocblas_hemvn_kernel_lowerILb0ELi64ELi4ELi33ELi32ELi16EiPKfPKS1_PfEviT6_lT7_lT5_lS6_lS7_lS5_lT8_i
; %bb.0:
	s_load_b64 s[4:5], s[0:1], 0x84
	s_add_u32 s2, s0, 0x78
	s_addc_u32 s3, s1, 0
	s_waitcnt lgkmcnt(0)
	s_lshr_b32 s6, s4, 16
	s_and_b32 s4, s4, 0xffff
	s_and_b32 s5, s5, 0xffff
	s_mul_i32 s4, s6, s4
	s_delay_alu instid0(SALU_CYCLE_1) | instskip(NEXT) | instid1(SALU_CYCLE_1)
	s_mul_i32 s4, s4, s5
	s_cmpk_lg_i32 s4, 0x100
	s_cbranch_scc1 .LBB149_80
; %bb.1:
	s_clause 0x1
	s_load_b256 s[4:11], s[0:1], 0x8
	s_load_b128 s[16:19], s[0:1], 0x58
	s_mov_b32 s12, s15
	s_waitcnt lgkmcnt(0)
	s_mul_i32 s7, s15, s7
	s_mul_hi_u32 s13, s15, s6
	s_mul_i32 s6, s15, s6
	s_add_i32 s7, s13, s7
	s_mul_i32 s13, s15, s19
	s_lshl_b64 s[6:7], s[6:7], 2
	s_mul_hi_u32 s15, s15, s18
	s_add_u32 s4, s4, s6
	s_addc_u32 s5, s5, s7
	s_add_i32 s7, s15, s13
	s_mul_i32 s6, s12, s18
	s_mov_b32 s13, 0
	s_lshl_b64 s[6:7], s[6:7], 2
	s_delay_alu instid0(SALU_CYCLE_1)
	s_add_u32 s6, s16, s6
	s_addc_u32 s7, s17, s7
	s_load_b32 s4, s[4:5], 0x0
	s_load_b32 s6, s[6:7], 0x0
	s_waitcnt lgkmcnt(0)
	v_cmp_eq_f32_e64 s5, s4, 0
	v_cmp_eq_f32_e64 s6, s6, 1.0
	s_delay_alu instid0(VALU_DEP_1) | instskip(NEXT) | instid1(SALU_CYCLE_1)
	s_and_b32 s6, s5, s6
	s_and_b32 vcc_lo, exec_lo, s6
	s_cbranch_vccnz .LBB149_80
; %bb.2:
	v_cmp_neq_f32_e64 s15, s4, 0
	s_mov_b64 s[6:7], 0
	s_and_b32 vcc_lo, exec_lo, s5
	s_mov_b64 s[4:5], 0
	s_cbranch_vccnz .LBB149_4
; %bb.3:
	s_lshl_b64 s[4:5], s[12:13], 3
	s_delay_alu instid0(SALU_CYCLE_1)
	s_add_u32 s4, s8, s4
	s_addc_u32 s5, s9, s5
	s_lshl_b64 s[8:9], s[10:11], 2
	s_load_b64 s[4:5], s[4:5], 0x0
	s_waitcnt lgkmcnt(0)
	s_add_u32 s4, s4, s8
	s_addc_u32 s5, s5, s9
.LBB149_4:
	v_cndmask_b32_e64 v1, 0, 1, s15
	s_and_not1_b32 vcc_lo, exec_lo, s15
	s_cbranch_vccnz .LBB149_6
; %bb.5:
	s_load_b128 s[8:11], s[0:1], 0x38
	s_lshl_b64 s[6:7], s[12:13], 3
	s_waitcnt lgkmcnt(0)
	s_add_u32 s6, s8, s6
	s_addc_u32 s7, s9, s7
	s_lshl_b64 s[8:9], s[10:11], 2
	s_load_b64 s[6:7], s[6:7], 0x0
	s_waitcnt lgkmcnt(0)
	s_add_u32 s6, s6, s8
	s_addc_u32 s7, s7, s9
.LBB149_6:
	s_delay_alu instid0(VALU_DEP_1)
	v_cmp_ne_u32_e32 vcc_lo, 1, v1
	s_cbranch_vccnz .LBB149_80
; %bb.7:
	s_clause 0x1
	s_load_b32 s13, s[0:1], 0x48
	s_load_b32 s15, s[0:1], 0x0
	v_and_b32_e32 v17, 0x3ff, v0
	s_lshl_b32 s16, s14, 6
	s_load_b32 s26, s[2:3], 0x0
	s_load_b64 s[18:19], s[0:1], 0x68
	v_bfe_u32 v15, v0, 10, 10
	v_add_nc_u32_e32 v4, s16, v17
	s_waitcnt lgkmcnt(0)
	s_delay_alu instid0(VALU_DEP_1) | instskip(SKIP_1) | instid1(SALU_CYCLE_1)
	v_mul_lo_u32 v1, v4, s13
	s_ashr_i32 s27, s15, 31
	s_lshr_b32 s2, s27, 26
	s_add_i32 s8, s26, -1
	s_add_i32 s3, s15, s2
	v_cmp_ne_u32_e64 s2, 0, v15
	s_and_not1_b32 s3, s3, 63
	s_delay_alu instid0(VALU_DEP_2)
	v_ashrrev_i32_e32 v2, 31, v1
	s_sub_i32 s9, s15, s3
	v_cmp_eq_u32_e64 s3, 0, v15
	s_cmp_eq_u32 s14, s8
	s_cselect_b32 s10, s9, 0
	v_lshlrev_b64 v[0:1], 2, v[1:2]
	s_delay_alu instid0(VALU_DEP_1) | instskip(NEXT) | instid1(VALU_DEP_2)
	v_add_co_u32 v5, vcc_lo, s6, v0
	v_add_co_ci_u32_e32 v6, vcc_lo, s7, v1, vcc_lo
	s_and_saveexec_b32 s6, s3
	s_cbranch_execz .LBB149_11
; %bb.8:
	v_cmp_gt_i32_e32 vcc_lo, s10, v17
	s_cmp_eq_u32 s10, 0
	v_mov_b32_e32 v0, 0
	s_cselect_b32 s7, -1, 0
	s_delay_alu instid0(SALU_CYCLE_1) | instskip(NEXT) | instid1(SALU_CYCLE_1)
	s_or_b32 s8, s7, vcc_lo
	s_and_saveexec_b32 s7, s8
	s_cbranch_execz .LBB149_10
; %bb.9:
	flat_load_b32 v0, v[5:6]
.LBB149_10:
	s_or_b32 exec_lo, exec_lo, s7
	v_lshlrev_b32_e32 v1, 2, v17
	s_waitcnt vmcnt(0) lgkmcnt(0)
	ds_store_b32 v1, v0 offset:4544
.LBB149_11:
	s_or_b32 exec_lo, exec_lo, s6
	s_load_b32 s8, s[0:1], 0x28
	v_lshl_add_u32 v18, v15, 6, v17
	v_and_b32_e32 v0, 31, v17
	s_ashr_i32 s17, s16, 31
	s_delay_alu instid0(SALU_CYCLE_1) | instskip(NEXT) | instid1(VALU_DEP_2)
	s_lshl_b64 s[0:1], s[16:17], 2
	v_lshrrev_b32_e32 v3, 5, v18
	s_add_u32 s4, s4, s0
	s_addc_u32 s5, s5, s1
	s_waitcnt lgkmcnt(0)
	s_delay_alu instid0(VALU_DEP_1) | instskip(SKIP_1) | instid1(SALU_CYCLE_1)
	v_mad_u64_u32 v[1:2], null, v3, s8, v[0:1]
	s_mul_i32 s0, s16, s8
	s_ashr_i32 s1, s0, 31
	s_delay_alu instid0(SALU_CYCLE_1) | instskip(NEXT) | instid1(SALU_CYCLE_1)
	s_lshl_b64 s[20:21], s[0:1], 2
	s_add_u32 s0, s20, s4
	s_delay_alu instid0(VALU_DEP_1) | instskip(SKIP_3) | instid1(VALU_DEP_1)
	v_ashrrev_i32_e32 v2, 31, v1
	s_addc_u32 s1, s21, s5
	s_cmp_lg_u32 s10, 0
	s_cselect_b32 s17, -1, 0
	v_lshlrev_b64 v[7:8], 2, v[1:2]
	s_cmp_eq_u32 s10, 0
	s_cselect_b32 s7, -1, 0
	s_delay_alu instid0(VALU_DEP_1) | instskip(NEXT) | instid1(VALU_DEP_2)
	v_add_co_u32 v1, vcc_lo, s0, v7
	v_add_co_ci_u32_e32 v2, vcc_lo, s1, v8, vcc_lo
	s_and_b32 vcc_lo, exec_lo, s17
	s_mov_b32 s0, 0
	s_cbranch_vccnz .LBB149_13
; %bb.12:
	flat_load_b32 v11, v[1:2]
	s_lshl_b32 s4, s8, 3
	v_mul_u32_u24_e32 v9, 33, v3
	s_ashr_i32 s5, s4, 31
	s_ashr_i32 s9, s8, 31
	s_lshl_b64 s[4:5], s[4:5], 2
	s_delay_alu instid0(VALU_DEP_1)
	v_add_lshl_u32 v12, v9, v0, 2
	v_add_co_u32 v9, vcc_lo, v1, s4
	v_add_co_ci_u32_e32 v10, vcc_lo, s5, v2, vcc_lo
	s_lshl_b64 s[4:5], s[8:9], 5
	s_waitcnt vmcnt(0) lgkmcnt(0)
	ds_store_b32 v12, v11
	flat_load_b32 v11, v[9:10]
	v_add_co_u32 v9, vcc_lo, v9, s4
	v_add_co_ci_u32_e32 v10, vcc_lo, s5, v10, vcc_lo
	s_waitcnt vmcnt(0) lgkmcnt(0)
	ds_store_b32 v12, v11 offset:1056
	flat_load_b32 v11, v[9:10]
	v_add_co_u32 v9, vcc_lo, v9, s4
	v_add_co_ci_u32_e32 v10, vcc_lo, s5, v10, vcc_lo
	s_waitcnt vmcnt(0) lgkmcnt(0)
	ds_store_b32 v12, v11 offset:2112
	flat_load_b32 v9, v[9:10]
	s_waitcnt vmcnt(0) lgkmcnt(0)
	ds_store_b32 v12, v9 offset:3168
	s_and_not1_b32 vcc_lo, exec_lo, s0
	s_cbranch_vccz .LBB149_14
	s_branch .LBB149_23
.LBB149_13:
.LBB149_14:
	v_dual_mov_b32 v14, 0 :: v_dual_lshlrev_b32 v11, 2, v0
	s_ashr_i32 s11, s10, 31
	v_mov_b32_e32 v13, 0
	s_lshl_b64 s[4:5], s[10:11], 2
	s_delay_alu instid0(VALU_DEP_2) | instskip(SKIP_2) | instid1(VALU_DEP_2)
	v_sub_co_u32 v9, vcc_lo, v1, v11
	v_subrev_co_ci_u32_e32 v10, vcc_lo, 0, v2, vcc_lo
	s_mov_b32 s1, exec_lo
	v_add_co_u32 v9, vcc_lo, v9, s4
	s_delay_alu instid0(VALU_DEP_2) | instskip(NEXT) | instid1(VALU_DEP_2)
	v_add_co_ci_u32_e32 v10, vcc_lo, s5, v10, vcc_lo
	v_add_co_u32 v9, vcc_lo, v9, -4
	s_delay_alu instid0(VALU_DEP_2) | instskip(SKIP_1) | instid1(VALU_DEP_2)
	v_add_co_ci_u32_e32 v10, vcc_lo, -1, v10, vcc_lo
	v_cmp_gt_i32_e32 vcc_lo, s10, v0
	v_dual_cndmask_b32 v10, v10, v2 :: v_dual_cndmask_b32 v9, v9, v1
	v_cmpx_gt_i32_e64 s10, v3
	s_cbranch_execz .LBB149_16
; %bb.15:
	flat_load_b32 v13, v[9:10]
.LBB149_16:
	s_or_b32 exec_lo, exec_lo, s1
	v_mul_u32_u24_e32 v12, 33, v3
	v_add_nc_u32_e32 v16, 8, v3
	s_mov_b32 s1, exec_lo
	s_delay_alu instid0(VALU_DEP_2)
	v_add_lshl_u32 v12, v12, v0, 2
	s_waitcnt vmcnt(0) lgkmcnt(0)
	ds_store_b32 v12, v13
	v_cmpx_gt_i32_e64 s10, v16
	s_cbranch_execz .LBB149_18
; %bb.17:
	s_lshl_b32 s22, s8, 3
	s_delay_alu instid0(SALU_CYCLE_1) | instskip(NEXT) | instid1(SALU_CYCLE_1)
	s_ashr_i32 s23, s22, 31
	s_lshl_b64 s[22:23], s[22:23], 2
	s_delay_alu instid0(SALU_CYCLE_1) | instskip(NEXT) | instid1(VALU_DEP_1)
	v_add_co_u32 v13, s0, v9, s22
	v_add_co_ci_u32_e64 v14, s0, s23, v10, s0
	flat_load_b32 v14, v[13:14]
.LBB149_18:
	s_or_b32 exec_lo, exec_lo, s1
	v_dual_mov_b32 v13, 0 :: v_dual_add_nc_u32 v16, 16, v3
	s_waitcnt vmcnt(0) lgkmcnt(0)
	ds_store_b32 v12, v14 offset:1056
	v_cmp_gt_i32_e64 s0, s10, v16
	v_mov_b32_e32 v16, 0
	s_delay_alu instid0(VALU_DEP_2)
	s_and_saveexec_b32 s1, s0
	s_cbranch_execz .LBB149_20
; %bb.19:
	s_lshl_b32 s22, s8, 4
	s_delay_alu instid0(SALU_CYCLE_1) | instskip(NEXT) | instid1(SALU_CYCLE_1)
	s_ashr_i32 s23, s22, 31
	s_lshl_b64 s[22:23], s[22:23], 2
	s_delay_alu instid0(SALU_CYCLE_1) | instskip(NEXT) | instid1(VALU_DEP_1)
	v_add_co_u32 v19, s0, v9, s22
	v_add_co_ci_u32_e64 v20, s0, s23, v10, s0
	flat_load_b32 v16, v[19:20]
.LBB149_20:
	s_or_b32 exec_lo, exec_lo, s1
	v_add_nc_u32_e32 v14, 24, v3
	s_mov_b32 s1, exec_lo
	s_waitcnt vmcnt(0) lgkmcnt(0)
	ds_store_b32 v12, v16 offset:2112
	v_cmpx_gt_i32_e64 s10, v14
	s_cbranch_execz .LBB149_22
; %bb.21:
	s_mul_i32 s22, s8, 24
	s_delay_alu instid0(SALU_CYCLE_1) | instskip(NEXT) | instid1(SALU_CYCLE_1)
	s_ashr_i32 s23, s22, 31
	s_lshl_b64 s[22:23], s[22:23], 2
	s_delay_alu instid0(SALU_CYCLE_1) | instskip(NEXT) | instid1(VALU_DEP_1)
	v_add_co_u32 v13, s0, v9, s22
	v_add_co_ci_u32_e64 v14, s0, s23, v10, s0
	flat_load_b32 v13, v[13:14]
.LBB149_22:
	s_or_b32 exec_lo, exec_lo, s1
	v_add_co_u32 v9, s0, v9, v11
	s_delay_alu instid0(VALU_DEP_1) | instskip(SKIP_3) | instid1(VALU_DEP_1)
	v_add_co_ci_u32_e64 v10, s0, 0, v10, s0
	s_waitcnt vmcnt(0) lgkmcnt(0)
	ds_store_b32 v12, v13 offset:3168
	v_sub_co_u32 v9, s0, v9, s4
	v_subrev_co_ci_u32_e64 v10, s0, s5, v10, s0
	s_delay_alu instid0(VALU_DEP_2) | instskip(NEXT) | instid1(VALU_DEP_1)
	v_add_co_u32 v9, s0, v9, 4
	v_add_co_ci_u32_e64 v10, s0, 0, v10, s0
	s_delay_alu instid0(VALU_DEP_1)
	v_dual_cndmask_b32 v1, v9, v1 :: v_dual_cndmask_b32 v2, v10, v2
.LBB149_23:
	v_lshlrev_b32_e32 v11, 2, v3
	v_mul_u32_u24_e32 v19, 33, v0
	v_mul_u32_u24_e32 v10, 0x84, v3
	s_waitcnt lgkmcnt(0)
	s_barrier
	v_cmp_lt_u32_e64 s1, v11, v0
	v_add_lshl_u32 v13, v11, v19, 2
	buffer_gl0_inv
	s_and_saveexec_b32 s0, s1
	s_cbranch_execz .LBB149_25
; %bb.24:
	v_add_lshl_u32 v9, v10, v0, 2
	ds_load_b32 v9, v9
	s_waitcnt lgkmcnt(0)
	ds_store_b32 v13, v9
.LBB149_25:
	s_or_b32 exec_lo, exec_lo, s0
	v_or_b32_e32 v9, 1, v11
	s_delay_alu instid0(VALU_DEP_1) | instskip(NEXT) | instid1(VALU_DEP_1)
	v_cmp_lt_u32_e64 s4, v9, v0
	s_and_saveexec_b32 s0, s4
	s_cbranch_execz .LBB149_27
; %bb.26:
	v_mul_u32_u24_e32 v9, 33, v9
	s_delay_alu instid0(VALU_DEP_1)
	v_add_lshl_u32 v9, v9, v0, 2
	ds_load_b32 v9, v9
	s_waitcnt lgkmcnt(0)
	ds_store_b32 v13, v9 offset:4
.LBB149_27:
	s_or_b32 exec_lo, exec_lo, s0
	v_or_b32_e32 v9, 2, v11
	s_delay_alu instid0(VALU_DEP_1) | instskip(NEXT) | instid1(VALU_DEP_1)
	v_cmp_lt_u32_e64 s5, v9, v0
	s_and_saveexec_b32 s0, s5
	s_cbranch_execz .LBB149_29
; %bb.28:
	v_mul_u32_u24_e32 v9, 33, v9
	s_delay_alu instid0(VALU_DEP_1)
	v_add_lshl_u32 v9, v9, v0, 2
	ds_load_b32 v9, v9
	s_waitcnt lgkmcnt(0)
	ds_store_b32 v13, v9 offset:8
.LBB149_29:
	s_or_b32 exec_lo, exec_lo, s0
	v_or_b32_e32 v9, 3, v11
	s_delay_alu instid0(VALU_DEP_1) | instskip(SKIP_1) | instid1(VALU_DEP_2)
	v_mad_u32_u24 v12, v9, 33, v0
	v_cmp_lt_u32_e64 s6, v9, v0
	v_lshlrev_b32_e32 v9, 2, v12
	s_delay_alu instid0(VALU_DEP_2)
	s_and_saveexec_b32 s0, s6
	s_cbranch_execz .LBB149_31
; %bb.30:
	ds_load_b32 v12, v9
	s_waitcnt lgkmcnt(0)
	ds_store_b32 v13, v12 offset:12
.LBB149_31:
	s_or_b32 exec_lo, exec_lo, s0
	v_add_lshl_u32 v10, v10, v0, 2
	v_lshlrev_b32_e32 v12, 2, v11
	v_add_nc_u32_e32 v14, 0xfffffef8, v9
	s_waitcnt lgkmcnt(0)
	s_barrier
	buffer_gl0_inv
	ds_load_b32 v16, v10
	ds_load_b128 v[20:23], v12 offset:4544
	ds_load_2addr_b32 v[24:25], v14 offset1:33
	ds_load_b32 v26, v9
	v_cmp_gt_u32_e64 s0, 32, v18
	s_waitcnt lgkmcnt(0)
	s_barrier
	buffer_gl0_inv
	v_fma_f32 v27, v16, v20, 0
	v_add_lshl_u32 v20, v3, v19, 2
	s_delay_alu instid0(VALU_DEP_2) | instskip(NEXT) | instid1(VALU_DEP_1)
	v_fmac_f32_e32 v27, v24, v21
	v_dual_fmac_f32 v27, v25, v22 :: v_dual_mov_b32 v16, 0
	s_delay_alu instid0(VALU_DEP_1)
	v_fmac_f32_e32 v27, v26, v23
	ds_store_b32 v20, v27
	s_waitcnt lgkmcnt(0)
	s_barrier
	buffer_gl0_inv
	s_and_saveexec_b32 s9, s0
	s_cbranch_execz .LBB149_33
; %bb.32:
	v_lshlrev_b32_e32 v16, 2, v19
	ds_load_2addr_b32 v[21:22], v16 offset1:1
	ds_load_2addr_b32 v[23:24], v16 offset0:2 offset1:3
	ds_load_2addr_b32 v[25:26], v16 offset0:4 offset1:5
	;; [unrolled: 1-line block ×3, first 2 shown]
	s_waitcnt lgkmcnt(3)
	v_add_f32_e32 v16, v21, v22
	s_waitcnt lgkmcnt(2)
	s_delay_alu instid0(VALU_DEP_1) | instskip(NEXT) | instid1(VALU_DEP_1)
	v_add_f32_e32 v16, v16, v23
	v_add_f32_e32 v16, v16, v24
	s_waitcnt lgkmcnt(1)
	s_delay_alu instid0(VALU_DEP_1) | instskip(NEXT) | instid1(VALU_DEP_1)
	v_add_f32_e32 v16, v16, v25
	;; [unrolled: 4-line block ×3, first 2 shown]
	v_add_f32_e32 v16, v16, v28
.LBB149_33:
	s_or_b32 exec_lo, exec_lo, s9
	s_lshl_b32 s22, s8, 5
	v_cndmask_b32_e64 v21, 0, 1, s7
	s_ashr_i32 s23, s22, 31
	s_delay_alu instid0(SALU_CYCLE_1)
	s_lshl_b64 s[22:23], s[22:23], 2
	s_barrier
	v_add_co_u32 v1, vcc_lo, v1, s22
	v_add_co_ci_u32_e32 v2, vcc_lo, s23, v2, vcc_lo
	buffer_gl0_inv
	v_add_co_u32 v22, vcc_lo, 0x80, v1
	v_add_co_ci_u32_e32 v23, vcc_lo, 0, v2, vcc_lo
	s_and_not1_b32 vcc_lo, exec_lo, s7
	s_cbranch_vccnz .LBB149_35
; %bb.34:
	flat_load_b32 v24, v[1:2] offset:128
	s_lshl_b32 s24, s8, 3
	v_mul_u32_u24_e32 v25, 33, v3
	s_ashr_i32 s25, s24, 31
	s_ashr_i32 s9, s8, 31
	s_lshl_b64 s[24:25], s[24:25], 2
	s_delay_alu instid0(SALU_CYCLE_1)
	v_add_co_u32 v1, vcc_lo, v1, s24
	v_add_lshl_u32 v25, v25, v0, 2
	v_add_co_ci_u32_e32 v2, vcc_lo, s25, v2, vcc_lo
	s_lshl_b64 s[24:25], s[8:9], 5
	s_waitcnt vmcnt(0) lgkmcnt(0)
	ds_store_b32 v25, v24
	flat_load_b32 v24, v[1:2] offset:128
	v_add_co_u32 v1, vcc_lo, v1, s24
	v_add_co_ci_u32_e32 v2, vcc_lo, s25, v2, vcc_lo
	s_waitcnt vmcnt(0) lgkmcnt(0)
	ds_store_b32 v25, v24 offset:1056
	flat_load_b32 v24, v[1:2] offset:128
	v_add_co_u32 v1, vcc_lo, v1, s24
	v_add_co_ci_u32_e32 v2, vcc_lo, s25, v2, vcc_lo
	s_waitcnt vmcnt(0) lgkmcnt(0)
	ds_store_b32 v25, v24 offset:2112
	flat_load_b32 v1, v[1:2] offset:128
	s_waitcnt vmcnt(0) lgkmcnt(0)
	ds_store_b32 v25, v1 offset:3168
	s_cbranch_execz .LBB149_36
	s_branch .LBB149_45
.LBB149_35:
.LBB149_36:
	v_or_b32_e32 v1, 32, v0
	s_ashr_i32 s11, s10, 31
	v_mov_b32_e32 v26, 0
	s_lshl_b64 s[24:25], s[10:11], 2
	s_sub_i32 s9, s10, 32
	v_lshlrev_b32_e32 v2, 2, v1
	s_mov_b32 s11, exec_lo
	s_delay_alu instid0(VALU_DEP_1) | instskip(SKIP_1) | instid1(VALU_DEP_2)
	v_sub_co_u32 v2, vcc_lo, v22, v2
	v_subrev_co_ci_u32_e32 v24, vcc_lo, 0, v23, vcc_lo
	v_add_co_u32 v2, vcc_lo, v2, s24
	s_delay_alu instid0(VALU_DEP_2) | instskip(NEXT) | instid1(VALU_DEP_2)
	v_add_co_ci_u32_e32 v24, vcc_lo, s25, v24, vcc_lo
	v_add_co_u32 v25, vcc_lo, v2, -4
	s_delay_alu instid0(VALU_DEP_2) | instskip(SKIP_1) | instid1(VALU_DEP_2)
	v_add_co_ci_u32_e32 v2, vcc_lo, -1, v24, vcc_lo
	v_cmp_gt_i32_e32 vcc_lo, s10, v1
	v_dual_cndmask_b32 v1, v25, v22 :: v_dual_cndmask_b32 v2, v2, v23
	v_mov_b32_e32 v25, 0
	v_cmpx_gt_i32_e64 s9, v3
	s_cbranch_execz .LBB149_38
; %bb.37:
	flat_load_b32 v25, v[1:2]
.LBB149_38:
	s_or_b32 exec_lo, exec_lo, s11
	v_mul_u32_u24_e32 v24, 33, v3
	v_add_nc_u32_e32 v27, 8, v3
	s_mov_b32 s11, exec_lo
	s_delay_alu instid0(VALU_DEP_2)
	v_add_lshl_u32 v24, v24, v0, 2
	s_waitcnt vmcnt(0) lgkmcnt(0)
	ds_store_b32 v24, v25
	v_cmpx_gt_i32_e64 s9, v27
	s_cbranch_execz .LBB149_40
; %bb.39:
	s_lshl_b32 s28, s8, 3
	s_delay_alu instid0(SALU_CYCLE_1) | instskip(NEXT) | instid1(SALU_CYCLE_1)
	s_ashr_i32 s29, s28, 31
	s_lshl_b64 s[28:29], s[28:29], 2
	s_delay_alu instid0(SALU_CYCLE_1) | instskip(NEXT) | instid1(VALU_DEP_1)
	v_add_co_u32 v25, s7, v1, s28
	v_add_co_ci_u32_e64 v26, s7, s29, v2, s7
	flat_load_b32 v26, v[25:26]
.LBB149_40:
	s_or_b32 exec_lo, exec_lo, s11
	v_add_nc_u32_e32 v27, 16, v3
	v_mov_b32_e32 v25, 0
	s_waitcnt vmcnt(0) lgkmcnt(0)
	ds_store_b32 v24, v26 offset:1056
	v_cmp_gt_i32_e64 s7, s9, v27
	v_mov_b32_e32 v27, 0
	s_delay_alu instid0(VALU_DEP_2)
	s_and_saveexec_b32 s11, s7
	s_cbranch_execz .LBB149_42
; %bb.41:
	s_lshl_b32 s28, s8, 4
	s_delay_alu instid0(SALU_CYCLE_1) | instskip(NEXT) | instid1(SALU_CYCLE_1)
	s_ashr_i32 s29, s28, 31
	s_lshl_b64 s[28:29], s[28:29], 2
	s_delay_alu instid0(SALU_CYCLE_1) | instskip(NEXT) | instid1(VALU_DEP_1)
	v_add_co_u32 v26, s7, v1, s28
	v_add_co_ci_u32_e64 v27, s7, s29, v2, s7
	flat_load_b32 v27, v[26:27]
.LBB149_42:
	s_or_b32 exec_lo, exec_lo, s11
	v_add_nc_u32_e32 v26, 24, v3
	s_waitcnt vmcnt(0) lgkmcnt(0)
	ds_store_b32 v24, v27 offset:2112
	v_cmp_gt_i32_e64 s7, s9, v26
	s_delay_alu instid0(VALU_DEP_1)
	s_and_saveexec_b32 s9, s7
	s_cbranch_execz .LBB149_44
; %bb.43:
	s_mul_i32 s28, s8, 24
	s_delay_alu instid0(SALU_CYCLE_1) | instskip(NEXT) | instid1(SALU_CYCLE_1)
	s_ashr_i32 s29, s28, 31
	s_lshl_b64 s[28:29], s[28:29], 2
	s_delay_alu instid0(SALU_CYCLE_1) | instskip(NEXT) | instid1(VALU_DEP_1)
	v_add_co_u32 v25, s7, v1, s28
	v_add_co_ci_u32_e64 v26, s7, s29, v2, s7
	flat_load_b32 v25, v[25:26]
.LBB149_44:
	s_or_b32 exec_lo, exec_lo, s9
	v_lshlrev_b32_e32 v26, 2, v0
	s_waitcnt vmcnt(0) lgkmcnt(0)
	ds_store_b32 v24, v25 offset:3168
	v_add_co_u32 v1, s7, v1, v26
	s_delay_alu instid0(VALU_DEP_1) | instskip(NEXT) | instid1(VALU_DEP_2)
	v_add_co_ci_u32_e64 v2, s7, 0, v2, s7
	v_sub_co_u32 v1, s7, v1, s24
	s_delay_alu instid0(VALU_DEP_1) | instskip(NEXT) | instid1(VALU_DEP_2)
	v_subrev_co_ci_u32_e64 v2, s7, s25, v2, s7
	v_add_co_u32 v1, s7, 0x84, v1
	s_delay_alu instid0(VALU_DEP_1) | instskip(NEXT) | instid1(VALU_DEP_1)
	v_add_co_ci_u32_e64 v2, s7, 0, v2, s7
	v_dual_cndmask_b32 v22, v1, v22 :: v_dual_cndmask_b32 v23, v2, v23
.LBB149_45:
	v_add_nc_u32_e32 v12, 0x11c0, v12
	s_waitcnt lgkmcnt(0)
	s_barrier
	buffer_gl0_inv
	s_and_saveexec_b32 s7, s1
	s_cbranch_execnz .LBB149_54
; %bb.46:
	s_or_b32 exec_lo, exec_lo, s7
	s_and_saveexec_b32 s1, s4
	s_cbranch_execnz .LBB149_55
.LBB149_47:
	s_or_b32 exec_lo, exec_lo, s1
	s_and_saveexec_b32 s1, s5
	s_cbranch_execnz .LBB149_56
.LBB149_48:
	s_or_b32 exec_lo, exec_lo, s1
	s_and_saveexec_b32 s1, s6
	s_cbranch_execz .LBB149_50
.LBB149_49:
	ds_load_b32 v1, v9
	s_waitcnt lgkmcnt(0)
	ds_store_b32 v13, v1 offset:12
.LBB149_50:
	s_or_b32 exec_lo, exec_lo, s1
	s_waitcnt lgkmcnt(0)
	s_barrier
	buffer_gl0_inv
	ds_load_b32 v10, v10
	ds_load_b128 v[24:27], v12 offset:128
	ds_load_2addr_b32 v[1:2], v14 offset1:33
	ds_load_b32 v9, v9
	v_cmp_eq_u32_e64 s1, 1, v3
	s_waitcnt lgkmcnt(0)
	s_barrier
	buffer_gl0_inv
	v_fma_f32 v10, v10, v24, 0
	s_delay_alu instid0(VALU_DEP_1) | instskip(NEXT) | instid1(VALU_DEP_1)
	v_fmac_f32_e32 v10, v1, v25
	v_fmac_f32_e32 v10, v2, v26
	s_delay_alu instid0(VALU_DEP_1)
	v_fmac_f32_e32 v10, v9, v27
	ds_store_b32 v20, v10
	s_waitcnt lgkmcnt(0)
	s_barrier
	buffer_gl0_inv
	s_and_saveexec_b32 s4, s1
	s_cbranch_execz .LBB149_52
; %bb.51:
	v_lshlrev_b32_e32 v14, 2, v19
	ds_load_2addr_b32 v[1:2], v14 offset1:1
	ds_load_2addr_b32 v[9:10], v14 offset0:2 offset1:3
	ds_load_2addr_b32 v[24:25], v14 offset0:4 offset1:5
	;; [unrolled: 1-line block ×3, first 2 shown]
	s_waitcnt lgkmcnt(3)
	v_add_f32_e32 v1, v1, v2
	s_waitcnt lgkmcnt(2)
	s_delay_alu instid0(VALU_DEP_1) | instskip(NEXT) | instid1(VALU_DEP_1)
	v_add_f32_e32 v1, v1, v9
	v_add_f32_e32 v1, v1, v10
	s_waitcnt lgkmcnt(1)
	s_delay_alu instid0(VALU_DEP_1) | instskip(NEXT) | instid1(VALU_DEP_1)
	v_add_f32_e32 v1, v1, v24
	;; [unrolled: 4-line block ×3, first 2 shown]
	v_add_f32_e32 v16, v1, v27
.LBB149_52:
	s_or_b32 exec_lo, exec_lo, s4
	v_cmp_ne_u32_e32 vcc_lo, 1, v21
	v_sub_co_u32 v9, s4, v22, s22
	s_delay_alu instid0(VALU_DEP_1)
	v_subrev_co_ci_u32_e64 v10, s4, s23, v23, s4
	s_barrier
	buffer_gl0_inv
	s_cbranch_vccnz .LBB149_57
; %bb.53:
	flat_load_b32 v21, v[9:10]
	s_lshl_b32 s4, s8, 3
	v_mad_u32_u24 v14, v3, 33, v0
	s_ashr_i32 s5, s4, 31
	s_ashr_i32 s9, s8, 31
	s_lshl_b64 s[4:5], s[4:5], 2
	v_add_nc_u32_e32 v22, 16, v3
	v_add_co_u32 v1, vcc_lo, v9, s4
	v_lshlrev_b32_e32 v24, 2, v14
	v_add_co_ci_u32_e32 v2, vcc_lo, s5, v10, vcc_lo
	s_lshl_b64 s[4:5], s[8:9], 5
	v_add_nc_u32_e32 v25, 0x108, v14
	v_add_nc_u32_e32 v23, 24, v3
	s_waitcnt vmcnt(0) lgkmcnt(0)
	ds_store_b32 v24, v21
	flat_load_b32 v21, v[1:2]
	v_add_co_u32 v1, vcc_lo, v1, s4
	v_add_co_ci_u32_e32 v2, vcc_lo, s5, v2, vcc_lo
	s_waitcnt vmcnt(0) lgkmcnt(0)
	ds_store_b32 v24, v21 offset:1056
	flat_load_b32 v21, v[1:2]
	v_add_co_u32 v1, vcc_lo, v1, s4
	v_add_co_ci_u32_e32 v2, vcc_lo, s5, v2, vcc_lo
	s_waitcnt vmcnt(0) lgkmcnt(0)
	ds_store_b32 v24, v21 offset:2112
	flat_load_b32 v26, v[1:2]
	v_add_nc_u32_e32 v21, 8, v3
	v_add_nc_u32_e32 v1, 0x210, v14
	;; [unrolled: 1-line block ×3, first 2 shown]
	s_waitcnt vmcnt(0) lgkmcnt(0)
	ds_store_b32 v24, v26 offset:3168
	s_cbranch_execz .LBB149_58
	s_branch .LBB149_67
.LBB149_54:
	ds_load_b32 v1, v10
	s_waitcnt lgkmcnt(0)
	ds_store_b32 v13, v1
	s_or_b32 exec_lo, exec_lo, s7
	s_and_saveexec_b32 s1, s4
	s_cbranch_execz .LBB149_47
.LBB149_55:
	ds_load_b32 v1, v14
	s_waitcnt lgkmcnt(0)
	ds_store_b32 v13, v1 offset:4
	s_or_b32 exec_lo, exec_lo, s1
	s_and_saveexec_b32 s1, s5
	s_cbranch_execz .LBB149_48
.LBB149_56:
	ds_load_b32 v1, v14 offset:132
	s_waitcnt lgkmcnt(0)
	ds_store_b32 v13, v1 offset:8
	s_or_b32 exec_lo, exec_lo, s1
	s_and_saveexec_b32 s1, s6
	s_cbranch_execnz .LBB149_49
	s_branch .LBB149_50
.LBB149_57:
                                        ; implicit-def: $vgpr14
                                        ; implicit-def: $vgpr21
                                        ; implicit-def: $vgpr25
                                        ; implicit-def: $vgpr22
                                        ; implicit-def: $vgpr1
                                        ; implicit-def: $vgpr23
                                        ; implicit-def: $vgpr2
.LBB149_58:
	v_or_b32_e32 v1, 32, v0
	s_ashr_i32 s11, s10, 31
	v_mov_b32_e32 v22, 0
	s_lshl_b64 s[6:7], s[10:11], 2
	s_mov_b32 s5, exec_lo
	v_dual_mov_b32 v23, 0 :: v_dual_lshlrev_b32 v2, 2, v1
	s_delay_alu instid0(VALU_DEP_1) | instskip(SKIP_1) | instid1(VALU_DEP_2)
	v_sub_co_u32 v2, vcc_lo, v9, v2
	v_subrev_co_ci_u32_e32 v14, vcc_lo, 0, v10, vcc_lo
	v_add_co_u32 v2, vcc_lo, v2, s6
	s_delay_alu instid0(VALU_DEP_2) | instskip(NEXT) | instid1(VALU_DEP_2)
	v_add_co_ci_u32_e32 v14, vcc_lo, s7, v14, vcc_lo
	v_add_co_u32 v21, vcc_lo, v2, -4
	s_delay_alu instid0(VALU_DEP_2) | instskip(SKIP_1) | instid1(VALU_DEP_2)
	v_add_co_ci_u32_e32 v2, vcc_lo, -1, v14, vcc_lo
	v_cmp_gt_i32_e32 vcc_lo, s10, v1
	v_dual_cndmask_b32 v2, v2, v10 :: v_dual_cndmask_b32 v1, v21, v9
	v_cmpx_gt_i32_e64 s10, v3
	s_cbranch_execz .LBB149_60
; %bb.59:
	flat_load_b32 v22, v[1:2]
.LBB149_60:
	s_or_b32 exec_lo, exec_lo, s5
	v_mad_u32_u24 v14, v3, 33, v0
	v_add_nc_u32_e32 v21, 8, v3
	s_mov_b32 s5, exec_lo
	s_delay_alu instid0(VALU_DEP_2)
	v_lshlrev_b32_e32 v24, 2, v14
	s_waitcnt vmcnt(0) lgkmcnt(0)
	ds_store_b32 v24, v22
	v_cmpx_gt_i32_e64 s10, v21
	s_cbranch_execz .LBB149_62
; %bb.61:
	s_lshl_b32 s22, s8, 3
	s_delay_alu instid0(SALU_CYCLE_1) | instskip(NEXT) | instid1(SALU_CYCLE_1)
	s_ashr_i32 s23, s22, 31
	s_lshl_b64 s[22:23], s[22:23], 2
	s_delay_alu instid0(SALU_CYCLE_1) | instskip(NEXT) | instid1(VALU_DEP_1)
	v_add_co_u32 v22, s4, v1, s22
	v_add_co_ci_u32_e64 v23, s4, s23, v2, s4
	flat_load_b32 v23, v[22:23]
.LBB149_62:
	s_or_b32 exec_lo, exec_lo, s5
	v_dual_mov_b32 v25, 0 :: v_dual_add_nc_u32 v22, 16, v3
	v_mov_b32_e32 v26, 0
	s_mov_b32 s5, exec_lo
	s_waitcnt vmcnt(0) lgkmcnt(0)
	ds_store_b32 v24, v23 offset:1056
	v_cmpx_gt_i32_e64 s10, v22
	s_cbranch_execz .LBB149_64
; %bb.63:
	s_lshl_b32 s22, s8, 4
	s_delay_alu instid0(SALU_CYCLE_1) | instskip(NEXT) | instid1(SALU_CYCLE_1)
	s_ashr_i32 s23, s22, 31
	s_lshl_b64 s[22:23], s[22:23], 2
	s_delay_alu instid0(SALU_CYCLE_1) | instskip(NEXT) | instid1(VALU_DEP_1)
	v_add_co_u32 v27, s4, v1, s22
	v_add_co_ci_u32_e64 v28, s4, s23, v2, s4
	flat_load_b32 v25, v[27:28]
.LBB149_64:
	s_or_b32 exec_lo, exec_lo, s5
	v_add_nc_u32_e32 v23, 24, v3
	s_mov_b32 s5, exec_lo
	s_waitcnt vmcnt(0) lgkmcnt(0)
	ds_store_b32 v24, v25 offset:2112
	v_cmpx_gt_i32_e64 s10, v23
	s_cbranch_execz .LBB149_66
; %bb.65:
	s_mul_i32 s22, s8, 24
	s_delay_alu instid0(SALU_CYCLE_1) | instskip(NEXT) | instid1(SALU_CYCLE_1)
	s_ashr_i32 s23, s22, 31
	s_lshl_b64 s[22:23], s[22:23], 2
	s_delay_alu instid0(SALU_CYCLE_1) | instskip(NEXT) | instid1(VALU_DEP_1)
	v_add_co_u32 v25, s4, v1, s22
	v_add_co_ci_u32_e64 v26, s4, s23, v2, s4
	flat_load_b32 v26, v[25:26]
.LBB149_66:
	s_or_b32 exec_lo, exec_lo, s5
	v_lshlrev_b32_e32 v0, 2, v0
	v_add_nc_u32_e32 v25, 0x108, v14
	s_waitcnt vmcnt(0) lgkmcnt(0)
	ds_store_b32 v24, v26 offset:3168
	v_add_co_u32 v0, s4, v1, v0
	s_delay_alu instid0(VALU_DEP_1) | instskip(NEXT) | instid1(VALU_DEP_2)
	v_add_co_ci_u32_e64 v1, s4, 0, v2, s4
	v_sub_co_u32 v0, s4, v0, s6
	s_delay_alu instid0(VALU_DEP_1) | instskip(NEXT) | instid1(VALU_DEP_2)
	v_subrev_co_ci_u32_e64 v1, s4, s7, v1, s4
	v_add_co_u32 v0, s4, 0x84, v0
	s_delay_alu instid0(VALU_DEP_1) | instskip(SKIP_1) | instid1(VALU_DEP_3)
	v_add_co_ci_u32_e64 v3, s4, 0, v1, s4
	v_add_nc_u32_e32 v1, 0x210, v14
	v_dual_cndmask_b32 v9, v0, v9 :: v_dual_add_nc_u32 v2, 0x318, v14
	s_delay_alu instid0(VALU_DEP_3)
	v_cndmask_b32_e32 v10, v3, v10, vcc_lo
.LBB149_67:
	v_lshlrev_b32_e32 v0, 2, v14
	v_lshlrev_b32_e32 v3, 2, v25
	s_waitcnt lgkmcnt(0)
	s_barrier
	buffer_gl0_inv
	ds_load_b32 v11, v11 offset:4544
	v_lshlrev_b32_e32 v14, 2, v21
	ds_load_b32 v21, v0
	ds_load_b32 v24, v3
	v_lshlrev_b32_e32 v0, 2, v1
	v_lshlrev_b32_e32 v1, 2, v22
	;; [unrolled: 1-line block ×3, first 2 shown]
	ds_load_b32 v22, v14 offset:4544
	v_lshlrev_b32_e32 v3, 2, v23
	ds_load_b32 v23, v0
	ds_load_b32 v25, v1 offset:4544
	ds_load_b32 v26, v2
	ds_load_b32 v27, v3 offset:4544
	ds_load_b128 v[0:3], v12 offset:128
	s_waitcnt lgkmcnt(7)
	v_fma_f32 v21, v21, v11, 0
	ds_load_2addr_b32 v[11:12], v13 offset0:2 offset1:3
	ds_load_2addr_b32 v[13:14], v13 offset1:1
	s_waitcnt lgkmcnt(0)
	s_barrier
	buffer_gl0_inv
	v_fmac_f32_e32 v21, v24, v22
	s_delay_alu instid0(VALU_DEP_1) | instskip(NEXT) | instid1(VALU_DEP_1)
	v_fmac_f32_e32 v21, v23, v25
	v_fmac_f32_e32 v21, v26, v27
	ds_store_b32 v20, v21
	s_waitcnt lgkmcnt(0)
	s_barrier
	buffer_gl0_inv
	s_and_saveexec_b32 s4, s1
	s_cbranch_execz .LBB149_69
; %bb.68:
	v_lshlrev_b32_e32 v27, 2, v19
	ds_load_2addr_b32 v[21:22], v27 offset1:1
	ds_load_2addr_b32 v[23:24], v27 offset0:2 offset1:3
	ds_load_2addr_b32 v[25:26], v27 offset0:4 offset1:5
	;; [unrolled: 1-line block ×3, first 2 shown]
	s_waitcnt lgkmcnt(3)
	v_add_f32_e32 v16, v16, v21
	s_delay_alu instid0(VALU_DEP_1) | instskip(SKIP_1) | instid1(VALU_DEP_1)
	v_add_f32_e32 v16, v16, v22
	s_waitcnt lgkmcnt(2)
	v_add_f32_e32 v16, v16, v23
	s_delay_alu instid0(VALU_DEP_1) | instskip(SKIP_1) | instid1(VALU_DEP_1)
	v_add_f32_e32 v16, v16, v24
	;; [unrolled: 4-line block ×3, first 2 shown]
	s_waitcnt lgkmcnt(0)
	v_add_f32_e32 v16, v16, v27
	s_delay_alu instid0(VALU_DEP_1)
	v_add_f32_e32 v16, v16, v28
.LBB149_69:
	s_or_b32 exec_lo, exec_lo, s4
	v_fma_f32 v0, v13, v0, 0
	s_barrier
	buffer_gl0_inv
	v_fmac_f32_e32 v0, v14, v1
	s_delay_alu instid0(VALU_DEP_1) | instskip(NEXT) | instid1(VALU_DEP_1)
	v_fmac_f32_e32 v0, v11, v2
	v_fmac_f32_e32 v0, v12, v3
	ds_store_b32 v20, v0
	s_waitcnt lgkmcnt(0)
	s_barrier
	buffer_gl0_inv
	s_and_saveexec_b32 s1, s0
	s_cbranch_execz .LBB149_71
; %bb.70:
	v_lshlrev_b32_e32 v13, 2, v19
	ds_load_2addr_b32 v[0:1], v13 offset1:1
	ds_load_2addr_b32 v[2:3], v13 offset0:2 offset1:3
	ds_load_2addr_b32 v[11:12], v13 offset0:4 offset1:5
	;; [unrolled: 1-line block ×3, first 2 shown]
	s_waitcnt lgkmcnt(3)
	v_add_f32_e32 v0, v16, v0
	s_delay_alu instid0(VALU_DEP_1) | instskip(SKIP_1) | instid1(VALU_DEP_1)
	v_add_f32_e32 v0, v0, v1
	s_waitcnt lgkmcnt(2)
	v_add_f32_e32 v0, v0, v2
	s_delay_alu instid0(VALU_DEP_1) | instskip(SKIP_1) | instid1(VALU_DEP_1)
	v_add_f32_e32 v0, v0, v3
	;; [unrolled: 4-line block ×3, first 2 shown]
	s_waitcnt lgkmcnt(0)
	v_add_f32_e32 v0, v0, v13
	s_delay_alu instid0(VALU_DEP_1)
	v_add_f32_e32 v16, v0, v14
.LBB149_71:
	s_or_b32 exec_lo, exec_lo, s1
	s_mul_hi_u32 s0, s15, s12
	s_mul_i32 s27, s27, s12
	s_mul_i32 s1, s15, s12
	s_add_i32 s0, s0, s27
	s_mul_hi_u32 s5, s1, s26
	s_mul_i32 s4, s0, s26
	s_mul_i32 s0, s1, s26
	s_add_i32 s1, s5, s4
	s_mul_i32 s4, s14, s15
	s_lshl_b64 s[0:1], s[0:1], 2
	v_cmp_le_i32_e32 vcc_lo, s10, v17
	s_add_u32 s6, s18, s0
	s_addc_u32 s7, s19, s1
	s_ashr_i32 s5, s4, 31
	v_lshlrev_b32_e32 v11, 2, v17
	s_lshl_b64 s[0:1], s[4:5], 2
	s_delay_alu instid0(SALU_CYCLE_1)
	s_add_u32 s15, s6, s0
	s_addc_u32 s18, s7, s1
	s_and_b32 vcc_lo, s17, vcc_lo
	s_cmp_lt_i32 s14, 1
	s_barrier
	buffer_gl0_inv
	s_cbranch_scc1 .LBB149_78
; %bb.72:
	v_mul_lo_u32 v0, v15, s8
	s_ashr_i32 s11, s10, 31
	s_mul_i32 s4, s16, s13
	v_and_b32_e32 v13, 0x1fff0, v18
	s_ashr_i32 s5, s4, 31
	v_mov_b32_e32 v1, 0
	s_lshl_b64 s[4:5], s[4:5], 2
	v_mad_u32_u24 v14, 0x430, v15, v11
	v_lshl_add_u32 v2, v0, 2, v17
	v_sub_co_u32 v0, s0, v9, s20
	s_delay_alu instid0(VALU_DEP_1) | instskip(SKIP_1) | instid1(VALU_DEP_4)
	v_subrev_co_ci_u32_e64 v12, s0, s21, v10, s0
	v_add_nc_u32_e32 v10, 0x11c0, v11
	v_ashrrev_i32_e32 v3, 31, v2
	s_delay_alu instid0(VALU_DEP_4) | instskip(NEXT) | instid1(VALU_DEP_1)
	v_sub_co_u32 v0, s0, v0, v7
	v_sub_co_ci_u32_e64 v7, s0, v12, v8, s0
	s_delay_alu instid0(VALU_DEP_3)
	v_lshlrev_b64 v[2:3], 2, v[2:3]
	v_lshrrev_b32_e32 v8, 2, v18
	v_add_nc_u32_e32 v9, 0x10c0, v11
	s_ashr_i32 s9, s8, 31
	s_lshl_b32 s19, s13, 6
	s_lshl_b64 s[6:7], s[8:9], 3
	v_add_co_u32 v0, s0, v0, v2
	s_delay_alu instid0(VALU_DEP_1) | instskip(SKIP_1) | instid1(VALU_DEP_2)
	v_add_co_ci_u32_e64 v2, s0, v7, v3, s0
	s_mul_hi_i32 s20, s8, 12
	v_add_co_u32 v0, s0, 0xffffff80, v0
	s_delay_alu instid0(VALU_DEP_1) | instskip(SKIP_1) | instid1(VALU_DEP_2)
	v_add_co_ci_u32_e64 v2, s0, -1, v2, s0
	s_mul_i32 s21, s8, 12
	v_sub_co_u32 v3, s0, v0, v11
	s_delay_alu instid0(VALU_DEP_1) | instskip(SKIP_2) | instid1(VALU_DEP_2)
	v_subrev_co_ci_u32_e64 v7, s0, 0, v2, s0
	s_lshl_b64 s[0:1], s[10:11], 2
	s_lshl_b64 s[10:11], s[8:9], 8
	v_add_co_u32 v3, s0, v3, s0
	s_delay_alu instid0(VALU_DEP_1) | instskip(SKIP_1) | instid1(VALU_DEP_2)
	v_add_co_ci_u32_e64 v7, s0, s1, v7, s0
	s_lshl_b64 s[12:13], s[8:9], 6
	v_add_co_u32 v12, s0, v3, -4
	s_delay_alu instid0(VALU_DEP_1) | instskip(SKIP_3) | instid1(VALU_DEP_4)
	v_add_co_ci_u32_e64 v3, s0, -1, v7, s0
	v_and_b32_e32 v20, 48, v17
	v_and_b32_e32 v19, 15, v17
	;; [unrolled: 1-line block ×3, first 2 shown]
	v_dual_cndmask_b32 v3, v2, v3 :: v_dual_cndmask_b32 v2, v0, v12
	s_delay_alu instid0(VALU_DEP_4) | instskip(SKIP_2) | instid1(VALU_DEP_1)
	v_lshlrev_b32_e32 v0, 2, v20
	v_or_b32_e32 v12, 60, v11
	v_sub_co_u32 v5, s0, v5, s4
	v_subrev_co_ci_u32_e64 v6, s0, s5, v6, s0
	v_cmp_gt_u32_e64 s0, 64, v18
	v_mad_u32_u24 v7, 0x10c, v19, v0
	v_mad_u32_u24 v8, 0x10c, v19, v12
	;; [unrolled: 1-line block ×3, first 2 shown]
	v_lshl_add_u32 v13, v15, 4, 0x10c0
	v_mad_u32_u24 v17, 0x10c, v19, v17
	v_or_b32_e32 v0, v20, v19
	s_lshl_b64 s[4:5], s[8:9], 2
	s_mul_hi_i32 s22, s8, 0x48
	s_mul_i32 s23, s8, 0x48
	s_mul_hi_i32 s24, s8, 0x4c
	s_mul_i32 s25, s8, 0x4c
	s_lshl_b64 s[16:17], s[8:9], 7
	s_mul_hi_i32 s26, s8, 0x88
	s_mul_i32 s27, s8, 0x88
	s_mul_hi_i32 s28, s8, 0x8c
	s_mul_i32 s29, s8, 0x8c
	;; [unrolled: 2-line block ×8, first 2 shown]
	s_mov_b32 s8, 0
	s_branch .LBB149_74
.LBB149_73:                             ;   in Loop: Header=BB149_74 Depth=1
	s_or_b32 exec_lo, exec_lo, s9
	v_fmac_f32_e32 v16, v18, v22
	v_add_co_u32 v2, s1, v2, s10
	s_delay_alu instid0(VALU_DEP_1) | instskip(NEXT) | instid1(VALU_DEP_3)
	v_add_co_ci_u32_e64 v3, s1, s11, v3, s1
	v_fmac_f32_e32 v16, v20, v23
	v_add_nc_u32_e32 v0, 64, v0
	s_add_i32 s14, s14, -1
	s_add_i32 s8, s8, s19
	s_cmp_eq_u32 s14, 0
	v_fmac_f32_e32 v16, v19, v24
	s_waitcnt_vscnt null, 0x0
	s_barrier
	buffer_gl0_inv
	v_fmac_f32_e32 v16, v21, v25
	s_delay_alu instid0(VALU_DEP_1) | instskip(NEXT) | instid1(VALU_DEP_1)
	v_fmac_f32_e32 v16, v26, v30
	v_fmac_f32_e32 v16, v28, v31
	s_delay_alu instid0(VALU_DEP_1) | instskip(NEXT) | instid1(VALU_DEP_1)
	v_fmac_f32_e32 v16, v27, v32
	;; [unrolled: 3-line block ×6, first 2 shown]
	v_fmac_f32_e32 v16, v39, v47
	s_cbranch_scc1 .LBB149_78
.LBB149_74:                             ; =>This Inner Loop Header: Depth=1
	s_and_saveexec_b32 s43, s3
	s_cbranch_execz .LBB149_76
; %bb.75:                               ;   in Loop: Header=BB149_74 Depth=1
	s_ashr_i32 s9, s8, 31
	s_delay_alu instid0(SALU_CYCLE_1) | instskip(NEXT) | instid1(SALU_CYCLE_1)
	s_lshl_b64 s[44:45], s[8:9], 2
	v_add_co_u32 v18, s1, v5, s44
	s_delay_alu instid0(VALU_DEP_1)
	v_add_co_ci_u32_e64 v19, s1, s45, v6, s1
	flat_load_b32 v18, v[18:19]
	s_waitcnt vmcnt(0) lgkmcnt(0)
	ds_store_b32 v9, v18
.LBB149_76:                             ;   in Loop: Header=BB149_74 Depth=1
	s_or_b32 exec_lo, exec_lo, s43
	v_add_co_u32 v19, s1, v2, s4
	s_delay_alu instid0(VALU_DEP_1) | instskip(SKIP_1) | instid1(VALU_DEP_1)
	v_add_co_ci_u32_e64 v20, s1, s5, v3, s1
	v_add_co_u32 v21, s1, v2, s6
	v_add_co_ci_u32_e64 v22, s1, s7, v3, s1
	v_add_co_u32 v23, s1, v2, s21
	s_waitcnt lgkmcnt(0)
	s_barrier
	buffer_gl0_inv
	flat_load_b32 v18, v[2:3]
	v_add_co_ci_u32_e64 v24, s1, s20, v3, s1
	s_clause 0x2
	flat_load_b32 v20, v[19:20]
	flat_load_b32 v19, v[21:22]
	;; [unrolled: 1-line block ×3, first 2 shown]
	ds_load_b32 v23, v10
	ds_load_b32 v22, v13
	v_add_co_u32 v26, s1, v2, s12
	s_delay_alu instid0(VALU_DEP_1) | instskip(SKIP_1) | instid1(VALU_DEP_1)
	v_add_co_ci_u32_e64 v27, s1, s13, v3, s1
	v_add_co_u32 v28, s1, v2, s42
	v_add_co_ci_u32_e64 v29, s1, s41, v3, s1
	v_add_co_u32 v30, s1, v2, s23
	s_delay_alu instid0(VALU_DEP_1)
	v_add_co_ci_u32_e64 v31, s1, s22, v3, s1
	s_waitcnt vmcnt(3) lgkmcnt(1)
	v_mul_f32_e32 v24, v18, v23
	s_waitcnt vmcnt(2)
	v_mul_f32_e32 v25, v20, v23
	s_waitcnt vmcnt(1)
	;; [unrolled: 2-line block ×3, first 2 shown]
	v_mul_f32_e32 v33, v21, v23
	ds_store_b32 v14, v24
	ds_load_b32 v23, v13 offset:4
	ds_store_b32 v14, v25 offset:268
	ds_load_b32 v24, v13 offset:8
	ds_store_b32 v14, v32 offset:536
	v_add_co_u32 v32, s1, v2, s25
	ds_load_b32 v25, v13 offset:12
	ds_store_b32 v14, v33 offset:804
	s_waitcnt lgkmcnt(0)
	s_barrier
	buffer_gl0_inv
	ds_load_2addr_b32 v[50:51], v12 offset1:1
	ds_load_2addr_b32 v[52:53], v12 offset0:2 offset1:3
	s_waitcnt lgkmcnt(0)
	s_barrier
	buffer_gl0_inv
	flat_load_b32 v26, v[26:27]
	v_add_co_ci_u32_e64 v33, s1, s24, v3, s1
	s_clause 0x2
	flat_load_b32 v28, v[28:29]
	flat_load_b32 v27, v[30:31]
	;; [unrolled: 1-line block ×3, first 2 shown]
	ds_load_b32 v31, v10
	ds_load_b32 v30, v13 offset:64
	v_add_co_u32 v34, s1, v2, s16
	s_delay_alu instid0(VALU_DEP_1) | instskip(SKIP_1) | instid1(VALU_DEP_1)
	v_add_co_ci_u32_e64 v35, s1, s17, v3, s1
	v_add_co_u32 v36, s1, v2, s40
	v_add_co_ci_u32_e64 v37, s1, s39, v3, s1
	v_add_co_u32 v38, s1, v2, s27
	s_delay_alu instid0(VALU_DEP_1) | instskip(SKIP_1) | instid1(VALU_DEP_1)
	v_add_co_ci_u32_e64 v39, s1, s26, v3, s1
	v_add_f32_e32 v50, 0, v50
	v_add_f32_e32 v50, v50, v51
	s_delay_alu instid0(VALU_DEP_1) | instskip(NEXT) | instid1(VALU_DEP_1)
	v_add_f32_e32 v50, v50, v52
	v_add_f32_e32 v50, v50, v53
	s_waitcnt vmcnt(3) lgkmcnt(1)
	v_mul_f32_e32 v32, v26, v31
	s_waitcnt vmcnt(2)
	v_mul_f32_e32 v33, v28, v31
	s_waitcnt vmcnt(1)
	;; [unrolled: 2-line block ×3, first 2 shown]
	v_mul_f32_e32 v41, v29, v31
	ds_store_b32 v14, v32
	ds_load_b32 v31, v13 offset:68
	ds_store_b32 v14, v33 offset:268
	ds_load_b32 v32, v13 offset:72
	ds_store_b32 v14, v40 offset:536
	v_add_co_u32 v40, s1, v2, s29
	ds_load_b32 v33, v13 offset:76
	ds_store_b32 v14, v41 offset:804
	s_waitcnt lgkmcnt(0)
	s_barrier
	buffer_gl0_inv
	ds_load_2addr_b32 v[54:55], v12 offset1:1
	ds_load_2addr_b32 v[56:57], v12 offset0:2 offset1:3
	s_waitcnt lgkmcnt(0)
	s_barrier
	buffer_gl0_inv
	flat_load_b32 v34, v[34:35]
	v_add_co_ci_u32_e64 v41, s1, s28, v3, s1
	s_clause 0x2
	flat_load_b32 v36, v[36:37]
	flat_load_b32 v35, v[38:39]
	;; [unrolled: 1-line block ×3, first 2 shown]
	ds_load_b32 v39, v10
	ds_load_b32 v38, v13 offset:128
	v_add_co_u32 v43, s1, v2, s31
	s_delay_alu instid0(VALU_DEP_1) | instskip(SKIP_1) | instid1(VALU_DEP_1)
	v_add_co_ci_u32_e64 v44, s1, s30, v3, s1
	v_add_co_u32 v46, s1, v2, s38
	v_add_co_ci_u32_e64 v47, s1, s37, v3, s1
	v_add_co_u32 v48, s1, v2, s34
	s_delay_alu instid0(VALU_DEP_1) | instskip(SKIP_1) | instid1(VALU_DEP_1)
	v_add_co_ci_u32_e64 v49, s1, s33, v3, s1
	v_add_co_u32 v58, s1, v2, s36
	v_add_co_ci_u32_e64 v59, s1, s35, v3, s1
	v_add_f32_e32 v54, 0, v54
	s_delay_alu instid0(VALU_DEP_1)
	v_add_f32_e32 v51, v54, v55
	s_waitcnt vmcnt(3) lgkmcnt(1)
	v_mul_f32_e32 v40, v34, v39
	s_waitcnt vmcnt(2)
	v_mul_f32_e32 v41, v36, v39
	s_waitcnt vmcnt(1)
	;; [unrolled: 2-line block ×3, first 2 shown]
	v_mul_f32_e32 v39, v37, v39
	ds_store_b32 v14, v40
	ds_load_b32 v40, v13 offset:132
	ds_store_b32 v14, v41 offset:268
	ds_load_b32 v41, v13 offset:136
	ds_store_b32 v14, v42 offset:536
	;; [unrolled: 2-line block ×3, first 2 shown]
	s_waitcnt lgkmcnt(0)
	s_barrier
	buffer_gl0_inv
	ds_load_2addr_b32 v[60:61], v12 offset1:1
	ds_load_2addr_b32 v[62:63], v12 offset0:2 offset1:3
	s_waitcnt lgkmcnt(0)
	s_barrier
	buffer_gl0_inv
	s_clause 0x3
	flat_load_b32 v45, v[43:44]
	flat_load_b32 v44, v[46:47]
	flat_load_b32 v43, v[48:49]
	flat_load_b32 v39, v[58:59]
	ds_load_b32 v47, v10
	ds_load_b32 v46, v13 offset:192
	v_add_f32_e32 v60, 0, v60
	s_delay_alu instid0(VALU_DEP_1) | instskip(NEXT) | instid1(VALU_DEP_1)
	v_add_f32_e32 v54, v60, v61
	v_add_f32_e32 v52, v54, v62
	s_delay_alu instid0(VALU_DEP_1)
	v_add_f32_e32 v52, v52, v63
	s_waitcnt vmcnt(3) lgkmcnt(1)
	v_mul_f32_e32 v48, v45, v47
	s_waitcnt vmcnt(2)
	v_mul_f32_e32 v58, v44, v47
	s_waitcnt vmcnt(1)
	;; [unrolled: 2-line block ×3, first 2 shown]
	v_mul_f32_e32 v64, v39, v47
	ds_store_b32 v14, v48
	ds_load_b32 v49, v13 offset:196
	ds_store_b32 v14, v58 offset:268
	ds_load_b32 v48, v13 offset:200
	ds_store_b32 v14, v59 offset:536
	ds_load_b32 v47, v13 offset:204
	ds_store_b32 v14, v64 offset:804
	s_waitcnt lgkmcnt(0)
	s_barrier
	buffer_gl0_inv
	ds_load_2addr_b32 v[58:59], v12 offset1:1
	ds_load_2addr_b32 v[64:65], v12 offset0:2 offset1:3
	s_waitcnt lgkmcnt(0)
	s_barrier
	buffer_gl0_inv
	v_add_f32_e32 v58, 0, v58
	s_delay_alu instid0(VALU_DEP_1) | instskip(NEXT) | instid1(VALU_DEP_1)
	v_add_f32_e32 v55, v58, v59
	v_add_f32_e32 v54, v55, v64
	;; [unrolled: 1-line block ×3, first 2 shown]
	s_delay_alu instid0(VALU_DEP_2) | instskip(NEXT) | instid1(VALU_DEP_2)
	v_add_f32_e32 v53, v54, v65
	v_add_f32_e32 v51, v51, v57
	ds_store_2addr_b32 v17, v50, v51 offset1:16
	ds_store_2addr_b32 v17, v52, v53 offset0:32 offset1:48
	s_waitcnt lgkmcnt(0)
	s_barrier
	buffer_gl0_inv
	s_and_saveexec_b32 s9, s0
	s_cbranch_execz .LBB149_73
; %bb.77:                               ;   in Loop: Header=BB149_74 Depth=1
	ds_load_2addr_b32 v[50:51], v7 offset1:1
	ds_load_2addr_b32 v[52:53], v7 offset0:2 offset1:3
	ds_load_2addr_b32 v[54:55], v7 offset0:4 offset1:5
	;; [unrolled: 1-line block ×3, first 2 shown]
	s_waitcnt lgkmcnt(3)
	v_add_f32_e32 v50, v50, v51
	s_waitcnt lgkmcnt(2)
	s_delay_alu instid0(VALU_DEP_1) | instskip(NEXT) | instid1(VALU_DEP_1)
	v_add_f32_e32 v50, v50, v52
	v_add_f32_e32 v50, v50, v53
	s_waitcnt lgkmcnt(1)
	s_delay_alu instid0(VALU_DEP_1) | instskip(SKIP_3) | instid1(VALU_DEP_1)
	v_add_f32_e32 v52, v50, v54
	ds_load_2addr_b32 v[50:51], v7 offset0:8 offset1:9
	v_add_f32_e32 v52, v52, v55
	s_waitcnt lgkmcnt(1)
	v_add_f32_e32 v54, v52, v56
	ds_load_2addr_b32 v[52:53], v7 offset0:10 offset1:11
	v_add_f32_e32 v56, v54, v57
	ds_load_2addr_b32 v[54:55], v7 offset0:12 offset1:13
	ds_load_b32 v57, v7 offset:56
	s_waitcnt lgkmcnt(3)
	v_add_f32_e32 v50, v56, v50
	s_delay_alu instid0(VALU_DEP_1) | instskip(SKIP_1) | instid1(VALU_DEP_1)
	v_add_f32_e32 v50, v50, v51
	s_waitcnt lgkmcnt(2)
	v_add_f32_e32 v50, v50, v52
	ds_load_b32 v52, v8
	v_add_f32_e32 v50, v50, v53
	s_waitcnt lgkmcnt(2)
	s_delay_alu instid0(VALU_DEP_1) | instskip(NEXT) | instid1(VALU_DEP_1)
	v_add_f32_e32 v50, v50, v54
	v_add_f32_e32 v50, v50, v55
	s_waitcnt lgkmcnt(1)
	s_delay_alu instid0(VALU_DEP_1) | instskip(SKIP_2) | instid1(VALU_DEP_2)
	v_add_f32_e32 v53, v50, v57
	v_lshlrev_b64 v[50:51], 2, v[0:1]
	s_waitcnt lgkmcnt(0)
	v_add_f32_e32 v52, v53, v52
	s_delay_alu instid0(VALU_DEP_2) | instskip(NEXT) | instid1(VALU_DEP_1)
	v_add_co_u32 v50, s1, s15, v50
	v_add_co_ci_u32_e64 v51, s1, s18, v51, s1
	global_store_b32 v[50:51], v52, off
	s_branch .LBB149_73
.LBB149_78:
	v_mad_u32_u24 v0, 0x10c, v15, v11
	s_or_b32 s0, s2, vcc_lo
	s_delay_alu instid0(SALU_CYCLE_1)
	s_xor_b32 s0, s0, -1
	ds_store_b32 v0, v16
	s_waitcnt lgkmcnt(0)
	s_barrier
	buffer_gl0_inv
	s_and_saveexec_b32 s1, s0
	s_cbranch_execz .LBB149_80
; %bb.79:
	ds_load_2addr_b32 v[0:1], v11 offset1:67
	ds_load_2addr_b32 v[2:3], v11 offset0:134 offset1:201
	v_ashrrev_i32_e32 v5, 31, v4
	s_waitcnt lgkmcnt(1)
	v_add_f32_e32 v0, v0, v1
	s_waitcnt lgkmcnt(0)
	s_delay_alu instid0(VALU_DEP_1) | instskip(SKIP_1) | instid1(VALU_DEP_2)
	v_add_f32_e32 v2, v0, v2
	v_lshlrev_b64 v[0:1], 2, v[4:5]
	v_add_f32_e32 v2, v2, v3
	s_delay_alu instid0(VALU_DEP_2) | instskip(NEXT) | instid1(VALU_DEP_3)
	v_add_co_u32 v0, vcc_lo, s15, v0
	v_add_co_ci_u32_e32 v1, vcc_lo, s18, v1, vcc_lo
	global_store_b32 v[0:1], v2, off
.LBB149_80:
	s_nop 0
	s_sendmsg sendmsg(MSG_DEALLOC_VGPRS)
	s_endpgm
	.section	.rodata,"a",@progbits
	.p2align	6, 0x0
	.amdhsa_kernel _ZL26rocblas_hemvn_kernel_lowerILb0ELi64ELi4ELi33ELi32ELi16EiPKfPKS1_PfEviT6_lT7_lT5_lS6_lS7_lS5_lT8_i
		.amdhsa_group_segment_fixed_size 4800
		.amdhsa_private_segment_fixed_size 0
		.amdhsa_kernarg_size 376
		.amdhsa_user_sgpr_count 14
		.amdhsa_user_sgpr_dispatch_ptr 0
		.amdhsa_user_sgpr_queue_ptr 0
		.amdhsa_user_sgpr_kernarg_segment_ptr 1
		.amdhsa_user_sgpr_dispatch_id 0
		.amdhsa_user_sgpr_private_segment_size 0
		.amdhsa_wavefront_size32 1
		.amdhsa_uses_dynamic_stack 0
		.amdhsa_enable_private_segment 0
		.amdhsa_system_sgpr_workgroup_id_x 1
		.amdhsa_system_sgpr_workgroup_id_y 0
		.amdhsa_system_sgpr_workgroup_id_z 1
		.amdhsa_system_sgpr_workgroup_info 0
		.amdhsa_system_vgpr_workitem_id 1
		.amdhsa_next_free_vgpr 66
		.amdhsa_next_free_sgpr 46
		.amdhsa_reserve_vcc 1
		.amdhsa_float_round_mode_32 0
		.amdhsa_float_round_mode_16_64 0
		.amdhsa_float_denorm_mode_32 3
		.amdhsa_float_denorm_mode_16_64 3
		.amdhsa_dx10_clamp 1
		.amdhsa_ieee_mode 1
		.amdhsa_fp16_overflow 0
		.amdhsa_workgroup_processor_mode 1
		.amdhsa_memory_ordered 1
		.amdhsa_forward_progress 0
		.amdhsa_shared_vgpr_count 0
		.amdhsa_exception_fp_ieee_invalid_op 0
		.amdhsa_exception_fp_denorm_src 0
		.amdhsa_exception_fp_ieee_div_zero 0
		.amdhsa_exception_fp_ieee_overflow 0
		.amdhsa_exception_fp_ieee_underflow 0
		.amdhsa_exception_fp_ieee_inexact 0
		.amdhsa_exception_int_div_zero 0
	.end_amdhsa_kernel
	.section	.text._ZL26rocblas_hemvn_kernel_lowerILb0ELi64ELi4ELi33ELi32ELi16EiPKfPKS1_PfEviT6_lT7_lT5_lS6_lS7_lS5_lT8_i,"axG",@progbits,_ZL26rocblas_hemvn_kernel_lowerILb0ELi64ELi4ELi33ELi32ELi16EiPKfPKS1_PfEviT6_lT7_lT5_lS6_lS7_lS5_lT8_i,comdat
.Lfunc_end149:
	.size	_ZL26rocblas_hemvn_kernel_lowerILb0ELi64ELi4ELi33ELi32ELi16EiPKfPKS1_PfEviT6_lT7_lT5_lS6_lS7_lS5_lT8_i, .Lfunc_end149-_ZL26rocblas_hemvn_kernel_lowerILb0ELi64ELi4ELi33ELi32ELi16EiPKfPKS1_PfEviT6_lT7_lT5_lS6_lS7_lS5_lT8_i
                                        ; -- End function
	.section	.AMDGPU.csdata,"",@progbits
; Kernel info:
; codeLenInByte = 6632
; NumSgprs: 48
; NumVgprs: 66
; ScratchSize: 0
; MemoryBound: 0
; FloatMode: 240
; IeeeMode: 1
; LDSByteSize: 4800 bytes/workgroup (compile time only)
; SGPRBlocks: 5
; VGPRBlocks: 8
; NumSGPRsForWavesPerEU: 48
; NumVGPRsForWavesPerEU: 66
; Occupancy: 16
; WaveLimiterHint : 1
; COMPUTE_PGM_RSRC2:SCRATCH_EN: 0
; COMPUTE_PGM_RSRC2:USER_SGPR: 14
; COMPUTE_PGM_RSRC2:TRAP_HANDLER: 0
; COMPUTE_PGM_RSRC2:TGID_X_EN: 1
; COMPUTE_PGM_RSRC2:TGID_Y_EN: 0
; COMPUTE_PGM_RSRC2:TGID_Z_EN: 1
; COMPUTE_PGM_RSRC2:TIDIG_COMP_CNT: 1
	.section	.text._ZL36rocblas_hemvn_kernel_lower_block_sumILi64EiPKfPKPffEviT1_lS5_lT2_lT0_lPT3_i,"axG",@progbits,_ZL36rocblas_hemvn_kernel_lower_block_sumILi64EiPKfPKPffEviT1_lS5_lT2_lT0_lPT3_i,comdat
	.globl	_ZL36rocblas_hemvn_kernel_lower_block_sumILi64EiPKfPKPffEviT1_lS5_lT2_lT0_lPT3_i ; -- Begin function _ZL36rocblas_hemvn_kernel_lower_block_sumILi64EiPKfPKPffEviT1_lS5_lT2_lT0_lPT3_i
	.p2align	8
	.type	_ZL36rocblas_hemvn_kernel_lower_block_sumILi64EiPKfPKPffEviT1_lS5_lT2_lT0_lPT3_i,@function
_ZL36rocblas_hemvn_kernel_lower_block_sumILi64EiPKfPKPffEviT1_lS5_lT2_lT0_lPT3_i: ; @_ZL36rocblas_hemvn_kernel_lower_block_sumILi64EiPKfPKPffEviT1_lS5_lT2_lT0_lPT3_i
; %bb.0:
	s_load_b256 s[16:23], s[0:1], 0x8
	s_waitcnt lgkmcnt(0)
	s_mul_i32 s3, s15, s19
	s_mul_hi_u32 s5, s15, s18
	s_mul_i32 s2, s15, s18
	s_add_i32 s3, s5, s3
	s_mul_i32 s5, s15, s23
	s_lshl_b64 s[2:3], s[2:3], 2
	s_mul_hi_u32 s6, s15, s22
	s_add_u32 s2, s16, s2
	s_addc_u32 s3, s17, s3
	s_add_i32 s7, s6, s5
	s_mul_i32 s6, s15, s22
	s_mov_b32 s5, 0
	s_lshl_b64 s[6:7], s[6:7], 2
	s_delay_alu instid0(SALU_CYCLE_1)
	s_add_u32 s6, s20, s6
	s_addc_u32 s7, s21, s7
	s_load_b32 s9, s[2:3], 0x0
	s_load_b32 s10, s[6:7], 0x0
	s_waitcnt lgkmcnt(0)
	v_cmp_eq_f32_e64 s2, s9, 0
	v_cmp_eq_f32_e64 s3, s10, 1.0
	s_delay_alu instid0(VALU_DEP_1) | instskip(NEXT) | instid1(SALU_CYCLE_1)
	s_and_b32 s2, s2, s3
	s_and_b32 vcc_lo, exec_lo, s2
	s_cbranch_vccnz .LBB150_19
; %bb.1:
	s_clause 0x1
	s_load_b128 s[16:19], s[0:1], 0x28
	s_load_b32 s11, s[0:1], 0x38
	s_mov_b32 s4, s15
	s_load_b32 s6, s[0:1], 0x0
	s_lshl_b64 s[2:3], s[4:5], 3
	v_lshl_or_b32 v0, s14, 6, v0
	s_waitcnt lgkmcnt(0)
	s_add_u32 s2, s16, s2
	s_addc_u32 s3, s17, s3
	s_lshl_b64 s[16:17], s[18:19], 2
	s_load_b64 s[12:13], s[2:3], 0x0
	v_cmp_neq_f32_e64 s2, s9, 0
	s_waitcnt lgkmcnt(0)
	s_add_u32 s3, s12, s16
	s_addc_u32 s8, s13, s17
	s_delay_alu instid0(VALU_DEP_1)
	s_and_b32 vcc_lo, exec_lo, s2
	v_cmp_gt_i32_e64 s2, s6, v0
	s_cbranch_vccnz .LBB150_6
; %bb.2:
	s_mov_b32 s7, 0
                                        ; implicit-def: $vgpr3
                                        ; implicit-def: $vgpr1_vgpr2
	s_delay_alu instid0(VALU_DEP_1)
	s_and_saveexec_b32 s12, s2
	s_cbranch_execz .LBB150_7
; %bb.3:
	v_mul_lo_u32 v1, v0, s11
	v_cmp_eq_f32_e64 s2, s10, 0
	v_mov_b32_e32 v3, 0
	s_delay_alu instid0(VALU_DEP_2) | instskip(NEXT) | instid1(VALU_DEP_3)
	s_and_b32 vcc_lo, exec_lo, s2
	v_ashrrev_i32_e32 v2, 31, v1
	s_cbranch_vccnz .LBB150_5
; %bb.4:
	s_delay_alu instid0(VALU_DEP_1) | instskip(NEXT) | instid1(VALU_DEP_1)
	v_lshlrev_b64 v[3:4], 2, v[1:2]
	v_add_co_u32 v3, vcc_lo, s3, v3
	s_delay_alu instid0(VALU_DEP_2)
	v_add_co_ci_u32_e32 v4, vcc_lo, s8, v4, vcc_lo
	global_load_b32 v3, v[3:4], off
	s_waitcnt vmcnt(0)
	v_mul_f32_e32 v3, s10, v3
.LBB150_5:
	s_mov_b32 s5, exec_lo
	s_or_b32 exec_lo, exec_lo, s12
	s_delay_alu instid0(SALU_CYCLE_1)
	s_and_b32 vcc_lo, exec_lo, s7
	s_cbranch_vccnz .LBB150_8
	s_branch .LBB150_17
.LBB150_6:
                                        ; implicit-def: $vgpr3
                                        ; implicit-def: $vgpr1_vgpr2
	s_cbranch_execnz .LBB150_8
	s_branch .LBB150_17
.LBB150_7:
	s_or_b32 exec_lo, exec_lo, s12
	s_delay_alu instid0(SALU_CYCLE_1)
	s_and_b32 vcc_lo, exec_lo, s7
	s_cbranch_vccz .LBB150_17
.LBB150_8:
	s_mov_b32 s2, exec_lo
                                        ; implicit-def: $vgpr3
                                        ; implicit-def: $vgpr1_vgpr2
	v_cmpx_gt_i32_e64 s6, v0
	s_cbranch_execz .LBB150_16
; %bb.9:
	s_load_b32 s12, s[0:1], 0x58
	v_mov_b32_e32 v4, 0
	s_waitcnt lgkmcnt(0)
	s_cmp_ge_i32 s14, s12
	s_cbranch_scc1 .LBB150_12
; %bb.10:
	s_load_b64 s[0:1], s[0:1], 0x48
	v_mad_u64_u32 v[1:2], null, s14, s6, v[0:1]
	s_ashr_i32 s7, s6, 31
	s_mul_hi_u32 s13, s6, s4
	s_mul_i32 s15, s7, s4
	s_mul_i32 s4, s6, s4
	s_add_i32 s13, s13, s15
	s_mul_hi_u32 s15, s4, s12
	s_delay_alu instid0(VALU_DEP_1)
	v_ashrrev_i32_e32 v2, 31, v1
	s_mul_i32 s13, s13, s12
	s_mul_i32 s16, s4, s12
	s_add_i32 s17, s15, s13
	v_mov_b32_e32 v4, 0
	v_lshlrev_b64 v[1:2], 2, v[1:2]
	s_lshl_b64 s[16:17], s[16:17], 2
	s_waitcnt lgkmcnt(0)
	s_add_u32 s0, s0, s16
	s_addc_u32 s1, s1, s17
	s_delay_alu instid0(VALU_DEP_1)
	v_add_co_u32 v1, vcc_lo, s0, v1
	v_add_co_ci_u32_e32 v2, vcc_lo, s1, v2, vcc_lo
	s_lshl_b64 s[0:1], s[6:7], 2
.LBB150_11:                             ; =>This Inner Loop Header: Depth=1
	global_load_b32 v3, v[1:2], off
	v_add_co_u32 v1, vcc_lo, v1, s0
	v_add_co_ci_u32_e32 v2, vcc_lo, s1, v2, vcc_lo
	s_add_i32 s14, s14, 1
	s_delay_alu instid0(SALU_CYCLE_1)
	s_cmp_ge_i32 s14, s12
	s_waitcnt vmcnt(0)
	v_add_f32_e32 v4, v4, v3
	s_cbranch_scc0 .LBB150_11
.LBB150_12:
	v_mul_lo_u32 v1, v0, s11
	v_cmp_eq_f32_e64 s0, s10, 0
	s_delay_alu instid0(VALU_DEP_1) | instskip(SKIP_1) | instid1(VALU_DEP_2)
	s_and_b32 vcc_lo, exec_lo, s0
	s_mov_b32 s0, 0
	v_ashrrev_i32_e32 v2, 31, v1
	s_cbranch_vccz .LBB150_20
; %bb.13:
	v_mul_f32_e32 v3, s9, v4
	s_and_not1_b32 vcc_lo, exec_lo, s0
	s_cbranch_vccnz .LBB150_15
.LBB150_14:
	s_delay_alu instid0(VALU_DEP_1) | instskip(NEXT) | instid1(VALU_DEP_1)
	v_lshlrev_b64 v[5:6], 2, v[1:2]
	v_add_co_u32 v5, vcc_lo, s3, v5
	s_delay_alu instid0(VALU_DEP_2) | instskip(SKIP_3) | instid1(VALU_DEP_1)
	v_add_co_ci_u32_e32 v6, vcc_lo, s8, v6, vcc_lo
	global_load_b32 v0, v[5:6], off
	s_waitcnt vmcnt(0)
	v_mul_f32_e32 v3, s10, v0
	v_fmac_f32_e32 v3, s9, v4
.LBB150_15:
	s_or_b32 s5, s5, exec_lo
.LBB150_16:
	s_or_b32 exec_lo, exec_lo, s2
.LBB150_17:
	s_and_saveexec_b32 s0, s5
	s_cbranch_execz .LBB150_19
; %bb.18:
	v_lshlrev_b64 v[0:1], 2, v[1:2]
	s_delay_alu instid0(VALU_DEP_1) | instskip(NEXT) | instid1(VALU_DEP_2)
	v_add_co_u32 v0, vcc_lo, s3, v0
	v_add_co_ci_u32_e32 v1, vcc_lo, s8, v1, vcc_lo
	global_store_b32 v[0:1], v3, off
.LBB150_19:
	s_nop 0
	s_sendmsg sendmsg(MSG_DEALLOC_VGPRS)
	s_endpgm
.LBB150_20:
                                        ; implicit-def: $vgpr3
	s_branch .LBB150_14
	.section	.rodata,"a",@progbits
	.p2align	6, 0x0
	.amdhsa_kernel _ZL36rocblas_hemvn_kernel_lower_block_sumILi64EiPKfPKPffEviT1_lS5_lT2_lT0_lPT3_i
		.amdhsa_group_segment_fixed_size 0
		.amdhsa_private_segment_fixed_size 0
		.amdhsa_kernarg_size 344
		.amdhsa_user_sgpr_count 14
		.amdhsa_user_sgpr_dispatch_ptr 0
		.amdhsa_user_sgpr_queue_ptr 0
		.amdhsa_user_sgpr_kernarg_segment_ptr 1
		.amdhsa_user_sgpr_dispatch_id 0
		.amdhsa_user_sgpr_private_segment_size 0
		.amdhsa_wavefront_size32 1
		.amdhsa_uses_dynamic_stack 0
		.amdhsa_enable_private_segment 0
		.amdhsa_system_sgpr_workgroup_id_x 1
		.amdhsa_system_sgpr_workgroup_id_y 0
		.amdhsa_system_sgpr_workgroup_id_z 1
		.amdhsa_system_sgpr_workgroup_info 0
		.amdhsa_system_vgpr_workitem_id 0
		.amdhsa_next_free_vgpr 7
		.amdhsa_next_free_sgpr 24
		.amdhsa_reserve_vcc 1
		.amdhsa_float_round_mode_32 0
		.amdhsa_float_round_mode_16_64 0
		.amdhsa_float_denorm_mode_32 3
		.amdhsa_float_denorm_mode_16_64 3
		.amdhsa_dx10_clamp 1
		.amdhsa_ieee_mode 1
		.amdhsa_fp16_overflow 0
		.amdhsa_workgroup_processor_mode 1
		.amdhsa_memory_ordered 1
		.amdhsa_forward_progress 0
		.amdhsa_shared_vgpr_count 0
		.amdhsa_exception_fp_ieee_invalid_op 0
		.amdhsa_exception_fp_denorm_src 0
		.amdhsa_exception_fp_ieee_div_zero 0
		.amdhsa_exception_fp_ieee_overflow 0
		.amdhsa_exception_fp_ieee_underflow 0
		.amdhsa_exception_fp_ieee_inexact 0
		.amdhsa_exception_int_div_zero 0
	.end_amdhsa_kernel
	.section	.text._ZL36rocblas_hemvn_kernel_lower_block_sumILi64EiPKfPKPffEviT1_lS5_lT2_lT0_lPT3_i,"axG",@progbits,_ZL36rocblas_hemvn_kernel_lower_block_sumILi64EiPKfPKPffEviT1_lS5_lT2_lT0_lPT3_i,comdat
.Lfunc_end150:
	.size	_ZL36rocblas_hemvn_kernel_lower_block_sumILi64EiPKfPKPffEviT1_lS5_lT2_lT0_lPT3_i, .Lfunc_end150-_ZL36rocblas_hemvn_kernel_lower_block_sumILi64EiPKfPKPffEviT1_lS5_lT2_lT0_lPT3_i
                                        ; -- End function
	.section	.AMDGPU.csdata,"",@progbits
; Kernel info:
; codeLenInByte = 732
; NumSgprs: 26
; NumVgprs: 7
; ScratchSize: 0
; MemoryBound: 0
; FloatMode: 240
; IeeeMode: 1
; LDSByteSize: 0 bytes/workgroup (compile time only)
; SGPRBlocks: 3
; VGPRBlocks: 0
; NumSGPRsForWavesPerEU: 26
; NumVGPRsForWavesPerEU: 7
; Occupancy: 16
; WaveLimiterHint : 1
; COMPUTE_PGM_RSRC2:SCRATCH_EN: 0
; COMPUTE_PGM_RSRC2:USER_SGPR: 14
; COMPUTE_PGM_RSRC2:TRAP_HANDLER: 0
; COMPUTE_PGM_RSRC2:TGID_X_EN: 1
; COMPUTE_PGM_RSRC2:TGID_Y_EN: 0
; COMPUTE_PGM_RSRC2:TGID_Z_EN: 1
; COMPUTE_PGM_RSRC2:TIDIG_COMP_CNT: 0
	.section	.text._ZL26rocblas_hemvn_kernel_lowerILb0ELi64ELi4ELi33ELi32ELi16ElfPKPKfPfEviT6_lT7_lT5_lS6_lS7_lS5_lT8_i,"axG",@progbits,_ZL26rocblas_hemvn_kernel_lowerILb0ELi64ELi4ELi33ELi32ELi16ElfPKPKfPfEviT6_lT7_lT5_lS6_lS7_lS5_lT8_i,comdat
	.globl	_ZL26rocblas_hemvn_kernel_lowerILb0ELi64ELi4ELi33ELi32ELi16ElfPKPKfPfEviT6_lT7_lT5_lS6_lS7_lS5_lT8_i ; -- Begin function _ZL26rocblas_hemvn_kernel_lowerILb0ELi64ELi4ELi33ELi32ELi16ElfPKPKfPfEviT6_lT7_lT5_lS6_lS7_lS5_lT8_i
	.p2align	8
	.type	_ZL26rocblas_hemvn_kernel_lowerILb0ELi64ELi4ELi33ELi32ELi16ElfPKPKfPfEviT6_lT7_lT5_lS6_lS7_lS5_lT8_i,@function
_ZL26rocblas_hemvn_kernel_lowerILb0ELi64ELi4ELi33ELi32ELi16ElfPKPKfPfEviT6_lT7_lT5_lS6_lS7_lS5_lT8_i: ; @_ZL26rocblas_hemvn_kernel_lowerILb0ELi64ELi4ELi33ELi32ELi16ElfPKPKfPfEviT6_lT7_lT5_lS6_lS7_lS5_lT8_i
; %bb.0:
	s_load_b64 s[4:5], s[0:1], 0x7c
	s_add_u32 s2, s0, 0x70
	s_addc_u32 s3, s1, 0
	s_waitcnt lgkmcnt(0)
	s_lshr_b32 s6, s4, 16
	s_and_b32 s4, s4, 0xffff
	s_and_b32 s5, s5, 0xffff
	s_mul_i32 s4, s6, s4
	s_delay_alu instid0(SALU_CYCLE_1) | instskip(NEXT) | instid1(SALU_CYCLE_1)
	s_mul_i32 s4, s4, s5
	s_cmpk_lg_i32 s4, 0x100
	s_cbranch_scc1 .LBB151_80
; %bb.1:
	s_clause 0x1
	s_load_b64 s[20:21], s[0:1], 0x0
	s_load_b32 s4, s[0:1], 0x50
	s_waitcnt lgkmcnt(0)
	v_cmp_eq_f32_e64 s8, s21, 0
	v_cmp_eq_f32_e64 s4, s4, 1.0
	s_delay_alu instid0(VALU_DEP_1) | instskip(NEXT) | instid1(SALU_CYCLE_1)
	s_and_b32 s4, s8, s4
	s_and_b32 vcc_lo, exec_lo, s4
	s_cbranch_vccnz .LBB151_80
; %bb.2:
	s_clause 0x1
	s_load_b128 s[4:7], s[0:1], 0x10
	s_load_b64 s[12:13], s[0:1], 0x20
	s_mov_b32 s18, s15
	v_cmp_neq_f32_e64 s15, s21, 0
	s_mov_b64 s[16:17], 0
	s_and_b32 vcc_lo, exec_lo, s8
	s_mov_b64 s[8:9], 0
	s_cbranch_vccnz .LBB151_4
; %bb.3:
	s_mov_b32 s19, 0
	s_delay_alu instid0(SALU_CYCLE_1)
	s_lshl_b64 s[8:9], s[18:19], 3
	s_waitcnt lgkmcnt(0)
	s_add_u32 s4, s4, s8
	s_addc_u32 s5, s5, s9
	s_lshl_b64 s[6:7], s[6:7], 2
	s_load_b64 s[4:5], s[4:5], 0x0
	s_waitcnt lgkmcnt(0)
	s_add_u32 s8, s4, s6
	s_addc_u32 s9, s5, s7
.LBB151_4:
	s_waitcnt lgkmcnt(0)
	s_clause 0x1
	s_load_b128 s[4:7], s[0:1], 0x30
	s_load_b64 s[10:11], s[0:1], 0x40
	v_cndmask_b32_e64 v1, 0, 1, s15
	s_and_not1_b32 vcc_lo, exec_lo, s15
	s_cbranch_vccnz .LBB151_6
; %bb.5:
	s_mov_b32 s19, 0
	s_delay_alu instid0(SALU_CYCLE_1)
	s_lshl_b64 s[16:17], s[18:19], 3
	s_waitcnt lgkmcnt(0)
	s_add_u32 s4, s4, s16
	s_addc_u32 s5, s5, s17
	s_lshl_b64 s[6:7], s[6:7], 2
	s_load_b64 s[4:5], s[4:5], 0x0
	s_waitcnt lgkmcnt(0)
	s_add_u32 s16, s4, s6
	s_addc_u32 s17, s5, s7
.LBB151_6:
	s_delay_alu instid0(VALU_DEP_1)
	v_cmp_ne_u32_e32 vcc_lo, 1, v1
	s_cbranch_vccnz .LBB151_80
; %bb.7:
	v_and_b32_e32 v18, 0x3ff, v0
	s_lshl_b32 s22, s14, 6
	s_load_b32 s15, s[2:3], 0x0
	s_ashr_i32 s19, s20, 31
	v_bfe_u32 v16, v0, 10, 10
	v_add_nc_u32_e32 v4, s22, v18
	s_lshr_b32 s2, s19, 26
	s_delay_alu instid0(SALU_CYCLE_1) | instskip(NEXT) | instid1(SALU_CYCLE_1)
	s_add_i32 s2, s20, s2
	s_and_b32 s3, s2, 0xffffffc0
	s_delay_alu instid0(VALU_DEP_1)
	v_ashrrev_i32_e32 v5, 31, v4
	s_waitcnt lgkmcnt(0)
	v_mul_lo_u32 v3, v4, s11
	v_mad_u64_u32 v[1:2], null, v4, s10, 0
	v_cmp_ne_u32_e64 s2, 0, v16
	v_mul_lo_u32 v6, v5, s10
	s_sub_i32 s4, s20, s3
	v_cmp_eq_u32_e64 s3, 0, v16
	s_add_i32 s5, s15, -1
	s_delay_alu instid0(VALU_DEP_2) | instskip(SKIP_2) | instid1(VALU_DEP_1)
	v_add3_u32 v2, v2, v3, v6
	s_cmp_eq_u32 s14, s5
	s_cselect_b32 s24, s4, 0
	v_lshlrev_b64 v[0:1], 2, v[1:2]
	s_delay_alu instid0(VALU_DEP_1) | instskip(NEXT) | instid1(VALU_DEP_2)
	v_add_co_u32 v6, vcc_lo, s16, v0
	v_add_co_ci_u32_e32 v7, vcc_lo, s17, v1, vcc_lo
	s_and_saveexec_b32 s4, s3
	s_cbranch_execz .LBB151_11
; %bb.8:
	v_cmp_gt_i32_e32 vcc_lo, s24, v18
	s_cmp_eq_u32 s24, 0
	v_mov_b32_e32 v0, 0
	s_cselect_b32 s5, -1, 0
	s_delay_alu instid0(SALU_CYCLE_1) | instskip(NEXT) | instid1(SALU_CYCLE_1)
	s_or_b32 s6, s5, vcc_lo
	s_and_saveexec_b32 s5, s6
	s_cbranch_execz .LBB151_10
; %bb.9:
	flat_load_b32 v0, v[6:7]
.LBB151_10:
	s_or_b32 exec_lo, exec_lo, s5
	v_lshlrev_b32_e32 v1, 2, v18
	s_waitcnt vmcnt(0) lgkmcnt(0)
	ds_store_b32 v1, v0 offset:4544
.LBB151_11:
	s_or_b32 exec_lo, exec_lo, s4
	v_lshl_add_u32 v19, v16, 6, v18
	v_dual_mov_b32 v1, 0 :: v_dual_and_b32 v0, 31, v18
	s_ashr_i32 s23, s22, 31
	s_mul_i32 s6, s22, s13
	s_delay_alu instid0(VALU_DEP_2)
	v_lshrrev_b32_e32 v3, 5, v19
	s_lshl_b64 s[4:5], s[22:23], 2
	s_mul_hi_u32 s7, s22, s12
	s_add_u32 s8, s8, s4
	s_mul_i32 s16, s23, s12
	v_mad_u64_u32 v[8:9], null, v3, s12, v[0:1]
	s_addc_u32 s9, s9, s5
	s_add_i32 s5, s7, s6
	s_mul_i32 s4, s22, s12
	s_add_i32 s5, s5, s16
	s_delay_alu instid0(SALU_CYCLE_1) | instskip(NEXT) | instid1(VALU_DEP_1)
	s_lshl_b64 s[26:27], s[4:5], 2
	v_mov_b32_e32 v1, v9
	s_add_u32 s4, s26, s8
	s_addc_u32 s5, s27, s9
	s_cmp_lg_u32 s24, 0
	s_cselect_b32 s21, -1, 0
	v_mad_u64_u32 v[9:10], null, v3, s13, v[1:2]
	s_cmp_eq_u32 s24, 0
	s_cselect_b32 s9, -1, 0
	s_delay_alu instid0(VALU_DEP_1) | instskip(NEXT) | instid1(VALU_DEP_1)
	v_lshlrev_b64 v[8:9], 2, v[8:9]
	v_add_co_u32 v1, vcc_lo, s4, v8
	s_delay_alu instid0(VALU_DEP_2)
	v_add_co_ci_u32_e32 v2, vcc_lo, s5, v9, vcc_lo
	s_and_b32 vcc_lo, exec_lo, s21
	s_mov_b32 s4, 0
	s_cbranch_vccnz .LBB151_13
; %bb.12:
	flat_load_b32 v12, v[1:2]
	v_mul_u32_u24_e32 v10, 33, v3
	s_lshl_b64 s[6:7], s[12:13], 5
	s_delay_alu instid0(VALU_DEP_1)
	v_add_lshl_u32 v14, v10, v0, 2
	v_add_co_u32 v10, vcc_lo, v1, s6
	v_add_co_ci_u32_e32 v11, vcc_lo, s7, v2, vcc_lo
	s_waitcnt vmcnt(0) lgkmcnt(0)
	ds_store_b32 v14, v12
	flat_load_b32 v12, v[10:11]
	v_add_co_u32 v10, vcc_lo, v10, s6
	v_add_co_ci_u32_e32 v11, vcc_lo, s7, v11, vcc_lo
	s_waitcnt vmcnt(0) lgkmcnt(0)
	ds_store_b32 v14, v12 offset:1056
	flat_load_b32 v15, v[10:11]
	v_mad_u64_u32 v[10:11], null, 0x60, s12, v[1:2]
	s_delay_alu instid0(VALU_DEP_1) | instskip(NEXT) | instid1(VALU_DEP_1)
	v_mad_u64_u32 v[12:13], null, 0x60, s13, v[11:12]
	v_mov_b32_e32 v11, v12
	s_waitcnt vmcnt(0) lgkmcnt(0)
	ds_store_b32 v14, v15 offset:2112
	flat_load_b32 v10, v[10:11]
	s_waitcnt vmcnt(0) lgkmcnt(0)
	ds_store_b32 v14, v10 offset:3168
	s_and_not1_b32 vcc_lo, exec_lo, s4
	s_cbranch_vccz .LBB151_14
	s_branch .LBB151_23
.LBB151_13:
.LBB151_14:
	v_lshlrev_b32_e32 v12, 2, v0
	s_ashr_i32 s25, s24, 31
	v_dual_mov_b32 v14, 0 :: v_dual_mov_b32 v15, 0
	s_lshl_b64 s[6:7], s[24:25], 2
	s_delay_alu instid0(VALU_DEP_2) | instskip(SKIP_2) | instid1(VALU_DEP_2)
	v_sub_co_u32 v10, vcc_lo, v1, v12
	v_subrev_co_ci_u32_e32 v11, vcc_lo, 0, v2, vcc_lo
	s_mov_b32 s5, exec_lo
	v_add_co_u32 v10, vcc_lo, v10, s6
	s_delay_alu instid0(VALU_DEP_2) | instskip(NEXT) | instid1(VALU_DEP_2)
	v_add_co_ci_u32_e32 v11, vcc_lo, s7, v11, vcc_lo
	v_add_co_u32 v10, vcc_lo, v10, -4
	s_delay_alu instid0(VALU_DEP_2) | instskip(SKIP_1) | instid1(VALU_DEP_2)
	v_add_co_ci_u32_e32 v11, vcc_lo, -1, v11, vcc_lo
	v_cmp_gt_i32_e32 vcc_lo, s24, v0
	v_dual_cndmask_b32 v11, v11, v2 :: v_dual_cndmask_b32 v10, v10, v1
	v_cmpx_gt_i32_e64 s24, v3
	s_cbranch_execz .LBB151_16
; %bb.15:
	flat_load_b32 v15, v[10:11]
.LBB151_16:
	s_or_b32 exec_lo, exec_lo, s5
	v_mul_u32_u24_e32 v13, 33, v3
	v_add_nc_u32_e32 v17, 8, v3
	s_mov_b32 s5, exec_lo
	s_delay_alu instid0(VALU_DEP_2)
	v_add_lshl_u32 v13, v13, v0, 2
	s_waitcnt vmcnt(0) lgkmcnt(0)
	ds_store_b32 v13, v15
	v_cmpx_gt_i32_e64 s24, v17
	s_cbranch_execz .LBB151_18
; %bb.17:
	s_lshl_b64 s[16:17], s[12:13], 5
	s_delay_alu instid0(SALU_CYCLE_1) | instskip(NEXT) | instid1(VALU_DEP_1)
	v_add_co_u32 v14, s4, v10, s16
	v_add_co_ci_u32_e64 v15, s4, s17, v11, s4
	flat_load_b32 v14, v[14:15]
.LBB151_18:
	s_or_b32 exec_lo, exec_lo, s5
	v_add_nc_u32_e32 v17, 16, v3
	v_mov_b32_e32 v15, 0
	s_waitcnt vmcnt(0) lgkmcnt(0)
	ds_store_b32 v13, v14 offset:1056
	v_cmp_gt_i32_e64 s4, s24, v17
	v_mov_b32_e32 v17, 0
	s_delay_alu instid0(VALU_DEP_2)
	s_and_saveexec_b32 s5, s4
	s_cbranch_execz .LBB151_20
; %bb.19:
	s_lshl_b64 s[16:17], s[12:13], 6
	s_delay_alu instid0(SALU_CYCLE_1) | instskip(NEXT) | instid1(VALU_DEP_1)
	v_add_co_u32 v20, s4, v10, s16
	v_add_co_ci_u32_e64 v21, s4, s17, v11, s4
	flat_load_b32 v17, v[20:21]
.LBB151_20:
	s_or_b32 exec_lo, exec_lo, s5
	v_add_nc_u32_e32 v14, 24, v3
	s_mov_b32 s5, exec_lo
	s_waitcnt vmcnt(0) lgkmcnt(0)
	ds_store_b32 v13, v17 offset:2112
	v_cmpx_gt_i32_e64 s24, v14
	s_cbranch_execz .LBB151_22
; %bb.21:
	v_mad_u64_u32 v[14:15], null, 0x60, s12, v[10:11]
	s_delay_alu instid0(VALU_DEP_1) | instskip(NEXT) | instid1(VALU_DEP_1)
	v_mad_u64_u32 v[20:21], null, 0x60, s13, v[15:16]
	v_mov_b32_e32 v15, v20
	flat_load_b32 v15, v[14:15]
.LBB151_22:
	s_or_b32 exec_lo, exec_lo, s5
	v_add_co_u32 v10, s4, v10, v12
	s_delay_alu instid0(VALU_DEP_1) | instskip(SKIP_3) | instid1(VALU_DEP_1)
	v_add_co_ci_u32_e64 v11, s4, 0, v11, s4
	s_waitcnt vmcnt(0) lgkmcnt(0)
	ds_store_b32 v13, v15 offset:3168
	v_sub_co_u32 v10, s4, v10, s6
	v_subrev_co_ci_u32_e64 v11, s4, s7, v11, s4
	s_delay_alu instid0(VALU_DEP_2) | instskip(NEXT) | instid1(VALU_DEP_1)
	v_add_co_u32 v10, s4, v10, 4
	v_add_co_ci_u32_e64 v11, s4, 0, v11, s4
	s_delay_alu instid0(VALU_DEP_1)
	v_dual_cndmask_b32 v1, v10, v1 :: v_dual_cndmask_b32 v2, v11, v2
.LBB151_23:
	v_lshlrev_b32_e32 v12, 2, v3
	v_mul_u32_u24_e32 v20, 33, v0
	v_mul_u32_u24_e32 v11, 0x84, v3
	s_waitcnt lgkmcnt(0)
	s_barrier
	v_cmp_lt_u32_e64 s5, v12, v0
	v_add_lshl_u32 v14, v12, v20, 2
	buffer_gl0_inv
	s_and_saveexec_b32 s4, s5
	s_cbranch_execz .LBB151_25
; %bb.24:
	v_add_lshl_u32 v10, v11, v0, 2
	ds_load_b32 v10, v10
	s_waitcnt lgkmcnt(0)
	ds_store_b32 v14, v10
.LBB151_25:
	s_or_b32 exec_lo, exec_lo, s4
	v_or_b32_e32 v10, 1, v12
	s_delay_alu instid0(VALU_DEP_1) | instskip(NEXT) | instid1(VALU_DEP_1)
	v_cmp_lt_u32_e64 s6, v10, v0
	s_and_saveexec_b32 s4, s6
	s_cbranch_execz .LBB151_27
; %bb.26:
	v_mul_u32_u24_e32 v10, 33, v10
	s_delay_alu instid0(VALU_DEP_1)
	v_add_lshl_u32 v10, v10, v0, 2
	ds_load_b32 v10, v10
	s_waitcnt lgkmcnt(0)
	ds_store_b32 v14, v10 offset:4
.LBB151_27:
	s_or_b32 exec_lo, exec_lo, s4
	v_or_b32_e32 v10, 2, v12
	s_delay_alu instid0(VALU_DEP_1) | instskip(NEXT) | instid1(VALU_DEP_1)
	v_cmp_lt_u32_e64 s7, v10, v0
	s_and_saveexec_b32 s4, s7
	s_cbranch_execz .LBB151_29
; %bb.28:
	v_mul_u32_u24_e32 v10, 33, v10
	s_delay_alu instid0(VALU_DEP_1)
	v_add_lshl_u32 v10, v10, v0, 2
	ds_load_b32 v10, v10
	s_waitcnt lgkmcnt(0)
	ds_store_b32 v14, v10 offset:8
.LBB151_29:
	s_or_b32 exec_lo, exec_lo, s4
	v_or_b32_e32 v10, 3, v12
	s_delay_alu instid0(VALU_DEP_1) | instskip(SKIP_1) | instid1(VALU_DEP_2)
	v_mad_u32_u24 v13, v10, 33, v0
	v_cmp_lt_u32_e64 s8, v10, v0
	v_lshlrev_b32_e32 v10, 2, v13
	s_delay_alu instid0(VALU_DEP_2)
	s_and_saveexec_b32 s4, s8
	s_cbranch_execz .LBB151_31
; %bb.30:
	ds_load_b32 v13, v10
	s_waitcnt lgkmcnt(0)
	ds_store_b32 v14, v13 offset:12
.LBB151_31:
	s_or_b32 exec_lo, exec_lo, s4
	v_add_lshl_u32 v11, v11, v0, 2
	v_lshlrev_b32_e32 v13, 2, v12
	v_add_nc_u32_e32 v15, 0xfffffef8, v10
	s_waitcnt lgkmcnt(0)
	s_barrier
	buffer_gl0_inv
	ds_load_b32 v17, v11
	ds_load_b128 v[21:24], v13 offset:4544
	ds_load_2addr_b32 v[25:26], v15 offset1:33
	ds_load_b32 v27, v10
	v_cmp_gt_u32_e64 s4, 32, v19
	s_waitcnt lgkmcnt(0)
	s_barrier
	buffer_gl0_inv
	v_fma_f32 v28, v17, v21, 0
	v_add_lshl_u32 v21, v3, v20, 2
	s_delay_alu instid0(VALU_DEP_2) | instskip(NEXT) | instid1(VALU_DEP_1)
	v_fmac_f32_e32 v28, v25, v22
	v_dual_fmac_f32 v28, v26, v23 :: v_dual_mov_b32 v17, 0
	s_delay_alu instid0(VALU_DEP_1)
	v_fmac_f32_e32 v28, v27, v24
	ds_store_b32 v21, v28
	s_waitcnt lgkmcnt(0)
	s_barrier
	buffer_gl0_inv
	s_and_saveexec_b32 s16, s4
	s_cbranch_execz .LBB151_33
; %bb.32:
	v_lshlrev_b32_e32 v17, 2, v20
	ds_load_2addr_b32 v[22:23], v17 offset1:1
	ds_load_2addr_b32 v[24:25], v17 offset0:2 offset1:3
	ds_load_2addr_b32 v[26:27], v17 offset0:4 offset1:5
	;; [unrolled: 1-line block ×3, first 2 shown]
	s_waitcnt lgkmcnt(3)
	v_add_f32_e32 v17, v22, v23
	s_waitcnt lgkmcnt(2)
	s_delay_alu instid0(VALU_DEP_1) | instskip(NEXT) | instid1(VALU_DEP_1)
	v_add_f32_e32 v17, v17, v24
	v_add_f32_e32 v17, v17, v25
	s_waitcnt lgkmcnt(1)
	s_delay_alu instid0(VALU_DEP_1) | instskip(NEXT) | instid1(VALU_DEP_1)
	v_add_f32_e32 v17, v17, v26
	;; [unrolled: 4-line block ×3, first 2 shown]
	v_add_f32_e32 v17, v17, v29
.LBB151_33:
	s_or_b32 exec_lo, exec_lo, s16
	s_lshl_b64 s[16:17], s[12:13], 7
	v_cndmask_b32_e64 v22, 0, 1, s9
	v_add_co_u32 v1, vcc_lo, v1, s16
	v_add_co_ci_u32_e32 v2, vcc_lo, s17, v2, vcc_lo
	s_lshl_b64 s[28:29], s[12:13], 5
	s_delay_alu instid0(VALU_DEP_2) | instskip(NEXT) | instid1(VALU_DEP_2)
	v_add_co_u32 v23, vcc_lo, 0x80, v1
	v_add_co_ci_u32_e32 v24, vcc_lo, 0, v2, vcc_lo
	s_and_not1_b32 vcc_lo, exec_lo, s9
	s_barrier
	buffer_gl0_inv
	s_cbranch_vccnz .LBB151_35
; %bb.34:
	flat_load_b32 v27, v[1:2] offset:128
	v_mul_u32_u24_e32 v25, 33, v3
	s_delay_alu instid0(VALU_DEP_1)
	v_add_lshl_u32 v28, v25, v0, 2
	v_add_co_u32 v25, vcc_lo, v1, s28
	v_add_co_ci_u32_e32 v26, vcc_lo, s29, v2, vcc_lo
	s_waitcnt vmcnt(0) lgkmcnt(0)
	ds_store_b32 v28, v27
	flat_load_b32 v27, v[25:26] offset:128
	v_add_co_u32 v25, vcc_lo, v25, s28
	v_add_co_ci_u32_e32 v26, vcc_lo, s29, v26, vcc_lo
	s_waitcnt vmcnt(0) lgkmcnt(0)
	ds_store_b32 v28, v27 offset:1056
	flat_load_b32 v29, v[25:26] offset:128
	v_mad_u64_u32 v[25:26], null, 0x60, s12, v[1:2]
	s_delay_alu instid0(VALU_DEP_1) | instskip(NEXT) | instid1(VALU_DEP_1)
	v_mov_b32_e32 v1, v26
	v_mad_u64_u32 v[26:27], null, 0x60, s13, v[1:2]
	s_waitcnt vmcnt(0) lgkmcnt(0)
	ds_store_b32 v28, v29 offset:2112
	flat_load_b32 v1, v[25:26] offset:128
	s_waitcnt vmcnt(0) lgkmcnt(0)
	ds_store_b32 v28, v1 offset:3168
	s_cbranch_execz .LBB151_36
	s_branch .LBB151_45
.LBB151_35:
.LBB151_36:
	v_or_b32_e32 v1, 32, v0
	s_ashr_i32 s25, s24, 31
	s_mov_b32 s33, exec_lo
	s_lshl_b64 s[30:31], s[24:25], 2
	s_sub_i32 s25, s24, 32
	v_dual_mov_b32 v27, 0 :: v_dual_lshlrev_b32 v2, 2, v1
	s_delay_alu instid0(VALU_DEP_1) | instskip(SKIP_1) | instid1(VALU_DEP_2)
	v_sub_co_u32 v2, vcc_lo, v23, v2
	v_subrev_co_ci_u32_e32 v25, vcc_lo, 0, v24, vcc_lo
	v_add_co_u32 v2, vcc_lo, v2, s30
	s_delay_alu instid0(VALU_DEP_2) | instskip(NEXT) | instid1(VALU_DEP_2)
	v_add_co_ci_u32_e32 v25, vcc_lo, s31, v25, vcc_lo
	v_add_co_u32 v26, vcc_lo, v2, -4
	s_delay_alu instid0(VALU_DEP_2) | instskip(SKIP_1) | instid1(VALU_DEP_2)
	v_add_co_ci_u32_e32 v2, vcc_lo, -1, v25, vcc_lo
	v_cmp_gt_i32_e32 vcc_lo, s24, v1
	v_cndmask_b32_e32 v2, v2, v24, vcc_lo
	s_delay_alu instid0(VALU_DEP_4)
	v_dual_cndmask_b32 v1, v26, v23 :: v_dual_mov_b32 v26, 0
	v_cmpx_gt_i32_e64 s25, v3
	s_cbranch_execz .LBB151_38
; %bb.37:
	flat_load_b32 v26, v[1:2]
.LBB151_38:
	s_or_b32 exec_lo, exec_lo, s33
	v_mul_u32_u24_e32 v25, 33, v3
	v_add_nc_u32_e32 v28, 8, v3
	s_mov_b32 s33, exec_lo
	s_delay_alu instid0(VALU_DEP_2)
	v_add_lshl_u32 v25, v25, v0, 2
	s_waitcnt vmcnt(0) lgkmcnt(0)
	ds_store_b32 v25, v26
	v_cmpx_gt_i32_e64 s25, v28
	s_cbranch_execz .LBB151_40
; %bb.39:
	v_add_co_u32 v26, s9, v1, s28
	s_delay_alu instid0(VALU_DEP_1)
	v_add_co_ci_u32_e64 v27, s9, s29, v2, s9
	flat_load_b32 v27, v[26:27]
.LBB151_40:
	s_or_b32 exec_lo, exec_lo, s33
	v_add_nc_u32_e32 v28, 16, v3
	v_mov_b32_e32 v26, 0
	s_waitcnt vmcnt(0) lgkmcnt(0)
	ds_store_b32 v25, v27 offset:1056
	v_cmp_gt_i32_e64 s9, s25, v28
	v_mov_b32_e32 v28, 0
	s_delay_alu instid0(VALU_DEP_2)
	s_and_saveexec_b32 s33, s9
	s_cbranch_execz .LBB151_42
; %bb.41:
	s_lshl_b64 s[34:35], s[12:13], 6
	s_delay_alu instid0(SALU_CYCLE_1) | instskip(NEXT) | instid1(VALU_DEP_1)
	v_add_co_u32 v27, s9, v1, s34
	v_add_co_ci_u32_e64 v28, s9, s35, v2, s9
	flat_load_b32 v28, v[27:28]
.LBB151_42:
	s_or_b32 exec_lo, exec_lo, s33
	v_add_nc_u32_e32 v27, 24, v3
	s_waitcnt vmcnt(0) lgkmcnt(0)
	ds_store_b32 v25, v28 offset:2112
	v_cmp_gt_i32_e64 s9, s25, v27
	s_delay_alu instid0(VALU_DEP_1)
	s_and_saveexec_b32 s25, s9
	s_cbranch_execz .LBB151_44
; %bb.43:
	v_mad_u64_u32 v[26:27], null, 0x60, s12, v[1:2]
	s_delay_alu instid0(VALU_DEP_1) | instskip(NEXT) | instid1(VALU_DEP_1)
	v_mad_u64_u32 v[28:29], null, 0x60, s13, v[27:28]
	v_mov_b32_e32 v27, v28
	flat_load_b32 v26, v[26:27]
.LBB151_44:
	s_or_b32 exec_lo, exec_lo, s25
	v_lshlrev_b32_e32 v27, 2, v0
	s_waitcnt vmcnt(0) lgkmcnt(0)
	ds_store_b32 v25, v26 offset:3168
	v_add_co_u32 v1, s9, v1, v27
	s_delay_alu instid0(VALU_DEP_1) | instskip(NEXT) | instid1(VALU_DEP_2)
	v_add_co_ci_u32_e64 v2, s9, 0, v2, s9
	v_sub_co_u32 v1, s9, v1, s30
	s_delay_alu instid0(VALU_DEP_1) | instskip(NEXT) | instid1(VALU_DEP_2)
	v_subrev_co_ci_u32_e64 v2, s9, s31, v2, s9
	v_add_co_u32 v1, s9, 0x84, v1
	s_delay_alu instid0(VALU_DEP_1) | instskip(NEXT) | instid1(VALU_DEP_1)
	v_add_co_ci_u32_e64 v2, s9, 0, v2, s9
	v_dual_cndmask_b32 v23, v1, v23 :: v_dual_cndmask_b32 v24, v2, v24
.LBB151_45:
	v_add_nc_u32_e32 v13, 0x11c0, v13
	s_waitcnt lgkmcnt(0)
	s_barrier
	buffer_gl0_inv
	s_and_saveexec_b32 s9, s5
	s_cbranch_execnz .LBB151_54
; %bb.46:
	s_or_b32 exec_lo, exec_lo, s9
	s_and_saveexec_b32 s5, s6
	s_cbranch_execnz .LBB151_55
.LBB151_47:
	s_or_b32 exec_lo, exec_lo, s5
	s_and_saveexec_b32 s5, s7
	s_cbranch_execnz .LBB151_56
.LBB151_48:
	s_or_b32 exec_lo, exec_lo, s5
	s_and_saveexec_b32 s5, s8
	s_cbranch_execz .LBB151_50
.LBB151_49:
	ds_load_b32 v1, v10
	s_waitcnt lgkmcnt(0)
	ds_store_b32 v14, v1 offset:12
.LBB151_50:
	s_or_b32 exec_lo, exec_lo, s5
	s_waitcnt lgkmcnt(0)
	s_barrier
	buffer_gl0_inv
	ds_load_b32 v11, v11
	ds_load_b128 v[25:28], v13 offset:128
	ds_load_2addr_b32 v[1:2], v15 offset1:33
	ds_load_b32 v10, v10
	v_cmp_eq_u32_e64 s5, 1, v3
	s_waitcnt lgkmcnt(0)
	s_barrier
	buffer_gl0_inv
	v_fma_f32 v11, v11, v25, 0
	s_delay_alu instid0(VALU_DEP_1) | instskip(NEXT) | instid1(VALU_DEP_1)
	v_fmac_f32_e32 v11, v1, v26
	v_fmac_f32_e32 v11, v2, v27
	s_delay_alu instid0(VALU_DEP_1)
	v_fmac_f32_e32 v11, v10, v28
	ds_store_b32 v21, v11
	s_waitcnt lgkmcnt(0)
	s_barrier
	buffer_gl0_inv
	s_and_saveexec_b32 s6, s5
	s_cbranch_execz .LBB151_52
; %bb.51:
	v_lshlrev_b32_e32 v15, 2, v20
	ds_load_2addr_b32 v[1:2], v15 offset1:1
	ds_load_2addr_b32 v[10:11], v15 offset0:2 offset1:3
	ds_load_2addr_b32 v[25:26], v15 offset0:4 offset1:5
	;; [unrolled: 1-line block ×3, first 2 shown]
	s_waitcnt lgkmcnt(3)
	v_add_f32_e32 v1, v1, v2
	s_waitcnt lgkmcnt(2)
	s_delay_alu instid0(VALU_DEP_1) | instskip(NEXT) | instid1(VALU_DEP_1)
	v_add_f32_e32 v1, v1, v10
	v_add_f32_e32 v1, v1, v11
	s_waitcnt lgkmcnt(1)
	s_delay_alu instid0(VALU_DEP_1) | instskip(NEXT) | instid1(VALU_DEP_1)
	v_add_f32_e32 v1, v1, v25
	;; [unrolled: 4-line block ×3, first 2 shown]
	v_add_f32_e32 v17, v1, v28
.LBB151_52:
	s_or_b32 exec_lo, exec_lo, s6
	s_lshl_b64 s[6:7], s[28:29], 2
	v_cmp_ne_u32_e32 vcc_lo, 1, v22
	v_sub_co_u32 v10, s6, v23, s6
	s_delay_alu instid0(VALU_DEP_1)
	v_subrev_co_ci_u32_e64 v11, s6, s7, v24, s6
	s_barrier
	buffer_gl0_inv
	s_cbranch_vccnz .LBB151_57
; %bb.53:
	flat_load_b32 v22, v[10:11]
	v_mad_u32_u24 v15, v3, 33, v0
	v_add_co_u32 v1, vcc_lo, v10, s28
	v_add_co_ci_u32_e32 v2, vcc_lo, s29, v11, vcc_lo
	s_delay_alu instid0(VALU_DEP_3)
	v_lshlrev_b32_e32 v26, 2, v15
	v_add_nc_u32_e32 v25, 0x108, v15
	s_waitcnt vmcnt(0) lgkmcnt(0)
	ds_store_b32 v26, v22
	flat_load_b32 v22, v[1:2]
	v_add_co_u32 v1, vcc_lo, v1, s28
	v_add_co_ci_u32_e32 v2, vcc_lo, s29, v2, vcc_lo
	s_waitcnt vmcnt(0) lgkmcnt(0)
	ds_store_b32 v26, v22 offset:1056
	flat_load_b32 v24, v[1:2]
	v_mad_u64_u32 v[1:2], null, 0x60, s12, v[10:11]
	s_delay_alu instid0(VALU_DEP_1) | instskip(NEXT) | instid1(VALU_DEP_1)
	v_mad_u64_u32 v[22:23], null, 0x60, s13, v[2:3]
	v_dual_mov_b32 v2, v22 :: v_dual_add_nc_u32 v23, 16, v3
	v_add_nc_u32_e32 v22, 8, v3
	s_waitcnt vmcnt(0) lgkmcnt(0)
	ds_store_b32 v26, v24 offset:2112
	flat_load_b32 v27, v[1:2]
	v_add_nc_u32_e32 v1, 0x210, v15
	v_add_nc_u32_e32 v24, 24, v3
	;; [unrolled: 1-line block ×3, first 2 shown]
	s_waitcnt vmcnt(0) lgkmcnt(0)
	ds_store_b32 v26, v27 offset:3168
	s_cbranch_execz .LBB151_58
	s_branch .LBB151_67
.LBB151_54:
	ds_load_b32 v1, v11
	s_waitcnt lgkmcnt(0)
	ds_store_b32 v14, v1
	s_or_b32 exec_lo, exec_lo, s9
	s_and_saveexec_b32 s5, s6
	s_cbranch_execz .LBB151_47
.LBB151_55:
	ds_load_b32 v1, v15
	s_waitcnt lgkmcnt(0)
	ds_store_b32 v14, v1 offset:4
	s_or_b32 exec_lo, exec_lo, s5
	s_and_saveexec_b32 s5, s7
	s_cbranch_execz .LBB151_48
.LBB151_56:
	ds_load_b32 v1, v15 offset:132
	s_waitcnt lgkmcnt(0)
	ds_store_b32 v14, v1 offset:8
	s_or_b32 exec_lo, exec_lo, s5
	s_and_saveexec_b32 s5, s8
	s_cbranch_execnz .LBB151_49
	s_branch .LBB151_50
.LBB151_57:
                                        ; implicit-def: $vgpr15
                                        ; implicit-def: $vgpr22
                                        ; implicit-def: $vgpr25
                                        ; implicit-def: $vgpr23
                                        ; implicit-def: $vgpr1
                                        ; implicit-def: $vgpr24
                                        ; implicit-def: $vgpr2
.LBB151_58:
	v_or_b32_e32 v1, 32, v0
	s_ashr_i32 s25, s24, 31
	v_dual_mov_b32 v24, 0 :: v_dual_mov_b32 v23, 0
	s_lshl_b64 s[8:9], s[24:25], 2
	s_delay_alu instid0(VALU_DEP_2) | instskip(SKIP_1) | instid1(VALU_DEP_1)
	v_lshlrev_b32_e32 v2, 2, v1
	s_mov_b32 s7, exec_lo
	v_sub_co_u32 v2, vcc_lo, v10, v2
	v_subrev_co_ci_u32_e32 v15, vcc_lo, 0, v11, vcc_lo
	s_delay_alu instid0(VALU_DEP_2) | instskip(NEXT) | instid1(VALU_DEP_2)
	v_add_co_u32 v2, vcc_lo, v2, s8
	v_add_co_ci_u32_e32 v15, vcc_lo, s9, v15, vcc_lo
	s_delay_alu instid0(VALU_DEP_2) | instskip(NEXT) | instid1(VALU_DEP_2)
	v_add_co_u32 v22, vcc_lo, v2, -4
	v_add_co_ci_u32_e32 v2, vcc_lo, -1, v15, vcc_lo
	v_cmp_gt_i32_e32 vcc_lo, s24, v1
	s_delay_alu instid0(VALU_DEP_3) | instskip(NEXT) | instid1(VALU_DEP_3)
	v_cndmask_b32_e32 v1, v22, v10, vcc_lo
	v_cndmask_b32_e32 v2, v2, v11, vcc_lo
	v_cmpx_gt_i32_e64 s24, v3
	s_cbranch_execz .LBB151_60
; %bb.59:
	flat_load_b32 v23, v[1:2]
.LBB151_60:
	s_or_b32 exec_lo, exec_lo, s7
	v_mad_u32_u24 v15, v3, 33, v0
	v_add_nc_u32_e32 v22, 8, v3
	s_mov_b32 s7, exec_lo
	s_delay_alu instid0(VALU_DEP_2)
	v_lshlrev_b32_e32 v26, 2, v15
	s_waitcnt vmcnt(0) lgkmcnt(0)
	ds_store_b32 v26, v23
	v_cmpx_gt_i32_e64 s24, v22
	s_cbranch_execz .LBB151_62
; %bb.61:
	v_add_co_u32 v23, s6, v1, s28
	s_delay_alu instid0(VALU_DEP_1)
	v_add_co_ci_u32_e64 v24, s6, s29, v2, s6
	flat_load_b32 v24, v[23:24]
.LBB151_62:
	s_or_b32 exec_lo, exec_lo, s7
	v_add_nc_u32_e32 v23, 16, v3
	v_mov_b32_e32 v27, 0
	v_mov_b32_e32 v25, 0
	s_mov_b32 s7, exec_lo
	s_waitcnt vmcnt(0) lgkmcnt(0)
	ds_store_b32 v26, v24 offset:1056
	v_cmpx_gt_i32_e64 s24, v23
	s_cbranch_execz .LBB151_64
; %bb.63:
	s_lshl_b64 s[28:29], s[12:13], 6
	s_delay_alu instid0(SALU_CYCLE_1) | instskip(NEXT) | instid1(VALU_DEP_1)
	v_add_co_u32 v24, s6, v1, s28
	v_add_co_ci_u32_e64 v25, s6, s29, v2, s6
	flat_load_b32 v25, v[24:25]
.LBB151_64:
	s_or_b32 exec_lo, exec_lo, s7
	v_add_nc_u32_e32 v24, 24, v3
	s_mov_b32 s7, exec_lo
	s_waitcnt vmcnt(0) lgkmcnt(0)
	ds_store_b32 v26, v25 offset:2112
	v_cmpx_gt_i32_e64 s24, v24
	s_cbranch_execz .LBB151_66
; %bb.65:
	v_mad_u64_u32 v[27:28], null, 0x60, s12, v[1:2]
	s_delay_alu instid0(VALU_DEP_1) | instskip(NEXT) | instid1(VALU_DEP_1)
	v_mov_b32_e32 v3, v28
	v_mad_u64_u32 v[28:29], null, 0x60, s13, v[3:4]
	flat_load_b32 v27, v[27:28]
.LBB151_66:
	s_or_b32 exec_lo, exec_lo, s7
	v_lshlrev_b32_e32 v0, 2, v0
	s_waitcnt vmcnt(0) lgkmcnt(0)
	ds_store_b32 v26, v27 offset:3168
	v_add_co_u32 v0, s6, v1, v0
	s_delay_alu instid0(VALU_DEP_1) | instskip(SKIP_1) | instid1(VALU_DEP_3)
	v_add_co_ci_u32_e64 v1, s6, 0, v2, s6
	v_add_nc_u32_e32 v2, 0x318, v15
	v_sub_co_u32 v0, s6, v0, s8
	s_delay_alu instid0(VALU_DEP_1) | instskip(NEXT) | instid1(VALU_DEP_2)
	v_subrev_co_ci_u32_e64 v1, s6, s9, v1, s6
	v_add_co_u32 v0, s6, 0x84, v0
	s_delay_alu instid0(VALU_DEP_1) | instskip(NEXT) | instid1(VALU_DEP_2)
	v_add_co_ci_u32_e64 v3, s6, 0, v1, s6
	v_dual_cndmask_b32 v10, v0, v10 :: v_dual_add_nc_u32 v25, 0x108, v15
	v_add_nc_u32_e32 v1, 0x210, v15
	s_delay_alu instid0(VALU_DEP_3)
	v_cndmask_b32_e32 v11, v3, v11, vcc_lo
.LBB151_67:
	v_lshlrev_b32_e32 v0, 2, v15
	s_delay_alu instid0(VALU_DEP_4)
	v_lshlrev_b32_e32 v3, 2, v25
	s_waitcnt lgkmcnt(0)
	s_barrier
	buffer_gl0_inv
	ds_load_b32 v12, v12 offset:4544
	v_lshlrev_b32_e32 v15, 2, v22
	ds_load_b32 v22, v0
	ds_load_b32 v25, v3
	v_lshlrev_b32_e32 v0, 2, v1
	v_lshlrev_b32_e32 v1, 2, v23
	;; [unrolled: 1-line block ×3, first 2 shown]
	ds_load_b32 v23, v15 offset:4544
	v_lshlrev_b32_e32 v3, 2, v24
	ds_load_b32 v24, v0
	ds_load_b32 v26, v1 offset:4544
	ds_load_b32 v27, v2
	ds_load_b32 v28, v3 offset:4544
	ds_load_b128 v[0:3], v13 offset:128
	s_waitcnt lgkmcnt(7)
	v_fma_f32 v22, v22, v12, 0
	ds_load_2addr_b32 v[12:13], v14 offset0:2 offset1:3
	ds_load_2addr_b32 v[14:15], v14 offset1:1
	s_waitcnt lgkmcnt(0)
	s_barrier
	buffer_gl0_inv
	v_fmac_f32_e32 v22, v25, v23
	s_delay_alu instid0(VALU_DEP_1) | instskip(NEXT) | instid1(VALU_DEP_1)
	v_fmac_f32_e32 v22, v24, v26
	v_fmac_f32_e32 v22, v27, v28
	ds_store_b32 v21, v22
	s_waitcnt lgkmcnt(0)
	s_barrier
	buffer_gl0_inv
	s_and_saveexec_b32 s6, s5
	s_cbranch_execz .LBB151_69
; %bb.68:
	v_lshlrev_b32_e32 v28, 2, v20
	ds_load_2addr_b32 v[22:23], v28 offset1:1
	ds_load_2addr_b32 v[24:25], v28 offset0:2 offset1:3
	ds_load_2addr_b32 v[26:27], v28 offset0:4 offset1:5
	;; [unrolled: 1-line block ×3, first 2 shown]
	s_waitcnt lgkmcnt(3)
	v_add_f32_e32 v17, v17, v22
	s_delay_alu instid0(VALU_DEP_1) | instskip(SKIP_1) | instid1(VALU_DEP_1)
	v_add_f32_e32 v17, v17, v23
	s_waitcnt lgkmcnt(2)
	v_add_f32_e32 v17, v17, v24
	s_delay_alu instid0(VALU_DEP_1) | instskip(SKIP_1) | instid1(VALU_DEP_1)
	v_add_f32_e32 v17, v17, v25
	;; [unrolled: 4-line block ×3, first 2 shown]
	s_waitcnt lgkmcnt(0)
	v_add_f32_e32 v17, v17, v28
	s_delay_alu instid0(VALU_DEP_1)
	v_add_f32_e32 v17, v17, v29
.LBB151_69:
	s_or_b32 exec_lo, exec_lo, s6
	v_fma_f32 v0, v14, v0, 0
	s_barrier
	buffer_gl0_inv
	v_fmac_f32_e32 v0, v15, v1
	s_delay_alu instid0(VALU_DEP_1) | instskip(NEXT) | instid1(VALU_DEP_1)
	v_fmac_f32_e32 v0, v12, v2
	v_fmac_f32_e32 v0, v13, v3
	ds_store_b32 v21, v0
	s_waitcnt lgkmcnt(0)
	s_barrier
	buffer_gl0_inv
	s_and_saveexec_b32 s5, s4
	s_cbranch_execz .LBB151_71
; %bb.70:
	v_lshlrev_b32_e32 v14, 2, v20
	ds_load_2addr_b32 v[0:1], v14 offset1:1
	ds_load_2addr_b32 v[2:3], v14 offset0:2 offset1:3
	ds_load_2addr_b32 v[12:13], v14 offset0:4 offset1:5
	;; [unrolled: 1-line block ×3, first 2 shown]
	s_waitcnt lgkmcnt(3)
	v_add_f32_e32 v0, v17, v0
	s_delay_alu instid0(VALU_DEP_1) | instskip(SKIP_1) | instid1(VALU_DEP_1)
	v_add_f32_e32 v0, v0, v1
	s_waitcnt lgkmcnt(2)
	v_add_f32_e32 v0, v0, v2
	s_delay_alu instid0(VALU_DEP_1) | instskip(SKIP_1) | instid1(VALU_DEP_1)
	v_add_f32_e32 v0, v0, v3
	;; [unrolled: 4-line block ×3, first 2 shown]
	s_waitcnt lgkmcnt(0)
	v_add_f32_e32 v0, v0, v14
	s_delay_alu instid0(VALU_DEP_1)
	v_add_f32_e32 v17, v0, v15
.LBB151_71:
	s_or_b32 exec_lo, exec_lo, s5
	s_load_b64 s[0:1], s[0:1], 0x60
	s_mul_hi_u32 s4, s20, s18
	s_mul_i32 s19, s19, s18
	s_mul_i32 s5, s20, s18
	s_add_i32 s4, s4, s19
	s_mul_hi_u32 s6, s5, s15
	s_mul_i32 s7, s4, s15
	s_mul_i32 s4, s5, s15
	s_add_i32 s5, s6, s7
	s_mul_i32 s6, s14, s20
	s_lshl_b64 s[4:5], s[4:5], 2
	v_cmp_le_i32_e32 vcc_lo, s24, v18
	v_lshlrev_b32_e32 v12, 2, v18
	s_waitcnt lgkmcnt(0)
	s_barrier
	buffer_gl0_inv
	s_add_u32 s4, s0, s4
	s_addc_u32 s5, s1, s5
	s_ashr_i32 s7, s6, 31
	s_delay_alu instid0(SALU_CYCLE_1) | instskip(NEXT) | instid1(SALU_CYCLE_1)
	s_lshl_b64 s[0:1], s[6:7], 2
	s_add_u32 s15, s4, s0
	s_addc_u32 s20, s5, s1
	s_and_b32 vcc_lo, s21, vcc_lo
	s_cmp_lt_i32 s14, 1
	s_cbranch_scc1 .LBB151_78
; %bb.72:
	v_lshlrev_b32_e32 v1, 2, v16
	s_mul_i32 s1, s22, s11
	s_mul_hi_u32 s5, s22, s10
	s_ashr_i32 s25, s24, 31
	s_mul_i32 s8, s23, s10
	v_mad_u64_u32 v[2:3], null, v1, s12, 0
	s_add_i32 s1, s5, s1
	s_lshl_b64 s[6:7], s[24:25], 2
	s_add_i32 s5, s1, s8
	s_mul_i32 s1, s13, 12
	s_mul_hi_u32 s18, s12, 12
	s_mul_hi_u32 s23, s12, 0x48
	s_delay_alu instid0(VALU_DEP_1)
	v_mov_b32_e32 v0, v3
	s_add_i32 s21, s18, s1
	s_mul_i32 s1, s13, 0x48
	s_mul_hi_u32 s25, s12, 0x4c
	s_add_i32 s23, s23, s1
	v_mad_u64_u32 v[13:14], null, v1, s13, v[0:1]
	v_sub_co_u32 v0, s0, v10, s26
	v_add_nc_u32_e32 v10, 0x10c0, v12
	v_subrev_co_ci_u32_e64 v14, s0, s27, v11, s0
	s_delay_alu instid0(VALU_DEP_3) | instskip(SKIP_1) | instid1(VALU_DEP_3)
	v_sub_co_u32 v0, s0, v0, v8
	v_mov_b32_e32 v3, v13
	v_sub_co_ci_u32_e64 v8, s0, v14, v9, s0
	s_mul_i32 s1, s13, 0x4c
	s_mul_hi_u32 s27, s12, 0x88
	s_delay_alu instid0(VALU_DEP_2)
	v_lshlrev_b64 v[2:3], 2, v[2:3]
	s_add_i32 s25, s25, s1
	s_mul_i32 s1, s13, 0x88
	s_mul_hi_u32 s29, s12, 0x8c
	s_add_i32 s27, s27, s1
	s_mul_i32 s1, s13, 0x8c
	v_add_co_u32 v0, s0, v0, v2
	s_delay_alu instid0(VALU_DEP_1) | instskip(SKIP_1) | instid1(VALU_DEP_3)
	v_add_co_ci_u32_e64 v2, s0, v8, v3, s0
	v_lshrrev_b32_e32 v13, 2, v19
	v_add_co_u32 v0, s0, 0xffffff80, v0
	s_delay_alu instid0(VALU_DEP_1) | instskip(SKIP_1) | instid1(VALU_DEP_3)
	v_add_co_ci_u32_e64 v2, s0, -1, v2, s0
	v_and_b32_e32 v21, 48, v18
	v_add_co_u32 v3, s0, v0, s6
	s_delay_alu instid0(VALU_DEP_1) | instskip(SKIP_1) | instid1(VALU_DEP_1)
	v_add_co_ci_u32_e64 v9, s0, s7, v2, s0
	v_add_co_u32 v0, s0, v0, v12
	v_add_co_ci_u32_e64 v2, s0, 0, v2, s0
	s_delay_alu instid0(VALU_DEP_4) | instskip(NEXT) | instid1(VALU_DEP_1)
	v_add_co_u32 v14, s0, v3, -4
	v_add_co_ci_u32_e64 v3, s0, -1, v9, s0
	s_add_i32 s29, s29, s1
	s_mul_i32 s1, s13, 0xc0
	s_mul_hi_u32 s31, s12, 0xc0
	s_mul_i32 s4, s22, s10
	s_add_i32 s31, s31, s1
	s_mul_i32 s1, s13, 0xc8
	s_mul_hi_u32 s34, s12, 0xc8
	v_dual_mov_b32 v1, 0 :: v_dual_and_b32 v20, 15, v18
	v_add_nc_u32_e32 v11, 0x11c0, v12
	v_dual_cndmask_b32 v3, v2, v3 :: v_dual_lshlrev_b32 v8, 2, v21
	s_lshl_b64 s[4:5], s[4:5], 2
	v_cndmask_b32_e32 v2, v0, v14, vcc_lo
	v_or_b32_e32 v0, 60, v12
	v_and_b32_e32 v14, 0x1fff0, v19
	v_and_b32_e32 v18, 0x7ffc, v13
	s_add_i32 s34, s34, s1
	s_mul_i32 s1, s13, 0xcc
	s_mul_hi_u32 s36, s12, 0xcc
	v_sub_co_u32 v6, s0, v6, s4
	s_add_i32 s36, s36, s1
	s_mul_i32 s1, s13, 0xc4
	s_mul_hi_u32 s38, s12, 0xc4
	v_subrev_co_ci_u32_e64 v7, s0, s5, v7, s0
	s_add_i32 s38, s38, s1
	s_mul_i32 s1, s13, 0x84
	s_mul_hi_u32 s40, s12, 0x84
	v_cmp_gt_u32_e64 s0, 64, v19
	v_mad_u32_u24 v8, 0x10c, v20, v8
	v_mad_u32_u24 v9, 0x10c, v20, v0
	;; [unrolled: 1-line block ×3, first 2 shown]
	v_lshl_add_u32 v14, v16, 4, 0x10c0
	v_mad_u32_u24 v15, 0x430, v16, v12
	v_mad_u32_u24 v18, 0x10c, v20, v18
	v_or_b32_e32 v19, v21, v20
	s_lshl_b64 s[4:5], s[12:13], 2
	s_lshl_b64 s[6:7], s[12:13], 3
	;; [unrolled: 1-line block ×4, first 2 shown]
	s_add_i32 s40, s40, s1
	s_mul_i32 s1, s13, 0x44
	s_mul_hi_u32 s13, s12, 0x44
	s_mul_i32 s22, s12, 12
	s_mul_i32 s24, s12, 0x48
	;; [unrolled: 1-line block ×10, first 2 shown]
	s_add_i32 s13, s13, s1
	s_mulk_i32 s12, 0x44
	s_mov_b32 s42, 0
	s_branch .LBB151_74
.LBB151_73:                             ;   in Loop: Header=BB151_74 Depth=1
	s_or_b32 exec_lo, exec_lo, s43
	v_fmac_f32_e32 v17, v20, v24
	v_add_co_u32 v2, s1, v2, s8
	s_delay_alu instid0(VALU_DEP_1) | instskip(NEXT) | instid1(VALU_DEP_3)
	v_add_co_ci_u32_e64 v3, s1, s9, v3, s1
	v_fmac_f32_e32 v17, v22, v25
	s_add_i32 s14, s14, -1
	s_add_i32 s42, s42, 64
	s_cmp_eq_u32 s14, 0
	s_waitcnt_vscnt null, 0x0
	v_fmac_f32_e32 v17, v21, v26
	s_barrier
	buffer_gl0_inv
	v_fmac_f32_e32 v17, v23, v27
	s_delay_alu instid0(VALU_DEP_1) | instskip(NEXT) | instid1(VALU_DEP_1)
	v_fmac_f32_e32 v17, v28, v32
	v_fmac_f32_e32 v17, v30, v33
	s_delay_alu instid0(VALU_DEP_1) | instskip(NEXT) | instid1(VALU_DEP_1)
	v_fmac_f32_e32 v17, v29, v34
	;; [unrolled: 3-line block ×6, first 2 shown]
	v_fmac_f32_e32 v17, v44, v49
	s_cbranch_scc1 .LBB151_78
.LBB151_74:                             ; =>This Inner Loop Header: Depth=1
	s_and_saveexec_b32 s43, s3
	s_cbranch_execz .LBB151_76
; %bb.75:                               ;   in Loop: Header=BB151_74 Depth=1
	s_mul_i32 s1, s42, s11
	s_mul_hi_u32 s45, s42, s10
	s_mul_i32 s44, s42, s10
	s_add_i32 s45, s45, s1
	s_delay_alu instid0(SALU_CYCLE_1) | instskip(NEXT) | instid1(SALU_CYCLE_1)
	s_lshl_b64 s[44:45], s[44:45], 2
	v_add_co_u32 v20, s1, v6, s44
	s_delay_alu instid0(VALU_DEP_1)
	v_add_co_ci_u32_e64 v21, s1, s45, v7, s1
	flat_load_b32 v0, v[20:21]
	s_waitcnt vmcnt(0) lgkmcnt(0)
	ds_store_b32 v10, v0
.LBB151_76:                             ;   in Loop: Header=BB151_74 Depth=1
	s_or_b32 exec_lo, exec_lo, s43
	v_add_co_u32 v21, s1, v2, s4
	s_delay_alu instid0(VALU_DEP_1) | instskip(SKIP_1) | instid1(VALU_DEP_1)
	v_add_co_ci_u32_e64 v22, s1, s5, v3, s1
	v_add_co_u32 v23, s1, v2, s6
	v_add_co_ci_u32_e64 v24, s1, s7, v3, s1
	v_add_co_u32 v25, s1, v2, s22
	s_waitcnt lgkmcnt(0)
	s_barrier
	buffer_gl0_inv
	flat_load_b32 v20, v[2:3]
	v_add_co_ci_u32_e64 v26, s1, s21, v3, s1
	s_clause 0x2
	flat_load_b32 v22, v[21:22]
	flat_load_b32 v21, v[23:24]
	;; [unrolled: 1-line block ×3, first 2 shown]
	ds_load_b32 v0, v11
	ds_load_b32 v24, v14
	v_add_co_u32 v28, s1, v2, s18
	s_delay_alu instid0(VALU_DEP_1) | instskip(SKIP_1) | instid1(VALU_DEP_1)
	v_add_co_ci_u32_e64 v29, s1, s19, v3, s1
	v_add_co_u32 v30, s1, v2, s12
	v_add_co_ci_u32_e64 v31, s1, s13, v3, s1
	v_add_co_u32 v32, s1, v2, s24
	s_delay_alu instid0(VALU_DEP_1) | instskip(SKIP_1) | instid1(VALU_DEP_1)
	v_add_co_ci_u32_e64 v33, s1, s23, v3, s1
	v_add_co_u32 v34, s1, v2, s26
	v_add_co_ci_u32_e64 v35, s1, s25, v3, s1
	;; [unrolled: 5-line block ×6, first 2 shown]
	s_waitcnt vmcnt(3) lgkmcnt(1)
	v_mul_f32_e32 v25, v20, v0
	s_waitcnt vmcnt(2)
	v_mul_f32_e32 v26, v22, v0
	s_waitcnt vmcnt(1)
	;; [unrolled: 2-line block ×3, first 2 shown]
	v_mul_f32_e32 v0, v23, v0
	ds_store_b32 v15, v25
	ds_load_b32 v25, v14 offset:4
	ds_store_b32 v15, v26 offset:268
	ds_load_b32 v26, v14 offset:8
	ds_store_b32 v15, v27 offset:536
	;; [unrolled: 2-line block ×3, first 2 shown]
	s_waitcnt lgkmcnt(0)
	s_barrier
	buffer_gl0_inv
	ds_load_2addr_b32 v[52:53], v13 offset1:1
	ds_load_2addr_b32 v[54:55], v13 offset0:2 offset1:3
	s_waitcnt lgkmcnt(0)
	s_barrier
	buffer_gl0_inv
	s_clause 0x3
	flat_load_b32 v28, v[28:29]
	flat_load_b32 v30, v[30:31]
	;; [unrolled: 1-line block ×4, first 2 shown]
	ds_load_b32 v0, v11
	ds_load_b32 v32, v14 offset:64
	s_waitcnt vmcnt(2) lgkmcnt(1)
	v_mul_f32_e32 v34, v30, v0
	v_mul_f32_e32 v33, v28, v0
	s_waitcnt vmcnt(1)
	v_mul_f32_e32 v35, v29, v0
	s_waitcnt vmcnt(0)
	v_mul_f32_e32 v0, v31, v0
	ds_store_b32 v15, v33
	ds_load_b32 v33, v14 offset:68
	ds_store_b32 v15, v34 offset:268
	ds_load_b32 v34, v14 offset:72
	ds_store_b32 v15, v35 offset:536
	;; [unrolled: 2-line block ×3, first 2 shown]
	s_waitcnt lgkmcnt(0)
	s_barrier
	buffer_gl0_inv
	ds_load_2addr_b32 v[56:57], v13 offset1:1
	ds_load_2addr_b32 v[58:59], v13 offset0:2 offset1:3
	s_waitcnt lgkmcnt(0)
	s_barrier
	buffer_gl0_inv
	s_clause 0x3
	flat_load_b32 v36, v[36:37]
	flat_load_b32 v38, v[38:39]
	;; [unrolled: 1-line block ×4, first 2 shown]
	ds_load_b32 v0, v11
	ds_load_b32 v40, v14 offset:128
	s_waitcnt vmcnt(2) lgkmcnt(1)
	v_mul_f32_e32 v42, v38, v0
	v_mul_f32_e32 v41, v36, v0
	s_waitcnt vmcnt(1)
	v_mul_f32_e32 v43, v37, v0
	s_waitcnt vmcnt(0)
	v_mul_f32_e32 v0, v39, v0
	ds_store_b32 v15, v41
	ds_load_b32 v41, v14 offset:132
	ds_store_b32 v15, v42 offset:268
	ds_load_b32 v42, v14 offset:136
	ds_store_b32 v15, v43 offset:536
	ds_load_b32 v43, v14 offset:140
	ds_store_b32 v15, v0 offset:804
	s_waitcnt lgkmcnt(0)
	s_barrier
	buffer_gl0_inv
	ds_load_2addr_b32 v[62:63], v13 offset1:1
	ds_load_2addr_b32 v[64:65], v13 offset0:2 offset1:3
	s_waitcnt lgkmcnt(0)
	s_barrier
	buffer_gl0_inv
	s_clause 0x3
	flat_load_b32 v47, v[44:45]
	flat_load_b32 v46, v[48:49]
	flat_load_b32 v45, v[50:51]
	flat_load_b32 v44, v[60:61]
	ds_load_b32 v0, v11
	ds_load_b32 v48, v14 offset:192
	s_waitcnt vmcnt(3) lgkmcnt(1)
	v_mul_f32_e32 v49, v47, v0
	s_waitcnt vmcnt(2)
	v_mul_f32_e32 v50, v46, v0
	s_waitcnt vmcnt(1)
	;; [unrolled: 2-line block ×3, first 2 shown]
	v_mul_f32_e32 v0, v44, v0
	ds_store_b32 v15, v49
	ds_load_b32 v51, v14 offset:196
	ds_store_b32 v15, v50 offset:268
	ds_load_b32 v50, v14 offset:200
	ds_store_b32 v15, v60 offset:536
	;; [unrolled: 2-line block ×3, first 2 shown]
	s_waitcnt lgkmcnt(0)
	s_barrier
	buffer_gl0_inv
	ds_load_2addr_b32 v[60:61], v13 offset1:1
	ds_load_2addr_b32 v[66:67], v13 offset0:2 offset1:3
	v_add_f32_e32 v0, 0, v52
	v_add_f32_e32 v52, 0, v56
	;; [unrolled: 1-line block ×3, first 2 shown]
	s_waitcnt lgkmcnt(0)
	s_barrier
	v_add_f32_e32 v0, v0, v53
	v_add_f32_e32 v52, v52, v57
	;; [unrolled: 1-line block ×3, first 2 shown]
	buffer_gl0_inv
	v_add_f32_e32 v0, v0, v54
	v_dual_add_f32 v52, v52, v58 :: v_dual_add_f32 v53, v53, v64
	s_delay_alu instid0(VALU_DEP_2) | instskip(NEXT) | instid1(VALU_DEP_2)
	v_add_f32_e32 v0, v0, v55
	v_dual_add_f32 v52, v52, v59 :: v_dual_add_f32 v53, v53, v65
	v_add_f32_e32 v60, 0, v60
	s_delay_alu instid0(VALU_DEP_1) | instskip(NEXT) | instid1(VALU_DEP_1)
	v_add_f32_e32 v56, v60, v61
	v_add_f32_e32 v54, v56, v66
	s_delay_alu instid0(VALU_DEP_1)
	v_add_f32_e32 v54, v54, v67
	ds_store_2addr_b32 v18, v0, v52 offset1:16
	ds_store_2addr_b32 v18, v53, v54 offset0:32 offset1:48
	s_waitcnt lgkmcnt(0)
	s_barrier
	buffer_gl0_inv
	s_and_saveexec_b32 s43, s0
	s_cbranch_execz .LBB151_73
; %bb.77:                               ;   in Loop: Header=BB151_74 Depth=1
	ds_load_2addr_b32 v[52:53], v8 offset1:1
	ds_load_2addr_b32 v[54:55], v8 offset0:2 offset1:3
	ds_load_2addr_b32 v[56:57], v8 offset0:4 offset1:5
	;; [unrolled: 1-line block ×3, first 2 shown]
	s_waitcnt lgkmcnt(3)
	v_add_f32_e32 v0, v52, v53
	ds_load_2addr_b32 v[52:53], v8 offset0:8 offset1:9
	s_waitcnt lgkmcnt(3)
	v_add_f32_e32 v0, v0, v54
	s_delay_alu instid0(VALU_DEP_1) | instskip(SKIP_3) | instid1(VALU_DEP_1)
	v_add_f32_e32 v0, v0, v55
	ds_load_2addr_b32 v[54:55], v8 offset0:10 offset1:11
	s_waitcnt lgkmcnt(3)
	v_add_f32_e32 v0, v0, v56
	v_add_f32_e32 v0, v0, v57
	s_waitcnt lgkmcnt(2)
	s_delay_alu instid0(VALU_DEP_1) | instskip(SKIP_4) | instid1(VALU_DEP_1)
	v_add_f32_e32 v0, v0, v58
	ds_load_2addr_b32 v[56:57], v8 offset0:12 offset1:13
	ds_load_b32 v58, v8 offset:56
	v_add_f32_e32 v0, v0, v59
	s_waitcnt lgkmcnt(3)
	v_add_f32_e32 v0, v0, v52
	s_delay_alu instid0(VALU_DEP_1) | instskip(SKIP_1) | instid1(VALU_DEP_1)
	v_add_f32_e32 v0, v0, v53
	s_waitcnt lgkmcnt(2)
	v_add_f32_e32 v0, v0, v54
	ds_load_b32 v54, v9
	v_add_f32_e32 v0, v0, v55
	s_waitcnt lgkmcnt(2)
	s_delay_alu instid0(VALU_DEP_1) | instskip(NEXT) | instid1(VALU_DEP_1)
	v_add_f32_e32 v0, v0, v56
	v_add_f32_e32 v52, v0, v57
	s_waitcnt lgkmcnt(1)
	s_delay_alu instid0(VALU_DEP_1) | instskip(NEXT) | instid1(VALU_DEP_1)
	v_dual_add_f32 v55, v52, v58 :: v_dual_add_nc_u32 v0, s42, v19
	v_lshlrev_b64 v[52:53], 2, v[0:1]
	s_waitcnt lgkmcnt(0)
	s_delay_alu instid0(VALU_DEP_2) | instskip(NEXT) | instid1(VALU_DEP_2)
	v_add_f32_e32 v0, v55, v54
	v_add_co_u32 v52, s1, s15, v52
	s_delay_alu instid0(VALU_DEP_1)
	v_add_co_ci_u32_e64 v53, s1, s20, v53, s1
	global_store_b32 v[52:53], v0, off
	s_branch .LBB151_73
.LBB151_78:
	v_mad_u32_u24 v0, 0x10c, v16, v12
	s_or_b32 s0, s2, vcc_lo
	s_delay_alu instid0(SALU_CYCLE_1)
	s_xor_b32 s0, s0, -1
	ds_store_b32 v0, v17
	s_waitcnt lgkmcnt(0)
	s_barrier
	buffer_gl0_inv
	s_and_saveexec_b32 s1, s0
	s_cbranch_execz .LBB151_80
; %bb.79:
	ds_load_2addr_b32 v[0:1], v12 offset1:67
	ds_load_2addr_b32 v[2:3], v12 offset0:134 offset1:201
	s_waitcnt lgkmcnt(1)
	v_add_f32_e32 v0, v0, v1
	s_waitcnt lgkmcnt(0)
	s_delay_alu instid0(VALU_DEP_1) | instskip(SKIP_1) | instid1(VALU_DEP_2)
	v_add_f32_e32 v2, v0, v2
	v_lshlrev_b64 v[0:1], 2, v[4:5]
	v_add_f32_e32 v2, v2, v3
	s_delay_alu instid0(VALU_DEP_2) | instskip(NEXT) | instid1(VALU_DEP_3)
	v_add_co_u32 v0, vcc_lo, s15, v0
	v_add_co_ci_u32_e32 v1, vcc_lo, s20, v1, vcc_lo
	global_store_b32 v[0:1], v2, off
.LBB151_80:
	s_nop 0
	s_sendmsg sendmsg(MSG_DEALLOC_VGPRS)
	s_endpgm
	.section	.rodata,"a",@progbits
	.p2align	6, 0x0
	.amdhsa_kernel _ZL26rocblas_hemvn_kernel_lowerILb0ELi64ELi4ELi33ELi32ELi16ElfPKPKfPfEviT6_lT7_lT5_lS6_lS7_lS5_lT8_i
		.amdhsa_group_segment_fixed_size 4800
		.amdhsa_private_segment_fixed_size 0
		.amdhsa_kernarg_size 368
		.amdhsa_user_sgpr_count 14
		.amdhsa_user_sgpr_dispatch_ptr 0
		.amdhsa_user_sgpr_queue_ptr 0
		.amdhsa_user_sgpr_kernarg_segment_ptr 1
		.amdhsa_user_sgpr_dispatch_id 0
		.amdhsa_user_sgpr_private_segment_size 0
		.amdhsa_wavefront_size32 1
		.amdhsa_uses_dynamic_stack 0
		.amdhsa_enable_private_segment 0
		.amdhsa_system_sgpr_workgroup_id_x 1
		.amdhsa_system_sgpr_workgroup_id_y 0
		.amdhsa_system_sgpr_workgroup_id_z 1
		.amdhsa_system_sgpr_workgroup_info 0
		.amdhsa_system_vgpr_workitem_id 1
		.amdhsa_next_free_vgpr 68
		.amdhsa_next_free_sgpr 46
		.amdhsa_reserve_vcc 1
		.amdhsa_float_round_mode_32 0
		.amdhsa_float_round_mode_16_64 0
		.amdhsa_float_denorm_mode_32 3
		.amdhsa_float_denorm_mode_16_64 3
		.amdhsa_dx10_clamp 1
		.amdhsa_ieee_mode 1
		.amdhsa_fp16_overflow 0
		.amdhsa_workgroup_processor_mode 1
		.amdhsa_memory_ordered 1
		.amdhsa_forward_progress 0
		.amdhsa_shared_vgpr_count 0
		.amdhsa_exception_fp_ieee_invalid_op 0
		.amdhsa_exception_fp_denorm_src 0
		.amdhsa_exception_fp_ieee_div_zero 0
		.amdhsa_exception_fp_ieee_overflow 0
		.amdhsa_exception_fp_ieee_underflow 0
		.amdhsa_exception_fp_ieee_inexact 0
		.amdhsa_exception_int_div_zero 0
	.end_amdhsa_kernel
	.section	.text._ZL26rocblas_hemvn_kernel_lowerILb0ELi64ELi4ELi33ELi32ELi16ElfPKPKfPfEviT6_lT7_lT5_lS6_lS7_lS5_lT8_i,"axG",@progbits,_ZL26rocblas_hemvn_kernel_lowerILb0ELi64ELi4ELi33ELi32ELi16ElfPKPKfPfEviT6_lT7_lT5_lS6_lS7_lS5_lT8_i,comdat
.Lfunc_end151:
	.size	_ZL26rocblas_hemvn_kernel_lowerILb0ELi64ELi4ELi33ELi32ELi16ElfPKPKfPfEviT6_lT7_lT5_lS6_lS7_lS5_lT8_i, .Lfunc_end151-_ZL26rocblas_hemvn_kernel_lowerILb0ELi64ELi4ELi33ELi32ELi16ElfPKPKfPfEviT6_lT7_lT5_lS6_lS7_lS5_lT8_i
                                        ; -- End function
	.section	.AMDGPU.csdata,"",@progbits
; Kernel info:
; codeLenInByte = 6676
; NumSgprs: 48
; NumVgprs: 68
; ScratchSize: 0
; MemoryBound: 0
; FloatMode: 240
; IeeeMode: 1
; LDSByteSize: 4800 bytes/workgroup (compile time only)
; SGPRBlocks: 5
; VGPRBlocks: 8
; NumSGPRsForWavesPerEU: 48
; NumVGPRsForWavesPerEU: 68
; Occupancy: 16
; WaveLimiterHint : 1
; COMPUTE_PGM_RSRC2:SCRATCH_EN: 0
; COMPUTE_PGM_RSRC2:USER_SGPR: 14
; COMPUTE_PGM_RSRC2:TRAP_HANDLER: 0
; COMPUTE_PGM_RSRC2:TGID_X_EN: 1
; COMPUTE_PGM_RSRC2:TGID_Y_EN: 0
; COMPUTE_PGM_RSRC2:TGID_Z_EN: 1
; COMPUTE_PGM_RSRC2:TIDIG_COMP_CNT: 1
	.section	.text._ZL36rocblas_hemvn_kernel_lower_block_sumILi64ElfPKPffEviT1_lS3_lT2_lT0_lPT3_i,"axG",@progbits,_ZL36rocblas_hemvn_kernel_lower_block_sumILi64ElfPKPffEviT1_lS3_lT2_lT0_lPT3_i,comdat
	.globl	_ZL36rocblas_hemvn_kernel_lower_block_sumILi64ElfPKPffEviT1_lS3_lT2_lT0_lPT3_i ; -- Begin function _ZL36rocblas_hemvn_kernel_lower_block_sumILi64ElfPKPffEviT1_lS3_lT2_lT0_lPT3_i
	.p2align	8
	.type	_ZL36rocblas_hemvn_kernel_lower_block_sumILi64ElfPKPffEviT1_lS3_lT2_lT0_lPT3_i,@function
_ZL36rocblas_hemvn_kernel_lower_block_sumILi64ElfPKPffEviT1_lS3_lT2_lT0_lPT3_i: ; @_ZL36rocblas_hemvn_kernel_lower_block_sumILi64ElfPKPffEviT1_lS3_lT2_lT0_lPT3_i
; %bb.0:
	s_clause 0x1
	s_load_b64 s[10:11], s[0:1], 0x0
	s_load_b32 s12, s[0:1], 0x10
	s_mov_b32 s9, 0
	s_waitcnt lgkmcnt(0)
	v_cmp_eq_f32_e64 s2, s11, 0
	v_cmp_eq_f32_e64 s3, s12, 1.0
	s_delay_alu instid0(VALU_DEP_1) | instskip(NEXT) | instid1(SALU_CYCLE_1)
	s_and_b32 s2, s2, s3
	s_and_b32 vcc_lo, exec_lo, s2
	s_cbranch_vccnz .LBB152_19
; %bb.1:
	s_clause 0x1
	s_load_b64 s[2:3], s[0:1], 0x20
	s_load_b128 s[4:7], s[0:1], 0x28
	s_mov_b32 s8, s15
	v_lshl_or_b32 v0, s14, 6, v0
	s_lshl_b64 s[16:17], s[8:9], 3
	s_waitcnt lgkmcnt(0)
	s_add_u32 s2, s2, s16
	s_addc_u32 s3, s3, s17
	s_lshl_b64 s[4:5], s[4:5], 2
	s_load_b64 s[16:17], s[2:3], 0x0
	v_cmp_neq_f32_e64 s2, s11, 0
	s_waitcnt lgkmcnt(0)
	s_add_u32 s3, s16, s4
	s_addc_u32 s4, s17, s5
	s_delay_alu instid0(VALU_DEP_1)
	s_and_b32 vcc_lo, exec_lo, s2
	v_cmp_gt_i32_e64 s2, s10, v0
	s_cbranch_vccnz .LBB152_6
; %bb.2:
	s_mov_b32 s5, 0
                                        ; implicit-def: $vgpr3
                                        ; implicit-def: $vgpr1_vgpr2
	s_delay_alu instid0(VALU_DEP_1)
	s_and_saveexec_b32 s13, s2
	s_cbranch_execz .LBB152_7
; %bb.3:
	v_ashrrev_i32_e32 v3, 31, v0
	v_mul_lo_u32 v4, v0, s7
	v_mad_u64_u32 v[1:2], null, v0, s6, 0
	v_cmp_eq_f32_e64 s2, s12, 0
	s_delay_alu instid0(VALU_DEP_4) | instskip(NEXT) | instid1(VALU_DEP_2)
	v_mul_lo_u32 v3, v3, s6
	s_and_b32 vcc_lo, exec_lo, s2
	s_delay_alu instid0(VALU_DEP_1)
	v_add3_u32 v2, v2, v4, v3
	v_mov_b32_e32 v3, 0
	s_cbranch_vccnz .LBB152_5
; %bb.4:
	s_delay_alu instid0(VALU_DEP_2) | instskip(NEXT) | instid1(VALU_DEP_1)
	v_lshlrev_b64 v[3:4], 2, v[1:2]
	v_add_co_u32 v3, vcc_lo, s3, v3
	s_delay_alu instid0(VALU_DEP_2)
	v_add_co_ci_u32_e32 v4, vcc_lo, s4, v4, vcc_lo
	global_load_b32 v3, v[3:4], off
	s_waitcnt vmcnt(0)
	v_mul_f32_e32 v3, s12, v3
.LBB152_5:
	s_mov_b32 s9, exec_lo
	s_or_b32 exec_lo, exec_lo, s13
	s_delay_alu instid0(SALU_CYCLE_1)
	s_and_b32 vcc_lo, exec_lo, s5
	s_cbranch_vccnz .LBB152_8
	s_branch .LBB152_17
.LBB152_6:
                                        ; implicit-def: $vgpr3
                                        ; implicit-def: $vgpr1_vgpr2
	s_cbranch_execnz .LBB152_8
	s_branch .LBB152_17
.LBB152_7:
	s_or_b32 exec_lo, exec_lo, s13
	s_delay_alu instid0(SALU_CYCLE_1)
	s_and_b32 vcc_lo, exec_lo, s5
	s_cbranch_vccz .LBB152_17
.LBB152_8:
	s_mov_b32 s2, exec_lo
                                        ; implicit-def: $vgpr3
                                        ; implicit-def: $vgpr1_vgpr2
	v_cmpx_gt_i32_e64 s10, v0
	s_cbranch_execz .LBB152_16
; %bb.9:
	s_load_b32 s5, s[0:1], 0x50
	v_mov_b32_e32 v4, 0
	s_waitcnt lgkmcnt(0)
	s_cmp_ge_i32 s14, s5
	s_cbranch_scc1 .LBB152_12
; %bb.10:
	s_load_b64 s[0:1], s[0:1], 0x40
	v_mad_u64_u32 v[1:2], null, s14, s10, v[0:1]
	s_ashr_i32 s17, s10, 31
	s_mul_hi_u32 s13, s10, s8
	s_mul_i32 s15, s17, s8
	s_mul_i32 s8, s10, s8
	s_add_i32 s13, s13, s15
	s_mul_hi_u32 s15, s8, s5
	s_delay_alu instid0(VALU_DEP_1)
	v_ashrrev_i32_e32 v2, 31, v1
	s_mul_i32 s13, s13, s5
	s_mul_i32 s18, s8, s5
	s_add_i32 s19, s15, s13
	v_mov_b32_e32 v4, 0
	v_lshlrev_b64 v[1:2], 2, v[1:2]
	s_lshl_b64 s[18:19], s[18:19], 2
	s_mov_b32 s16, s10
	s_waitcnt lgkmcnt(0)
	s_add_u32 s0, s0, s18
	s_addc_u32 s1, s1, s19
	v_add_co_u32 v1, vcc_lo, s0, v1
	v_add_co_ci_u32_e32 v2, vcc_lo, s1, v2, vcc_lo
	s_lshl_b64 s[0:1], s[16:17], 2
.LBB152_11:                             ; =>This Inner Loop Header: Depth=1
	global_load_b32 v3, v[1:2], off
	v_add_co_u32 v1, vcc_lo, v1, s0
	v_add_co_ci_u32_e32 v2, vcc_lo, s1, v2, vcc_lo
	s_add_i32 s14, s14, 1
	s_delay_alu instid0(SALU_CYCLE_1)
	s_cmp_ge_i32 s14, s5
	s_waitcnt vmcnt(0)
	v_add_f32_e32 v4, v4, v3
	s_cbranch_scc0 .LBB152_11
.LBB152_12:
	v_ashrrev_i32_e32 v1, 31, v0
	v_mul_lo_u32 v5, v0, s7
	v_cmp_eq_f32_e64 s0, s12, 0
	s_delay_alu instid0(VALU_DEP_3) | instskip(NEXT) | instid1(VALU_DEP_2)
	v_mul_lo_u32 v6, v1, s6
	s_and_b32 vcc_lo, exec_lo, s0
	s_mov_b32 s0, 0
	s_cbranch_vccz .LBB152_20
; %bb.13:
	v_mad_u64_u32 v[1:2], null, v0, s6, 0
	v_mul_f32_e32 v3, s11, v4
	s_delay_alu instid0(VALU_DEP_2)
	v_add3_u32 v2, v2, v5, v6
	s_and_not1_b32 vcc_lo, exec_lo, s0
	s_cbranch_vccnz .LBB152_15
.LBB152_14:
	v_mad_u64_u32 v[1:2], null, v0, s6, 0
	s_delay_alu instid0(VALU_DEP_1) | instskip(NEXT) | instid1(VALU_DEP_1)
	v_add3_u32 v2, v2, v5, v6
	v_lshlrev_b64 v[5:6], 2, v[1:2]
	s_delay_alu instid0(VALU_DEP_1) | instskip(NEXT) | instid1(VALU_DEP_2)
	v_add_co_u32 v5, vcc_lo, s3, v5
	v_add_co_ci_u32_e32 v6, vcc_lo, s4, v6, vcc_lo
	global_load_b32 v0, v[5:6], off
	s_waitcnt vmcnt(0)
	v_mul_f32_e32 v3, s12, v0
	s_delay_alu instid0(VALU_DEP_1)
	v_fmac_f32_e32 v3, s11, v4
.LBB152_15:
	s_or_b32 s9, s9, exec_lo
.LBB152_16:
	s_or_b32 exec_lo, exec_lo, s2
.LBB152_17:
	s_and_saveexec_b32 s0, s9
	s_cbranch_execz .LBB152_19
; %bb.18:
	v_lshlrev_b64 v[0:1], 2, v[1:2]
	s_delay_alu instid0(VALU_DEP_1) | instskip(NEXT) | instid1(VALU_DEP_2)
	v_add_co_u32 v0, vcc_lo, s3, v0
	v_add_co_ci_u32_e32 v1, vcc_lo, s4, v1, vcc_lo
	global_store_b32 v[0:1], v3, off
.LBB152_19:
	s_nop 0
	s_sendmsg sendmsg(MSG_DEALLOC_VGPRS)
	s_endpgm
.LBB152_20:
                                        ; implicit-def: $vgpr3
                                        ; implicit-def: $vgpr1_vgpr2
	s_branch .LBB152_14
	.section	.rodata,"a",@progbits
	.p2align	6, 0x0
	.amdhsa_kernel _ZL36rocblas_hemvn_kernel_lower_block_sumILi64ElfPKPffEviT1_lS3_lT2_lT0_lPT3_i
		.amdhsa_group_segment_fixed_size 0
		.amdhsa_private_segment_fixed_size 0
		.amdhsa_kernarg_size 336
		.amdhsa_user_sgpr_count 14
		.amdhsa_user_sgpr_dispatch_ptr 0
		.amdhsa_user_sgpr_queue_ptr 0
		.amdhsa_user_sgpr_kernarg_segment_ptr 1
		.amdhsa_user_sgpr_dispatch_id 0
		.amdhsa_user_sgpr_private_segment_size 0
		.amdhsa_wavefront_size32 1
		.amdhsa_uses_dynamic_stack 0
		.amdhsa_enable_private_segment 0
		.amdhsa_system_sgpr_workgroup_id_x 1
		.amdhsa_system_sgpr_workgroup_id_y 0
		.amdhsa_system_sgpr_workgroup_id_z 1
		.amdhsa_system_sgpr_workgroup_info 0
		.amdhsa_system_vgpr_workitem_id 0
		.amdhsa_next_free_vgpr 7
		.amdhsa_next_free_sgpr 20
		.amdhsa_reserve_vcc 1
		.amdhsa_float_round_mode_32 0
		.amdhsa_float_round_mode_16_64 0
		.amdhsa_float_denorm_mode_32 3
		.amdhsa_float_denorm_mode_16_64 3
		.amdhsa_dx10_clamp 1
		.amdhsa_ieee_mode 1
		.amdhsa_fp16_overflow 0
		.amdhsa_workgroup_processor_mode 1
		.amdhsa_memory_ordered 1
		.amdhsa_forward_progress 0
		.amdhsa_shared_vgpr_count 0
		.amdhsa_exception_fp_ieee_invalid_op 0
		.amdhsa_exception_fp_denorm_src 0
		.amdhsa_exception_fp_ieee_div_zero 0
		.amdhsa_exception_fp_ieee_overflow 0
		.amdhsa_exception_fp_ieee_underflow 0
		.amdhsa_exception_fp_ieee_inexact 0
		.amdhsa_exception_int_div_zero 0
	.end_amdhsa_kernel
	.section	.text._ZL36rocblas_hemvn_kernel_lower_block_sumILi64ElfPKPffEviT1_lS3_lT2_lT0_lPT3_i,"axG",@progbits,_ZL36rocblas_hemvn_kernel_lower_block_sumILi64ElfPKPffEviT1_lS3_lT2_lT0_lPT3_i,comdat
.Lfunc_end152:
	.size	_ZL36rocblas_hemvn_kernel_lower_block_sumILi64ElfPKPffEviT1_lS3_lT2_lT0_lPT3_i, .Lfunc_end152-_ZL36rocblas_hemvn_kernel_lower_block_sumILi64ElfPKPffEviT1_lS3_lT2_lT0_lPT3_i
                                        ; -- End function
	.section	.AMDGPU.csdata,"",@progbits
; Kernel info:
; codeLenInByte = 732
; NumSgprs: 22
; NumVgprs: 7
; ScratchSize: 0
; MemoryBound: 0
; FloatMode: 240
; IeeeMode: 1
; LDSByteSize: 0 bytes/workgroup (compile time only)
; SGPRBlocks: 2
; VGPRBlocks: 0
; NumSGPRsForWavesPerEU: 22
; NumVGPRsForWavesPerEU: 7
; Occupancy: 16
; WaveLimiterHint : 1
; COMPUTE_PGM_RSRC2:SCRATCH_EN: 0
; COMPUTE_PGM_RSRC2:USER_SGPR: 14
; COMPUTE_PGM_RSRC2:TRAP_HANDLER: 0
; COMPUTE_PGM_RSRC2:TGID_X_EN: 1
; COMPUTE_PGM_RSRC2:TGID_Y_EN: 0
; COMPUTE_PGM_RSRC2:TGID_Z_EN: 1
; COMPUTE_PGM_RSRC2:TIDIG_COMP_CNT: 0
	.section	.text._ZL26rocblas_hemvn_kernel_lowerILb0ELi64ELi4ELi33ELi32ELi16EifPKPKfPfEviT6_lT7_lT5_lS6_lS7_lS5_lT8_i,"axG",@progbits,_ZL26rocblas_hemvn_kernel_lowerILb0ELi64ELi4ELi33ELi32ELi16EifPKPKfPfEviT6_lT7_lT5_lS6_lS7_lS5_lT8_i,comdat
	.globl	_ZL26rocblas_hemvn_kernel_lowerILb0ELi64ELi4ELi33ELi32ELi16EifPKPKfPfEviT6_lT7_lT5_lS6_lS7_lS5_lT8_i ; -- Begin function _ZL26rocblas_hemvn_kernel_lowerILb0ELi64ELi4ELi33ELi32ELi16EifPKPKfPfEviT6_lT7_lT5_lS6_lS7_lS5_lT8_i
	.p2align	8
	.type	_ZL26rocblas_hemvn_kernel_lowerILb0ELi64ELi4ELi33ELi32ELi16EifPKPKfPfEviT6_lT7_lT5_lS6_lS7_lS5_lT8_i,@function
_ZL26rocblas_hemvn_kernel_lowerILb0ELi64ELi4ELi33ELi32ELi16EifPKPKfPfEviT6_lT7_lT5_lS6_lS7_lS5_lT8_i: ; @_ZL26rocblas_hemvn_kernel_lowerILb0ELi64ELi4ELi33ELi32ELi16EifPKPKfPfEviT6_lT7_lT5_lS6_lS7_lS5_lT8_i
; %bb.0:
	s_load_b64 s[4:5], s[0:1], 0x7c
	s_add_u32 s2, s0, 0x70
	s_addc_u32 s3, s1, 0
	s_waitcnt lgkmcnt(0)
	s_lshr_b32 s6, s4, 16
	s_and_b32 s4, s4, 0xffff
	s_and_b32 s5, s5, 0xffff
	s_mul_i32 s4, s6, s4
	s_delay_alu instid0(SALU_CYCLE_1) | instskip(NEXT) | instid1(SALU_CYCLE_1)
	s_mul_i32 s4, s4, s5
	s_cmpk_lg_i32 s4, 0x100
	s_cbranch_scc1 .LBB153_80
; %bb.1:
	s_clause 0x1
	s_load_b64 s[16:17], s[0:1], 0x0
	s_load_b32 s5, s[0:1], 0x50
	s_waitcnt lgkmcnt(0)
	v_cmp_eq_f32_e64 s4, s17, 0
	v_cmp_eq_f32_e64 s5, s5, 1.0
	s_delay_alu instid0(VALU_DEP_1) | instskip(NEXT) | instid1(SALU_CYCLE_1)
	s_and_b32 s5, s4, s5
	s_and_b32 vcc_lo, exec_lo, s5
	s_cbranch_vccnz .LBB153_80
; %bb.2:
	v_cmp_neq_f32_e64 s8, s17, 0
	s_mov_b32 s12, s15
	s_mov_b64 s[6:7], 0
	s_and_b32 vcc_lo, exec_lo, s4
	s_mov_b64 s[4:5], 0
	s_cbranch_vccnz .LBB153_4
; %bb.3:
	s_load_b128 s[20:23], s[0:1], 0x10
	s_mov_b32 s13, 0
	s_delay_alu instid0(SALU_CYCLE_1)
	s_lshl_b64 s[4:5], s[12:13], 3
	s_waitcnt lgkmcnt(0)
	s_add_u32 s4, s20, s4
	s_addc_u32 s5, s21, s5
	s_lshl_b64 s[10:11], s[22:23], 2
	s_load_b64 s[4:5], s[4:5], 0x0
	s_waitcnt lgkmcnt(0)
	s_add_u32 s4, s4, s10
	s_addc_u32 s5, s5, s11
.LBB153_4:
	v_cndmask_b32_e64 v1, 0, 1, s8
	s_and_not1_b32 vcc_lo, exec_lo, s8
	s_cbranch_vccnz .LBB153_6
; %bb.5:
	s_load_b128 s[8:11], s[0:1], 0x30
	s_mov_b32 s13, 0
	s_delay_alu instid0(SALU_CYCLE_1)
	s_lshl_b64 s[6:7], s[12:13], 3
	s_waitcnt lgkmcnt(0)
	s_add_u32 s6, s8, s6
	s_addc_u32 s7, s9, s7
	s_lshl_b64 s[8:9], s[10:11], 2
	s_load_b64 s[6:7], s[6:7], 0x0
	s_waitcnt lgkmcnt(0)
	s_add_u32 s6, s6, s8
	s_addc_u32 s7, s7, s9
.LBB153_6:
	s_delay_alu instid0(VALU_DEP_1)
	v_cmp_ne_u32_e32 vcc_lo, 1, v1
	s_cbranch_vccnz .LBB153_80
; %bb.7:
	s_load_b32 s13, s[0:1], 0x40
	v_and_b32_e32 v17, 0x3ff, v0
	s_lshl_b32 s20, s14, 6
	s_load_b32 s15, s[2:3], 0x0
	s_ashr_i32 s17, s16, 31
	v_bfe_u32 v15, v0, 10, 10
	v_add_nc_u32_e32 v4, s20, v17
	s_lshr_b32 s2, s17, 26
	s_delay_alu instid0(SALU_CYCLE_1) | instskip(NEXT) | instid1(SALU_CYCLE_1)
	s_add_i32 s2, s16, s2
	s_and_b32 s3, s2, 0xffffffc0
	v_cmp_ne_u32_e64 s2, 0, v15
	s_sub_i32 s8, s16, s3
	v_cmp_eq_u32_e64 s3, 0, v15
	s_waitcnt lgkmcnt(0)
	v_mul_lo_u32 v1, v4, s13
	s_add_i32 s9, s15, -1
	s_delay_alu instid0(SALU_CYCLE_1) | instskip(SKIP_1) | instid1(VALU_DEP_1)
	s_cmp_eq_u32 s14, s9
	s_cselect_b32 s18, s8, 0
	v_ashrrev_i32_e32 v2, 31, v1
	s_delay_alu instid0(VALU_DEP_1) | instskip(NEXT) | instid1(VALU_DEP_1)
	v_lshlrev_b64 v[0:1], 2, v[1:2]
	v_add_co_u32 v5, vcc_lo, s6, v0
	s_delay_alu instid0(VALU_DEP_2)
	v_add_co_ci_u32_e32 v6, vcc_lo, s7, v1, vcc_lo
	s_and_saveexec_b32 s6, s3
	s_cbranch_execz .LBB153_11
; %bb.8:
	v_cmp_gt_i32_e32 vcc_lo, s18, v17
	s_cmp_eq_u32 s18, 0
	v_mov_b32_e32 v0, 0
	s_cselect_b32 s7, -1, 0
	s_delay_alu instid0(SALU_CYCLE_1) | instskip(NEXT) | instid1(SALU_CYCLE_1)
	s_or_b32 s8, s7, vcc_lo
	s_and_saveexec_b32 s7, s8
	s_cbranch_execz .LBB153_10
; %bb.9:
	flat_load_b32 v0, v[5:6]
.LBB153_10:
	s_or_b32 exec_lo, exec_lo, s7
	v_lshlrev_b32_e32 v1, 2, v17
	s_waitcnt vmcnt(0) lgkmcnt(0)
	ds_store_b32 v1, v0 offset:4544
.LBB153_11:
	s_or_b32 exec_lo, exec_lo, s6
	s_load_b32 s10, s[0:1], 0x20
	v_lshl_add_u32 v18, v15, 6, v17
	v_and_b32_e32 v0, 31, v17
	s_ashr_i32 s21, s20, 31
	s_delay_alu instid0(SALU_CYCLE_1) | instskip(NEXT) | instid1(VALU_DEP_2)
	s_lshl_b64 s[6:7], s[20:21], 2
	v_lshrrev_b32_e32 v3, 5, v18
	s_add_u32 s6, s4, s6
	s_addc_u32 s7, s5, s7
	s_waitcnt lgkmcnt(0)
	s_delay_alu instid0(VALU_DEP_1) | instskip(SKIP_1) | instid1(SALU_CYCLE_1)
	v_mad_u64_u32 v[1:2], null, v3, s10, v[0:1]
	s_mul_i32 s4, s20, s10
	s_ashr_i32 s5, s4, 31
	s_delay_alu instid0(SALU_CYCLE_1) | instskip(NEXT) | instid1(SALU_CYCLE_1)
	s_lshl_b64 s[22:23], s[4:5], 2
	s_add_u32 s4, s22, s6
	s_delay_alu instid0(VALU_DEP_1) | instskip(SKIP_3) | instid1(VALU_DEP_1)
	v_ashrrev_i32_e32 v2, 31, v1
	s_addc_u32 s5, s23, s7
	s_cmp_lg_u32 s18, 0
	s_cselect_b32 s21, -1, 0
	v_lshlrev_b64 v[7:8], 2, v[1:2]
	s_cmp_eq_u32 s18, 0
	s_cselect_b32 s9, -1, 0
	s_delay_alu instid0(VALU_DEP_1) | instskip(NEXT) | instid1(VALU_DEP_2)
	v_add_co_u32 v1, vcc_lo, s4, v7
	v_add_co_ci_u32_e32 v2, vcc_lo, s5, v8, vcc_lo
	s_and_b32 vcc_lo, exec_lo, s21
	s_mov_b32 s4, 0
	s_cbranch_vccnz .LBB153_13
; %bb.12:
	flat_load_b32 v11, v[1:2]
	s_lshl_b32 s6, s10, 3
	v_mul_u32_u24_e32 v9, 33, v3
	s_ashr_i32 s7, s6, 31
	s_ashr_i32 s11, s10, 31
	s_lshl_b64 s[6:7], s[6:7], 2
	s_delay_alu instid0(VALU_DEP_1)
	v_add_lshl_u32 v12, v9, v0, 2
	v_add_co_u32 v9, vcc_lo, v1, s6
	v_add_co_ci_u32_e32 v10, vcc_lo, s7, v2, vcc_lo
	s_lshl_b64 s[6:7], s[10:11], 5
	s_waitcnt vmcnt(0) lgkmcnt(0)
	ds_store_b32 v12, v11
	flat_load_b32 v11, v[9:10]
	v_add_co_u32 v9, vcc_lo, v9, s6
	v_add_co_ci_u32_e32 v10, vcc_lo, s7, v10, vcc_lo
	s_waitcnt vmcnt(0) lgkmcnt(0)
	ds_store_b32 v12, v11 offset:1056
	flat_load_b32 v11, v[9:10]
	v_add_co_u32 v9, vcc_lo, v9, s6
	v_add_co_ci_u32_e32 v10, vcc_lo, s7, v10, vcc_lo
	s_waitcnt vmcnt(0) lgkmcnt(0)
	ds_store_b32 v12, v11 offset:2112
	flat_load_b32 v9, v[9:10]
	s_waitcnt vmcnt(0) lgkmcnt(0)
	ds_store_b32 v12, v9 offset:3168
	s_and_not1_b32 vcc_lo, exec_lo, s4
	s_cbranch_vccz .LBB153_14
	s_branch .LBB153_23
.LBB153_13:
.LBB153_14:
	v_dual_mov_b32 v14, 0 :: v_dual_lshlrev_b32 v11, 2, v0
	s_ashr_i32 s19, s18, 31
	v_mov_b32_e32 v13, 0
	s_lshl_b64 s[6:7], s[18:19], 2
	s_delay_alu instid0(VALU_DEP_2) | instskip(SKIP_2) | instid1(VALU_DEP_2)
	v_sub_co_u32 v9, vcc_lo, v1, v11
	v_subrev_co_ci_u32_e32 v10, vcc_lo, 0, v2, vcc_lo
	s_mov_b32 s5, exec_lo
	v_add_co_u32 v9, vcc_lo, v9, s6
	s_delay_alu instid0(VALU_DEP_2) | instskip(NEXT) | instid1(VALU_DEP_2)
	v_add_co_ci_u32_e32 v10, vcc_lo, s7, v10, vcc_lo
	v_add_co_u32 v9, vcc_lo, v9, -4
	s_delay_alu instid0(VALU_DEP_2) | instskip(SKIP_1) | instid1(VALU_DEP_2)
	v_add_co_ci_u32_e32 v10, vcc_lo, -1, v10, vcc_lo
	v_cmp_gt_i32_e32 vcc_lo, s18, v0
	v_dual_cndmask_b32 v10, v10, v2 :: v_dual_cndmask_b32 v9, v9, v1
	v_cmpx_gt_i32_e64 s18, v3
	s_cbranch_execz .LBB153_16
; %bb.15:
	flat_load_b32 v13, v[9:10]
.LBB153_16:
	s_or_b32 exec_lo, exec_lo, s5
	v_mul_u32_u24_e32 v12, 33, v3
	v_add_nc_u32_e32 v16, 8, v3
	s_mov_b32 s5, exec_lo
	s_delay_alu instid0(VALU_DEP_2)
	v_add_lshl_u32 v12, v12, v0, 2
	s_waitcnt vmcnt(0) lgkmcnt(0)
	ds_store_b32 v12, v13
	v_cmpx_gt_i32_e64 s18, v16
	s_cbranch_execz .LBB153_18
; %bb.17:
	s_lshl_b32 s24, s10, 3
	s_delay_alu instid0(SALU_CYCLE_1) | instskip(NEXT) | instid1(SALU_CYCLE_1)
	s_ashr_i32 s25, s24, 31
	s_lshl_b64 s[24:25], s[24:25], 2
	s_delay_alu instid0(SALU_CYCLE_1) | instskip(NEXT) | instid1(VALU_DEP_1)
	v_add_co_u32 v13, s4, v9, s24
	v_add_co_ci_u32_e64 v14, s4, s25, v10, s4
	flat_load_b32 v14, v[13:14]
.LBB153_18:
	s_or_b32 exec_lo, exec_lo, s5
	v_dual_mov_b32 v13, 0 :: v_dual_add_nc_u32 v16, 16, v3
	s_waitcnt vmcnt(0) lgkmcnt(0)
	ds_store_b32 v12, v14 offset:1056
	v_cmp_gt_i32_e64 s4, s18, v16
	v_mov_b32_e32 v16, 0
	s_delay_alu instid0(VALU_DEP_2)
	s_and_saveexec_b32 s5, s4
	s_cbranch_execz .LBB153_20
; %bb.19:
	s_lshl_b32 s24, s10, 4
	s_delay_alu instid0(SALU_CYCLE_1) | instskip(NEXT) | instid1(SALU_CYCLE_1)
	s_ashr_i32 s25, s24, 31
	s_lshl_b64 s[24:25], s[24:25], 2
	s_delay_alu instid0(SALU_CYCLE_1) | instskip(NEXT) | instid1(VALU_DEP_1)
	v_add_co_u32 v19, s4, v9, s24
	v_add_co_ci_u32_e64 v20, s4, s25, v10, s4
	flat_load_b32 v16, v[19:20]
.LBB153_20:
	s_or_b32 exec_lo, exec_lo, s5
	v_add_nc_u32_e32 v14, 24, v3
	s_mov_b32 s5, exec_lo
	s_waitcnt vmcnt(0) lgkmcnt(0)
	ds_store_b32 v12, v16 offset:2112
	v_cmpx_gt_i32_e64 s18, v14
	s_cbranch_execz .LBB153_22
; %bb.21:
	s_mul_i32 s24, s10, 24
	s_delay_alu instid0(SALU_CYCLE_1) | instskip(NEXT) | instid1(SALU_CYCLE_1)
	s_ashr_i32 s25, s24, 31
	s_lshl_b64 s[24:25], s[24:25], 2
	s_delay_alu instid0(SALU_CYCLE_1) | instskip(NEXT) | instid1(VALU_DEP_1)
	v_add_co_u32 v13, s4, v9, s24
	v_add_co_ci_u32_e64 v14, s4, s25, v10, s4
	flat_load_b32 v13, v[13:14]
.LBB153_22:
	s_or_b32 exec_lo, exec_lo, s5
	v_add_co_u32 v9, s4, v9, v11
	s_delay_alu instid0(VALU_DEP_1) | instskip(SKIP_3) | instid1(VALU_DEP_1)
	v_add_co_ci_u32_e64 v10, s4, 0, v10, s4
	s_waitcnt vmcnt(0) lgkmcnt(0)
	ds_store_b32 v12, v13 offset:3168
	v_sub_co_u32 v9, s4, v9, s6
	v_subrev_co_ci_u32_e64 v10, s4, s7, v10, s4
	s_delay_alu instid0(VALU_DEP_2) | instskip(NEXT) | instid1(VALU_DEP_1)
	v_add_co_u32 v9, s4, v9, 4
	v_add_co_ci_u32_e64 v10, s4, 0, v10, s4
	s_delay_alu instid0(VALU_DEP_1)
	v_dual_cndmask_b32 v1, v9, v1 :: v_dual_cndmask_b32 v2, v10, v2
.LBB153_23:
	v_lshlrev_b32_e32 v11, 2, v3
	v_mul_u32_u24_e32 v19, 33, v0
	v_mul_u32_u24_e32 v10, 0x84, v3
	s_waitcnt lgkmcnt(0)
	s_barrier
	v_cmp_lt_u32_e64 s5, v11, v0
	v_add_lshl_u32 v13, v11, v19, 2
	buffer_gl0_inv
	s_and_saveexec_b32 s4, s5
	s_cbranch_execz .LBB153_25
; %bb.24:
	v_add_lshl_u32 v9, v10, v0, 2
	ds_load_b32 v9, v9
	s_waitcnt lgkmcnt(0)
	ds_store_b32 v13, v9
.LBB153_25:
	s_or_b32 exec_lo, exec_lo, s4
	v_or_b32_e32 v9, 1, v11
	s_delay_alu instid0(VALU_DEP_1) | instskip(NEXT) | instid1(VALU_DEP_1)
	v_cmp_lt_u32_e64 s6, v9, v0
	s_and_saveexec_b32 s4, s6
	s_cbranch_execz .LBB153_27
; %bb.26:
	v_mul_u32_u24_e32 v9, 33, v9
	s_delay_alu instid0(VALU_DEP_1)
	v_add_lshl_u32 v9, v9, v0, 2
	ds_load_b32 v9, v9
	s_waitcnt lgkmcnt(0)
	ds_store_b32 v13, v9 offset:4
.LBB153_27:
	s_or_b32 exec_lo, exec_lo, s4
	v_or_b32_e32 v9, 2, v11
	s_delay_alu instid0(VALU_DEP_1) | instskip(NEXT) | instid1(VALU_DEP_1)
	v_cmp_lt_u32_e64 s7, v9, v0
	s_and_saveexec_b32 s4, s7
	s_cbranch_execz .LBB153_29
; %bb.28:
	v_mul_u32_u24_e32 v9, 33, v9
	s_delay_alu instid0(VALU_DEP_1)
	v_add_lshl_u32 v9, v9, v0, 2
	ds_load_b32 v9, v9
	s_waitcnt lgkmcnt(0)
	ds_store_b32 v13, v9 offset:8
.LBB153_29:
	s_or_b32 exec_lo, exec_lo, s4
	v_or_b32_e32 v9, 3, v11
	s_delay_alu instid0(VALU_DEP_1) | instskip(SKIP_1) | instid1(VALU_DEP_2)
	v_mad_u32_u24 v12, v9, 33, v0
	v_cmp_lt_u32_e64 s8, v9, v0
	v_lshlrev_b32_e32 v9, 2, v12
	s_delay_alu instid0(VALU_DEP_2)
	s_and_saveexec_b32 s4, s8
	s_cbranch_execz .LBB153_31
; %bb.30:
	ds_load_b32 v12, v9
	s_waitcnt lgkmcnt(0)
	ds_store_b32 v13, v12 offset:12
.LBB153_31:
	s_or_b32 exec_lo, exec_lo, s4
	v_add_lshl_u32 v10, v10, v0, 2
	v_lshlrev_b32_e32 v12, 2, v11
	v_add_nc_u32_e32 v14, 0xfffffef8, v9
	s_waitcnt lgkmcnt(0)
	s_barrier
	buffer_gl0_inv
	ds_load_b32 v16, v10
	ds_load_b128 v[20:23], v12 offset:4544
	ds_load_2addr_b32 v[24:25], v14 offset1:33
	ds_load_b32 v26, v9
	v_cmp_gt_u32_e64 s4, 32, v18
	s_waitcnt lgkmcnt(0)
	s_barrier
	buffer_gl0_inv
	v_fma_f32 v27, v16, v20, 0
	v_add_lshl_u32 v20, v3, v19, 2
	s_delay_alu instid0(VALU_DEP_2) | instskip(NEXT) | instid1(VALU_DEP_1)
	v_fmac_f32_e32 v27, v24, v21
	v_dual_fmac_f32 v27, v25, v22 :: v_dual_mov_b32 v16, 0
	s_delay_alu instid0(VALU_DEP_1)
	v_fmac_f32_e32 v27, v26, v23
	ds_store_b32 v20, v27
	s_waitcnt lgkmcnt(0)
	s_barrier
	buffer_gl0_inv
	s_and_saveexec_b32 s11, s4
	s_cbranch_execz .LBB153_33
; %bb.32:
	v_lshlrev_b32_e32 v16, 2, v19
	ds_load_2addr_b32 v[21:22], v16 offset1:1
	ds_load_2addr_b32 v[23:24], v16 offset0:2 offset1:3
	ds_load_2addr_b32 v[25:26], v16 offset0:4 offset1:5
	;; [unrolled: 1-line block ×3, first 2 shown]
	s_waitcnt lgkmcnt(3)
	v_add_f32_e32 v16, v21, v22
	s_waitcnt lgkmcnt(2)
	s_delay_alu instid0(VALU_DEP_1) | instskip(NEXT) | instid1(VALU_DEP_1)
	v_add_f32_e32 v16, v16, v23
	v_add_f32_e32 v16, v16, v24
	s_waitcnt lgkmcnt(1)
	s_delay_alu instid0(VALU_DEP_1) | instskip(NEXT) | instid1(VALU_DEP_1)
	v_add_f32_e32 v16, v16, v25
	;; [unrolled: 4-line block ×3, first 2 shown]
	v_add_f32_e32 v16, v16, v28
.LBB153_33:
	s_or_b32 exec_lo, exec_lo, s11
	s_lshl_b32 s24, s10, 5
	v_cndmask_b32_e64 v21, 0, 1, s9
	s_ashr_i32 s25, s24, 31
	s_delay_alu instid0(SALU_CYCLE_1)
	s_lshl_b64 s[24:25], s[24:25], 2
	s_barrier
	v_add_co_u32 v1, vcc_lo, v1, s24
	v_add_co_ci_u32_e32 v2, vcc_lo, s25, v2, vcc_lo
	buffer_gl0_inv
	v_add_co_u32 v22, vcc_lo, 0x80, v1
	v_add_co_ci_u32_e32 v23, vcc_lo, 0, v2, vcc_lo
	s_and_not1_b32 vcc_lo, exec_lo, s9
	s_cbranch_vccnz .LBB153_35
; %bb.34:
	flat_load_b32 v24, v[1:2] offset:128
	s_lshl_b32 s26, s10, 3
	v_mul_u32_u24_e32 v25, 33, v3
	s_ashr_i32 s27, s26, 31
	s_ashr_i32 s11, s10, 31
	s_lshl_b64 s[26:27], s[26:27], 2
	s_delay_alu instid0(SALU_CYCLE_1)
	v_add_co_u32 v1, vcc_lo, v1, s26
	v_add_lshl_u32 v25, v25, v0, 2
	v_add_co_ci_u32_e32 v2, vcc_lo, s27, v2, vcc_lo
	s_lshl_b64 s[26:27], s[10:11], 5
	s_waitcnt vmcnt(0) lgkmcnt(0)
	ds_store_b32 v25, v24
	flat_load_b32 v24, v[1:2] offset:128
	v_add_co_u32 v1, vcc_lo, v1, s26
	v_add_co_ci_u32_e32 v2, vcc_lo, s27, v2, vcc_lo
	s_waitcnt vmcnt(0) lgkmcnt(0)
	ds_store_b32 v25, v24 offset:1056
	flat_load_b32 v24, v[1:2] offset:128
	v_add_co_u32 v1, vcc_lo, v1, s26
	v_add_co_ci_u32_e32 v2, vcc_lo, s27, v2, vcc_lo
	s_waitcnt vmcnt(0) lgkmcnt(0)
	ds_store_b32 v25, v24 offset:2112
	flat_load_b32 v1, v[1:2] offset:128
	s_waitcnt vmcnt(0) lgkmcnt(0)
	ds_store_b32 v25, v1 offset:3168
	s_cbranch_execz .LBB153_36
	s_branch .LBB153_45
.LBB153_35:
.LBB153_36:
	v_or_b32_e32 v1, 32, v0
	s_ashr_i32 s19, s18, 31
	v_mov_b32_e32 v26, 0
	s_lshl_b64 s[26:27], s[18:19], 2
	s_sub_i32 s11, s18, 32
	v_lshlrev_b32_e32 v2, 2, v1
	s_mov_b32 s19, exec_lo
	s_delay_alu instid0(VALU_DEP_1) | instskip(SKIP_1) | instid1(VALU_DEP_2)
	v_sub_co_u32 v2, vcc_lo, v22, v2
	v_subrev_co_ci_u32_e32 v24, vcc_lo, 0, v23, vcc_lo
	v_add_co_u32 v2, vcc_lo, v2, s26
	s_delay_alu instid0(VALU_DEP_2) | instskip(NEXT) | instid1(VALU_DEP_2)
	v_add_co_ci_u32_e32 v24, vcc_lo, s27, v24, vcc_lo
	v_add_co_u32 v25, vcc_lo, v2, -4
	s_delay_alu instid0(VALU_DEP_2) | instskip(SKIP_1) | instid1(VALU_DEP_2)
	v_add_co_ci_u32_e32 v2, vcc_lo, -1, v24, vcc_lo
	v_cmp_gt_i32_e32 vcc_lo, s18, v1
	v_dual_cndmask_b32 v1, v25, v22 :: v_dual_cndmask_b32 v2, v2, v23
	v_mov_b32_e32 v25, 0
	v_cmpx_gt_i32_e64 s11, v3
	s_cbranch_execz .LBB153_38
; %bb.37:
	flat_load_b32 v25, v[1:2]
.LBB153_38:
	s_or_b32 exec_lo, exec_lo, s19
	v_mul_u32_u24_e32 v24, 33, v3
	v_add_nc_u32_e32 v27, 8, v3
	s_mov_b32 s19, exec_lo
	s_delay_alu instid0(VALU_DEP_2)
	v_add_lshl_u32 v24, v24, v0, 2
	s_waitcnt vmcnt(0) lgkmcnt(0)
	ds_store_b32 v24, v25
	v_cmpx_gt_i32_e64 s11, v27
	s_cbranch_execz .LBB153_40
; %bb.39:
	s_lshl_b32 s28, s10, 3
	s_delay_alu instid0(SALU_CYCLE_1) | instskip(NEXT) | instid1(SALU_CYCLE_1)
	s_ashr_i32 s29, s28, 31
	s_lshl_b64 s[28:29], s[28:29], 2
	s_delay_alu instid0(SALU_CYCLE_1) | instskip(NEXT) | instid1(VALU_DEP_1)
	v_add_co_u32 v25, s9, v1, s28
	v_add_co_ci_u32_e64 v26, s9, s29, v2, s9
	flat_load_b32 v26, v[25:26]
.LBB153_40:
	s_or_b32 exec_lo, exec_lo, s19
	v_add_nc_u32_e32 v27, 16, v3
	v_mov_b32_e32 v25, 0
	s_waitcnt vmcnt(0) lgkmcnt(0)
	ds_store_b32 v24, v26 offset:1056
	v_cmp_gt_i32_e64 s9, s11, v27
	v_mov_b32_e32 v27, 0
	s_delay_alu instid0(VALU_DEP_2)
	s_and_saveexec_b32 s19, s9
	s_cbranch_execz .LBB153_42
; %bb.41:
	s_lshl_b32 s28, s10, 4
	s_delay_alu instid0(SALU_CYCLE_1) | instskip(NEXT) | instid1(SALU_CYCLE_1)
	s_ashr_i32 s29, s28, 31
	s_lshl_b64 s[28:29], s[28:29], 2
	s_delay_alu instid0(SALU_CYCLE_1) | instskip(NEXT) | instid1(VALU_DEP_1)
	v_add_co_u32 v26, s9, v1, s28
	v_add_co_ci_u32_e64 v27, s9, s29, v2, s9
	flat_load_b32 v27, v[26:27]
.LBB153_42:
	s_or_b32 exec_lo, exec_lo, s19
	v_add_nc_u32_e32 v26, 24, v3
	s_waitcnt vmcnt(0) lgkmcnt(0)
	ds_store_b32 v24, v27 offset:2112
	v_cmp_gt_i32_e64 s9, s11, v26
	s_delay_alu instid0(VALU_DEP_1)
	s_and_saveexec_b32 s11, s9
	s_cbranch_execz .LBB153_44
; %bb.43:
	s_mul_i32 s28, s10, 24
	s_delay_alu instid0(SALU_CYCLE_1) | instskip(NEXT) | instid1(SALU_CYCLE_1)
	s_ashr_i32 s29, s28, 31
	s_lshl_b64 s[28:29], s[28:29], 2
	s_delay_alu instid0(SALU_CYCLE_1) | instskip(NEXT) | instid1(VALU_DEP_1)
	v_add_co_u32 v25, s9, v1, s28
	v_add_co_ci_u32_e64 v26, s9, s29, v2, s9
	flat_load_b32 v25, v[25:26]
.LBB153_44:
	s_or_b32 exec_lo, exec_lo, s11
	v_lshlrev_b32_e32 v26, 2, v0
	s_waitcnt vmcnt(0) lgkmcnt(0)
	ds_store_b32 v24, v25 offset:3168
	v_add_co_u32 v1, s9, v1, v26
	s_delay_alu instid0(VALU_DEP_1) | instskip(NEXT) | instid1(VALU_DEP_2)
	v_add_co_ci_u32_e64 v2, s9, 0, v2, s9
	v_sub_co_u32 v1, s9, v1, s26
	s_delay_alu instid0(VALU_DEP_1) | instskip(NEXT) | instid1(VALU_DEP_2)
	v_subrev_co_ci_u32_e64 v2, s9, s27, v2, s9
	v_add_co_u32 v1, s9, 0x84, v1
	s_delay_alu instid0(VALU_DEP_1) | instskip(NEXT) | instid1(VALU_DEP_1)
	v_add_co_ci_u32_e64 v2, s9, 0, v2, s9
	v_dual_cndmask_b32 v22, v1, v22 :: v_dual_cndmask_b32 v23, v2, v23
.LBB153_45:
	v_add_nc_u32_e32 v12, 0x11c0, v12
	s_waitcnt lgkmcnt(0)
	s_barrier
	buffer_gl0_inv
	s_and_saveexec_b32 s9, s5
	s_cbranch_execnz .LBB153_54
; %bb.46:
	s_or_b32 exec_lo, exec_lo, s9
	s_and_saveexec_b32 s5, s6
	s_cbranch_execnz .LBB153_55
.LBB153_47:
	s_or_b32 exec_lo, exec_lo, s5
	s_and_saveexec_b32 s5, s7
	s_cbranch_execnz .LBB153_56
.LBB153_48:
	s_or_b32 exec_lo, exec_lo, s5
	s_and_saveexec_b32 s5, s8
	s_cbranch_execz .LBB153_50
.LBB153_49:
	ds_load_b32 v1, v9
	s_waitcnt lgkmcnt(0)
	ds_store_b32 v13, v1 offset:12
.LBB153_50:
	s_or_b32 exec_lo, exec_lo, s5
	s_waitcnt lgkmcnt(0)
	s_barrier
	buffer_gl0_inv
	ds_load_b32 v10, v10
	ds_load_b128 v[24:27], v12 offset:128
	ds_load_2addr_b32 v[1:2], v14 offset1:33
	ds_load_b32 v9, v9
	v_cmp_eq_u32_e64 s5, 1, v3
	s_waitcnt lgkmcnt(0)
	s_barrier
	buffer_gl0_inv
	v_fma_f32 v10, v10, v24, 0
	s_delay_alu instid0(VALU_DEP_1) | instskip(NEXT) | instid1(VALU_DEP_1)
	v_fmac_f32_e32 v10, v1, v25
	v_fmac_f32_e32 v10, v2, v26
	s_delay_alu instid0(VALU_DEP_1)
	v_fmac_f32_e32 v10, v9, v27
	ds_store_b32 v20, v10
	s_waitcnt lgkmcnt(0)
	s_barrier
	buffer_gl0_inv
	s_and_saveexec_b32 s6, s5
	s_cbranch_execz .LBB153_52
; %bb.51:
	v_lshlrev_b32_e32 v14, 2, v19
	ds_load_2addr_b32 v[1:2], v14 offset1:1
	ds_load_2addr_b32 v[9:10], v14 offset0:2 offset1:3
	ds_load_2addr_b32 v[24:25], v14 offset0:4 offset1:5
	;; [unrolled: 1-line block ×3, first 2 shown]
	s_waitcnt lgkmcnt(3)
	v_add_f32_e32 v1, v1, v2
	s_waitcnt lgkmcnt(2)
	s_delay_alu instid0(VALU_DEP_1) | instskip(NEXT) | instid1(VALU_DEP_1)
	v_add_f32_e32 v1, v1, v9
	v_add_f32_e32 v1, v1, v10
	s_waitcnt lgkmcnt(1)
	s_delay_alu instid0(VALU_DEP_1) | instskip(NEXT) | instid1(VALU_DEP_1)
	v_add_f32_e32 v1, v1, v24
	v_add_f32_e32 v1, v1, v25
	s_waitcnt lgkmcnt(0)
	s_delay_alu instid0(VALU_DEP_1) | instskip(NEXT) | instid1(VALU_DEP_1)
	v_add_f32_e32 v1, v1, v26
	v_add_f32_e32 v16, v1, v27
.LBB153_52:
	s_or_b32 exec_lo, exec_lo, s6
	v_cmp_ne_u32_e32 vcc_lo, 1, v21
	v_sub_co_u32 v9, s6, v22, s24
	s_delay_alu instid0(VALU_DEP_1)
	v_subrev_co_ci_u32_e64 v10, s6, s25, v23, s6
	s_barrier
	buffer_gl0_inv
	s_cbranch_vccnz .LBB153_57
; %bb.53:
	flat_load_b32 v21, v[9:10]
	s_lshl_b32 s6, s10, 3
	v_mad_u32_u24 v14, v3, 33, v0
	s_ashr_i32 s7, s6, 31
	s_ashr_i32 s11, s10, 31
	s_lshl_b64 s[6:7], s[6:7], 2
	v_add_nc_u32_e32 v22, 16, v3
	v_add_co_u32 v1, vcc_lo, v9, s6
	v_lshlrev_b32_e32 v24, 2, v14
	v_add_co_ci_u32_e32 v2, vcc_lo, s7, v10, vcc_lo
	s_lshl_b64 s[6:7], s[10:11], 5
	v_add_nc_u32_e32 v25, 0x108, v14
	v_add_nc_u32_e32 v23, 24, v3
	s_waitcnt vmcnt(0) lgkmcnt(0)
	ds_store_b32 v24, v21
	flat_load_b32 v21, v[1:2]
	v_add_co_u32 v1, vcc_lo, v1, s6
	v_add_co_ci_u32_e32 v2, vcc_lo, s7, v2, vcc_lo
	s_waitcnt vmcnt(0) lgkmcnt(0)
	ds_store_b32 v24, v21 offset:1056
	flat_load_b32 v21, v[1:2]
	v_add_co_u32 v1, vcc_lo, v1, s6
	v_add_co_ci_u32_e32 v2, vcc_lo, s7, v2, vcc_lo
	s_waitcnt vmcnt(0) lgkmcnt(0)
	ds_store_b32 v24, v21 offset:2112
	flat_load_b32 v26, v[1:2]
	v_add_nc_u32_e32 v21, 8, v3
	v_add_nc_u32_e32 v1, 0x210, v14
	;; [unrolled: 1-line block ×3, first 2 shown]
	s_waitcnt vmcnt(0) lgkmcnt(0)
	ds_store_b32 v24, v26 offset:3168
	s_cbranch_execz .LBB153_58
	s_branch .LBB153_67
.LBB153_54:
	ds_load_b32 v1, v10
	s_waitcnt lgkmcnt(0)
	ds_store_b32 v13, v1
	s_or_b32 exec_lo, exec_lo, s9
	s_and_saveexec_b32 s5, s6
	s_cbranch_execz .LBB153_47
.LBB153_55:
	ds_load_b32 v1, v14
	s_waitcnt lgkmcnt(0)
	ds_store_b32 v13, v1 offset:4
	s_or_b32 exec_lo, exec_lo, s5
	s_and_saveexec_b32 s5, s7
	s_cbranch_execz .LBB153_48
.LBB153_56:
	ds_load_b32 v1, v14 offset:132
	s_waitcnt lgkmcnt(0)
	ds_store_b32 v13, v1 offset:8
	s_or_b32 exec_lo, exec_lo, s5
	s_and_saveexec_b32 s5, s8
	s_cbranch_execnz .LBB153_49
	s_branch .LBB153_50
.LBB153_57:
                                        ; implicit-def: $vgpr14
                                        ; implicit-def: $vgpr21
                                        ; implicit-def: $vgpr25
                                        ; implicit-def: $vgpr22
                                        ; implicit-def: $vgpr1
                                        ; implicit-def: $vgpr23
                                        ; implicit-def: $vgpr2
.LBB153_58:
	v_or_b32_e32 v1, 32, v0
	s_ashr_i32 s19, s18, 31
	v_mov_b32_e32 v22, 0
	s_lshl_b64 s[8:9], s[18:19], 2
	s_mov_b32 s7, exec_lo
	v_dual_mov_b32 v23, 0 :: v_dual_lshlrev_b32 v2, 2, v1
	s_delay_alu instid0(VALU_DEP_1) | instskip(SKIP_1) | instid1(VALU_DEP_2)
	v_sub_co_u32 v2, vcc_lo, v9, v2
	v_subrev_co_ci_u32_e32 v14, vcc_lo, 0, v10, vcc_lo
	v_add_co_u32 v2, vcc_lo, v2, s8
	s_delay_alu instid0(VALU_DEP_2) | instskip(NEXT) | instid1(VALU_DEP_2)
	v_add_co_ci_u32_e32 v14, vcc_lo, s9, v14, vcc_lo
	v_add_co_u32 v21, vcc_lo, v2, -4
	s_delay_alu instid0(VALU_DEP_2) | instskip(SKIP_1) | instid1(VALU_DEP_2)
	v_add_co_ci_u32_e32 v2, vcc_lo, -1, v14, vcc_lo
	v_cmp_gt_i32_e32 vcc_lo, s18, v1
	v_dual_cndmask_b32 v2, v2, v10 :: v_dual_cndmask_b32 v1, v21, v9
	v_cmpx_gt_i32_e64 s18, v3
	s_cbranch_execz .LBB153_60
; %bb.59:
	flat_load_b32 v22, v[1:2]
.LBB153_60:
	s_or_b32 exec_lo, exec_lo, s7
	v_mad_u32_u24 v14, v3, 33, v0
	v_add_nc_u32_e32 v21, 8, v3
	s_mov_b32 s7, exec_lo
	s_delay_alu instid0(VALU_DEP_2)
	v_lshlrev_b32_e32 v24, 2, v14
	s_waitcnt vmcnt(0) lgkmcnt(0)
	ds_store_b32 v24, v22
	v_cmpx_gt_i32_e64 s18, v21
	s_cbranch_execz .LBB153_62
; %bb.61:
	s_lshl_b32 s24, s10, 3
	s_delay_alu instid0(SALU_CYCLE_1) | instskip(NEXT) | instid1(SALU_CYCLE_1)
	s_ashr_i32 s25, s24, 31
	s_lshl_b64 s[24:25], s[24:25], 2
	s_delay_alu instid0(SALU_CYCLE_1) | instskip(NEXT) | instid1(VALU_DEP_1)
	v_add_co_u32 v22, s6, v1, s24
	v_add_co_ci_u32_e64 v23, s6, s25, v2, s6
	flat_load_b32 v23, v[22:23]
.LBB153_62:
	s_or_b32 exec_lo, exec_lo, s7
	v_dual_mov_b32 v25, 0 :: v_dual_add_nc_u32 v22, 16, v3
	v_mov_b32_e32 v26, 0
	s_mov_b32 s7, exec_lo
	s_waitcnt vmcnt(0) lgkmcnt(0)
	ds_store_b32 v24, v23 offset:1056
	v_cmpx_gt_i32_e64 s18, v22
	s_cbranch_execz .LBB153_64
; %bb.63:
	s_lshl_b32 s24, s10, 4
	s_delay_alu instid0(SALU_CYCLE_1) | instskip(NEXT) | instid1(SALU_CYCLE_1)
	s_ashr_i32 s25, s24, 31
	s_lshl_b64 s[24:25], s[24:25], 2
	s_delay_alu instid0(SALU_CYCLE_1) | instskip(NEXT) | instid1(VALU_DEP_1)
	v_add_co_u32 v27, s6, v1, s24
	v_add_co_ci_u32_e64 v28, s6, s25, v2, s6
	flat_load_b32 v25, v[27:28]
.LBB153_64:
	s_or_b32 exec_lo, exec_lo, s7
	v_add_nc_u32_e32 v23, 24, v3
	s_mov_b32 s7, exec_lo
	s_waitcnt vmcnt(0) lgkmcnt(0)
	ds_store_b32 v24, v25 offset:2112
	v_cmpx_gt_i32_e64 s18, v23
	s_cbranch_execz .LBB153_66
; %bb.65:
	s_mul_i32 s24, s10, 24
	s_delay_alu instid0(SALU_CYCLE_1) | instskip(NEXT) | instid1(SALU_CYCLE_1)
	s_ashr_i32 s25, s24, 31
	s_lshl_b64 s[24:25], s[24:25], 2
	s_delay_alu instid0(SALU_CYCLE_1) | instskip(NEXT) | instid1(VALU_DEP_1)
	v_add_co_u32 v25, s6, v1, s24
	v_add_co_ci_u32_e64 v26, s6, s25, v2, s6
	flat_load_b32 v26, v[25:26]
.LBB153_66:
	s_or_b32 exec_lo, exec_lo, s7
	v_lshlrev_b32_e32 v0, 2, v0
	v_add_nc_u32_e32 v25, 0x108, v14
	s_waitcnt vmcnt(0) lgkmcnt(0)
	ds_store_b32 v24, v26 offset:3168
	v_add_co_u32 v0, s6, v1, v0
	s_delay_alu instid0(VALU_DEP_1) | instskip(NEXT) | instid1(VALU_DEP_2)
	v_add_co_ci_u32_e64 v1, s6, 0, v2, s6
	v_sub_co_u32 v0, s6, v0, s8
	s_delay_alu instid0(VALU_DEP_1) | instskip(NEXT) | instid1(VALU_DEP_2)
	v_subrev_co_ci_u32_e64 v1, s6, s9, v1, s6
	v_add_co_u32 v0, s6, 0x84, v0
	s_delay_alu instid0(VALU_DEP_1) | instskip(SKIP_1) | instid1(VALU_DEP_3)
	v_add_co_ci_u32_e64 v3, s6, 0, v1, s6
	v_add_nc_u32_e32 v1, 0x210, v14
	v_dual_cndmask_b32 v9, v0, v9 :: v_dual_add_nc_u32 v2, 0x318, v14
	s_delay_alu instid0(VALU_DEP_3)
	v_cndmask_b32_e32 v10, v3, v10, vcc_lo
.LBB153_67:
	v_lshlrev_b32_e32 v0, 2, v14
	v_lshlrev_b32_e32 v3, 2, v25
	s_waitcnt lgkmcnt(0)
	s_barrier
	buffer_gl0_inv
	ds_load_b32 v11, v11 offset:4544
	v_lshlrev_b32_e32 v14, 2, v21
	ds_load_b32 v21, v0
	ds_load_b32 v24, v3
	v_lshlrev_b32_e32 v0, 2, v1
	v_lshlrev_b32_e32 v1, 2, v22
	;; [unrolled: 1-line block ×3, first 2 shown]
	ds_load_b32 v22, v14 offset:4544
	v_lshlrev_b32_e32 v3, 2, v23
	ds_load_b32 v23, v0
	ds_load_b32 v25, v1 offset:4544
	ds_load_b32 v26, v2
	ds_load_b32 v27, v3 offset:4544
	ds_load_b128 v[0:3], v12 offset:128
	s_waitcnt lgkmcnt(7)
	v_fma_f32 v21, v21, v11, 0
	ds_load_2addr_b32 v[11:12], v13 offset0:2 offset1:3
	ds_load_2addr_b32 v[13:14], v13 offset1:1
	s_waitcnt lgkmcnt(0)
	s_barrier
	buffer_gl0_inv
	v_fmac_f32_e32 v21, v24, v22
	s_delay_alu instid0(VALU_DEP_1) | instskip(NEXT) | instid1(VALU_DEP_1)
	v_fmac_f32_e32 v21, v23, v25
	v_fmac_f32_e32 v21, v26, v27
	ds_store_b32 v20, v21
	s_waitcnt lgkmcnt(0)
	s_barrier
	buffer_gl0_inv
	s_and_saveexec_b32 s6, s5
	s_cbranch_execz .LBB153_69
; %bb.68:
	v_lshlrev_b32_e32 v27, 2, v19
	ds_load_2addr_b32 v[21:22], v27 offset1:1
	ds_load_2addr_b32 v[23:24], v27 offset0:2 offset1:3
	ds_load_2addr_b32 v[25:26], v27 offset0:4 offset1:5
	;; [unrolled: 1-line block ×3, first 2 shown]
	s_waitcnt lgkmcnt(3)
	v_add_f32_e32 v16, v16, v21
	s_delay_alu instid0(VALU_DEP_1) | instskip(SKIP_1) | instid1(VALU_DEP_1)
	v_add_f32_e32 v16, v16, v22
	s_waitcnt lgkmcnt(2)
	v_add_f32_e32 v16, v16, v23
	s_delay_alu instid0(VALU_DEP_1) | instskip(SKIP_1) | instid1(VALU_DEP_1)
	v_add_f32_e32 v16, v16, v24
	;; [unrolled: 4-line block ×3, first 2 shown]
	s_waitcnt lgkmcnt(0)
	v_add_f32_e32 v16, v16, v27
	s_delay_alu instid0(VALU_DEP_1)
	v_add_f32_e32 v16, v16, v28
.LBB153_69:
	s_or_b32 exec_lo, exec_lo, s6
	v_fma_f32 v0, v13, v0, 0
	s_barrier
	buffer_gl0_inv
	v_fmac_f32_e32 v0, v14, v1
	s_delay_alu instid0(VALU_DEP_1) | instskip(NEXT) | instid1(VALU_DEP_1)
	v_fmac_f32_e32 v0, v11, v2
	v_fmac_f32_e32 v0, v12, v3
	ds_store_b32 v20, v0
	s_waitcnt lgkmcnt(0)
	s_barrier
	buffer_gl0_inv
	s_and_saveexec_b32 s5, s4
	s_cbranch_execz .LBB153_71
; %bb.70:
	v_lshlrev_b32_e32 v13, 2, v19
	ds_load_2addr_b32 v[0:1], v13 offset1:1
	ds_load_2addr_b32 v[2:3], v13 offset0:2 offset1:3
	ds_load_2addr_b32 v[11:12], v13 offset0:4 offset1:5
	ds_load_2addr_b32 v[13:14], v13 offset0:6 offset1:7
	s_waitcnt lgkmcnt(3)
	v_add_f32_e32 v0, v16, v0
	s_delay_alu instid0(VALU_DEP_1) | instskip(SKIP_1) | instid1(VALU_DEP_1)
	v_add_f32_e32 v0, v0, v1
	s_waitcnt lgkmcnt(2)
	v_add_f32_e32 v0, v0, v2
	s_delay_alu instid0(VALU_DEP_1) | instskip(SKIP_1) | instid1(VALU_DEP_1)
	v_add_f32_e32 v0, v0, v3
	;; [unrolled: 4-line block ×3, first 2 shown]
	s_waitcnt lgkmcnt(0)
	v_add_f32_e32 v0, v0, v13
	s_delay_alu instid0(VALU_DEP_1)
	v_add_f32_e32 v16, v0, v14
.LBB153_71:
	s_or_b32 exec_lo, exec_lo, s5
	s_load_b64 s[0:1], s[0:1], 0x60
	s_mul_hi_u32 s4, s16, s12
	s_mul_i32 s17, s17, s12
	s_mul_i32 s5, s16, s12
	s_add_i32 s4, s4, s17
	s_mul_hi_u32 s6, s5, s15
	s_mul_i32 s7, s4, s15
	s_mul_i32 s4, s5, s15
	s_add_i32 s5, s6, s7
	s_mul_i32 s6, s14, s16
	s_lshl_b64 s[4:5], s[4:5], 2
	v_cmp_le_i32_e32 vcc_lo, s18, v17
	v_lshlrev_b32_e32 v11, 2, v17
	s_waitcnt lgkmcnt(0)
	s_barrier
	buffer_gl0_inv
	s_add_u32 s4, s0, s4
	s_addc_u32 s5, s1, s5
	s_ashr_i32 s7, s6, 31
	s_delay_alu instid0(SALU_CYCLE_1) | instskip(NEXT) | instid1(SALU_CYCLE_1)
	s_lshl_b64 s[0:1], s[6:7], 2
	s_add_u32 s15, s4, s0
	s_addc_u32 s24, s5, s1
	s_and_b32 vcc_lo, s21, vcc_lo
	s_cmp_lt_i32 s14, 1
	s_cbranch_scc1 .LBB153_78
; %bb.72:
	v_mul_lo_u32 v0, v15, s10
	s_ashr_i32 s19, s18, 31
	s_mul_i32 s4, s20, s13
	v_and_b32_e32 v13, 0x1fff0, v18
	s_ashr_i32 s5, s4, 31
	v_mov_b32_e32 v1, 0
	s_lshl_b64 s[4:5], s[4:5], 2
	v_mad_u32_u24 v14, 0x430, v15, v11
	v_lshl_add_u32 v2, v0, 2, v17
	v_sub_co_u32 v0, s0, v9, s22
	s_delay_alu instid0(VALU_DEP_1) | instskip(SKIP_1) | instid1(VALU_DEP_4)
	v_subrev_co_ci_u32_e64 v12, s0, s23, v10, s0
	v_add_nc_u32_e32 v10, 0x11c0, v11
	v_ashrrev_i32_e32 v3, 31, v2
	s_delay_alu instid0(VALU_DEP_4) | instskip(NEXT) | instid1(VALU_DEP_1)
	v_sub_co_u32 v0, s0, v0, v7
	v_sub_co_ci_u32_e64 v7, s0, v12, v8, s0
	s_delay_alu instid0(VALU_DEP_3)
	v_lshlrev_b64 v[2:3], 2, v[2:3]
	v_lshrrev_b32_e32 v8, 2, v18
	v_add_nc_u32_e32 v9, 0x10c0, v11
	s_ashr_i32 s11, s10, 31
	s_lshl_b32 s20, s13, 6
	s_lshl_b64 s[6:7], s[10:11], 3
	v_add_co_u32 v0, s0, v0, v2
	s_delay_alu instid0(VALU_DEP_1) | instskip(SKIP_1) | instid1(VALU_DEP_2)
	v_add_co_ci_u32_e64 v2, s0, v7, v3, s0
	s_lshl_b64 s[8:9], s[10:11], 8
	v_add_co_u32 v0, s0, 0xffffff80, v0
	s_delay_alu instid0(VALU_DEP_1) | instskip(SKIP_1) | instid1(VALU_DEP_2)
	v_add_co_ci_u32_e64 v2, s0, -1, v2, s0
	s_lshl_b64 s[12:13], s[10:11], 6
	v_sub_co_u32 v3, s0, v0, v11
	s_delay_alu instid0(VALU_DEP_1) | instskip(SKIP_2) | instid1(VALU_DEP_2)
	v_subrev_co_ci_u32_e64 v7, s0, 0, v2, s0
	s_lshl_b64 s[0:1], s[18:19], 2
	s_mul_hi_i32 s18, s10, 12
	v_add_co_u32 v3, s0, v3, s0
	s_delay_alu instid0(VALU_DEP_1) | instskip(SKIP_1) | instid1(VALU_DEP_2)
	v_add_co_ci_u32_e64 v7, s0, s1, v7, s0
	s_mul_i32 s19, s10, 12
	v_add_co_u32 v12, s0, v3, -4
	s_delay_alu instid0(VALU_DEP_1) | instskip(SKIP_3) | instid1(VALU_DEP_4)
	v_add_co_ci_u32_e64 v3, s0, -1, v7, s0
	v_and_b32_e32 v20, 48, v17
	v_and_b32_e32 v19, 15, v17
	;; [unrolled: 1-line block ×3, first 2 shown]
	v_dual_cndmask_b32 v3, v2, v3 :: v_dual_cndmask_b32 v2, v0, v12
	s_delay_alu instid0(VALU_DEP_4) | instskip(SKIP_2) | instid1(VALU_DEP_1)
	v_lshlrev_b32_e32 v0, 2, v20
	v_or_b32_e32 v12, 60, v11
	v_sub_co_u32 v5, s0, v5, s4
	v_subrev_co_ci_u32_e64 v6, s0, s5, v6, s0
	v_cmp_gt_u32_e64 s0, 64, v18
	v_mad_u32_u24 v7, 0x10c, v19, v0
	v_mad_u32_u24 v8, 0x10c, v19, v12
	;; [unrolled: 1-line block ×3, first 2 shown]
	v_lshl_add_u32 v13, v15, 4, 0x10c0
	v_mad_u32_u24 v17, 0x10c, v19, v17
	v_or_b32_e32 v0, v20, v19
	s_lshl_b64 s[4:5], s[10:11], 2
	s_mul_hi_i32 s21, s10, 0x48
	s_mul_i32 s22, s10, 0x48
	s_mul_hi_i32 s23, s10, 0x4c
	s_mul_i32 s25, s10, 0x4c
	s_lshl_b64 s[16:17], s[10:11], 7
	s_mul_hi_i32 s26, s10, 0x88
	s_mul_i32 s27, s10, 0x88
	s_mul_hi_i32 s28, s10, 0x8c
	s_mul_i32 s29, s10, 0x8c
	;; [unrolled: 2-line block ×8, first 2 shown]
	s_mov_b32 s10, 0
	s_branch .LBB153_74
.LBB153_73:                             ;   in Loop: Header=BB153_74 Depth=1
	s_or_b32 exec_lo, exec_lo, s11
	v_fmac_f32_e32 v16, v18, v22
	v_add_co_u32 v2, s1, v2, s8
	s_delay_alu instid0(VALU_DEP_1) | instskip(NEXT) | instid1(VALU_DEP_3)
	v_add_co_ci_u32_e64 v3, s1, s9, v3, s1
	v_fmac_f32_e32 v16, v20, v23
	v_add_nc_u32_e32 v0, 64, v0
	s_add_i32 s14, s14, -1
	s_add_i32 s10, s10, s20
	s_cmp_eq_u32 s14, 0
	v_fmac_f32_e32 v16, v19, v24
	s_waitcnt_vscnt null, 0x0
	s_barrier
	buffer_gl0_inv
	v_fmac_f32_e32 v16, v21, v25
	s_delay_alu instid0(VALU_DEP_1) | instskip(NEXT) | instid1(VALU_DEP_1)
	v_fmac_f32_e32 v16, v26, v30
	v_fmac_f32_e32 v16, v28, v31
	s_delay_alu instid0(VALU_DEP_1) | instskip(NEXT) | instid1(VALU_DEP_1)
	v_fmac_f32_e32 v16, v27, v32
	;; [unrolled: 3-line block ×6, first 2 shown]
	v_fmac_f32_e32 v16, v39, v47
	s_cbranch_scc1 .LBB153_78
.LBB153_74:                             ; =>This Inner Loop Header: Depth=1
	s_and_saveexec_b32 s43, s3
	s_cbranch_execz .LBB153_76
; %bb.75:                               ;   in Loop: Header=BB153_74 Depth=1
	s_ashr_i32 s11, s10, 31
	s_delay_alu instid0(SALU_CYCLE_1) | instskip(NEXT) | instid1(SALU_CYCLE_1)
	s_lshl_b64 s[44:45], s[10:11], 2
	v_add_co_u32 v18, s1, v5, s44
	s_delay_alu instid0(VALU_DEP_1)
	v_add_co_ci_u32_e64 v19, s1, s45, v6, s1
	flat_load_b32 v18, v[18:19]
	s_waitcnt vmcnt(0) lgkmcnt(0)
	ds_store_b32 v9, v18
.LBB153_76:                             ;   in Loop: Header=BB153_74 Depth=1
	s_or_b32 exec_lo, exec_lo, s43
	v_add_co_u32 v19, s1, v2, s4
	s_delay_alu instid0(VALU_DEP_1) | instskip(SKIP_1) | instid1(VALU_DEP_1)
	v_add_co_ci_u32_e64 v20, s1, s5, v3, s1
	v_add_co_u32 v21, s1, v2, s6
	v_add_co_ci_u32_e64 v22, s1, s7, v3, s1
	v_add_co_u32 v23, s1, v2, s19
	s_waitcnt lgkmcnt(0)
	s_barrier
	buffer_gl0_inv
	flat_load_b32 v18, v[2:3]
	v_add_co_ci_u32_e64 v24, s1, s18, v3, s1
	s_clause 0x2
	flat_load_b32 v20, v[19:20]
	flat_load_b32 v19, v[21:22]
	;; [unrolled: 1-line block ×3, first 2 shown]
	ds_load_b32 v23, v10
	ds_load_b32 v22, v13
	v_add_co_u32 v26, s1, v2, s12
	s_delay_alu instid0(VALU_DEP_1) | instskip(SKIP_1) | instid1(VALU_DEP_1)
	v_add_co_ci_u32_e64 v27, s1, s13, v3, s1
	v_add_co_u32 v28, s1, v2, s42
	v_add_co_ci_u32_e64 v29, s1, s41, v3, s1
	v_add_co_u32 v30, s1, v2, s22
	s_delay_alu instid0(VALU_DEP_1)
	v_add_co_ci_u32_e64 v31, s1, s21, v3, s1
	s_waitcnt vmcnt(3) lgkmcnt(1)
	v_mul_f32_e32 v24, v18, v23
	s_waitcnt vmcnt(2)
	v_mul_f32_e32 v25, v20, v23
	s_waitcnt vmcnt(1)
	;; [unrolled: 2-line block ×3, first 2 shown]
	v_mul_f32_e32 v33, v21, v23
	ds_store_b32 v14, v24
	ds_load_b32 v23, v13 offset:4
	ds_store_b32 v14, v25 offset:268
	ds_load_b32 v24, v13 offset:8
	ds_store_b32 v14, v32 offset:536
	v_add_co_u32 v32, s1, v2, s25
	ds_load_b32 v25, v13 offset:12
	ds_store_b32 v14, v33 offset:804
	s_waitcnt lgkmcnt(0)
	s_barrier
	buffer_gl0_inv
	ds_load_2addr_b32 v[50:51], v12 offset1:1
	ds_load_2addr_b32 v[52:53], v12 offset0:2 offset1:3
	s_waitcnt lgkmcnt(0)
	s_barrier
	buffer_gl0_inv
	flat_load_b32 v26, v[26:27]
	v_add_co_ci_u32_e64 v33, s1, s23, v3, s1
	s_clause 0x2
	flat_load_b32 v28, v[28:29]
	flat_load_b32 v27, v[30:31]
	;; [unrolled: 1-line block ×3, first 2 shown]
	ds_load_b32 v31, v10
	ds_load_b32 v30, v13 offset:64
	v_add_co_u32 v34, s1, v2, s16
	s_delay_alu instid0(VALU_DEP_1) | instskip(SKIP_1) | instid1(VALU_DEP_1)
	v_add_co_ci_u32_e64 v35, s1, s17, v3, s1
	v_add_co_u32 v36, s1, v2, s40
	v_add_co_ci_u32_e64 v37, s1, s39, v3, s1
	v_add_co_u32 v38, s1, v2, s27
	s_delay_alu instid0(VALU_DEP_1) | instskip(SKIP_1) | instid1(VALU_DEP_1)
	v_add_co_ci_u32_e64 v39, s1, s26, v3, s1
	v_add_f32_e32 v50, 0, v50
	v_add_f32_e32 v50, v50, v51
	s_delay_alu instid0(VALU_DEP_1) | instskip(NEXT) | instid1(VALU_DEP_1)
	v_add_f32_e32 v50, v50, v52
	v_add_f32_e32 v50, v50, v53
	s_waitcnt vmcnt(3) lgkmcnt(1)
	v_mul_f32_e32 v32, v26, v31
	s_waitcnt vmcnt(2)
	v_mul_f32_e32 v33, v28, v31
	s_waitcnt vmcnt(1)
	;; [unrolled: 2-line block ×3, first 2 shown]
	v_mul_f32_e32 v41, v29, v31
	ds_store_b32 v14, v32
	ds_load_b32 v31, v13 offset:68
	ds_store_b32 v14, v33 offset:268
	ds_load_b32 v32, v13 offset:72
	ds_store_b32 v14, v40 offset:536
	v_add_co_u32 v40, s1, v2, s29
	ds_load_b32 v33, v13 offset:76
	ds_store_b32 v14, v41 offset:804
	s_waitcnt lgkmcnt(0)
	s_barrier
	buffer_gl0_inv
	ds_load_2addr_b32 v[54:55], v12 offset1:1
	ds_load_2addr_b32 v[56:57], v12 offset0:2 offset1:3
	s_waitcnt lgkmcnt(0)
	s_barrier
	buffer_gl0_inv
	flat_load_b32 v34, v[34:35]
	v_add_co_ci_u32_e64 v41, s1, s28, v3, s1
	s_clause 0x2
	flat_load_b32 v36, v[36:37]
	flat_load_b32 v35, v[38:39]
	flat_load_b32 v37, v[40:41]
	ds_load_b32 v39, v10
	ds_load_b32 v38, v13 offset:128
	v_add_co_u32 v43, s1, v2, s31
	s_delay_alu instid0(VALU_DEP_1) | instskip(SKIP_1) | instid1(VALU_DEP_1)
	v_add_co_ci_u32_e64 v44, s1, s30, v3, s1
	v_add_co_u32 v46, s1, v2, s38
	v_add_co_ci_u32_e64 v47, s1, s37, v3, s1
	v_add_co_u32 v48, s1, v2, s34
	s_delay_alu instid0(VALU_DEP_1) | instskip(SKIP_1) | instid1(VALU_DEP_1)
	v_add_co_ci_u32_e64 v49, s1, s33, v3, s1
	v_add_co_u32 v58, s1, v2, s36
	v_add_co_ci_u32_e64 v59, s1, s35, v3, s1
	v_add_f32_e32 v54, 0, v54
	s_delay_alu instid0(VALU_DEP_1)
	v_add_f32_e32 v51, v54, v55
	s_waitcnt vmcnt(3) lgkmcnt(1)
	v_mul_f32_e32 v40, v34, v39
	s_waitcnt vmcnt(2)
	v_mul_f32_e32 v41, v36, v39
	s_waitcnt vmcnt(1)
	;; [unrolled: 2-line block ×3, first 2 shown]
	v_mul_f32_e32 v39, v37, v39
	ds_store_b32 v14, v40
	ds_load_b32 v40, v13 offset:132
	ds_store_b32 v14, v41 offset:268
	ds_load_b32 v41, v13 offset:136
	ds_store_b32 v14, v42 offset:536
	ds_load_b32 v42, v13 offset:140
	ds_store_b32 v14, v39 offset:804
	s_waitcnt lgkmcnt(0)
	s_barrier
	buffer_gl0_inv
	ds_load_2addr_b32 v[60:61], v12 offset1:1
	ds_load_2addr_b32 v[62:63], v12 offset0:2 offset1:3
	s_waitcnt lgkmcnt(0)
	s_barrier
	buffer_gl0_inv
	s_clause 0x3
	flat_load_b32 v45, v[43:44]
	flat_load_b32 v44, v[46:47]
	flat_load_b32 v43, v[48:49]
	flat_load_b32 v39, v[58:59]
	ds_load_b32 v47, v10
	ds_load_b32 v46, v13 offset:192
	v_add_f32_e32 v60, 0, v60
	s_delay_alu instid0(VALU_DEP_1) | instskip(NEXT) | instid1(VALU_DEP_1)
	v_add_f32_e32 v54, v60, v61
	v_add_f32_e32 v52, v54, v62
	s_delay_alu instid0(VALU_DEP_1)
	v_add_f32_e32 v52, v52, v63
	s_waitcnt vmcnt(3) lgkmcnt(1)
	v_mul_f32_e32 v48, v45, v47
	s_waitcnt vmcnt(2)
	v_mul_f32_e32 v58, v44, v47
	s_waitcnt vmcnt(1)
	;; [unrolled: 2-line block ×3, first 2 shown]
	v_mul_f32_e32 v64, v39, v47
	ds_store_b32 v14, v48
	ds_load_b32 v49, v13 offset:196
	ds_store_b32 v14, v58 offset:268
	ds_load_b32 v48, v13 offset:200
	ds_store_b32 v14, v59 offset:536
	;; [unrolled: 2-line block ×3, first 2 shown]
	s_waitcnt lgkmcnt(0)
	s_barrier
	buffer_gl0_inv
	ds_load_2addr_b32 v[58:59], v12 offset1:1
	ds_load_2addr_b32 v[64:65], v12 offset0:2 offset1:3
	s_waitcnt lgkmcnt(0)
	s_barrier
	buffer_gl0_inv
	v_add_f32_e32 v58, 0, v58
	s_delay_alu instid0(VALU_DEP_1) | instskip(NEXT) | instid1(VALU_DEP_1)
	v_add_f32_e32 v55, v58, v59
	v_add_f32_e32 v54, v55, v64
	;; [unrolled: 1-line block ×3, first 2 shown]
	s_delay_alu instid0(VALU_DEP_2) | instskip(NEXT) | instid1(VALU_DEP_2)
	v_add_f32_e32 v53, v54, v65
	v_add_f32_e32 v51, v51, v57
	ds_store_2addr_b32 v17, v50, v51 offset1:16
	ds_store_2addr_b32 v17, v52, v53 offset0:32 offset1:48
	s_waitcnt lgkmcnt(0)
	s_barrier
	buffer_gl0_inv
	s_and_saveexec_b32 s11, s0
	s_cbranch_execz .LBB153_73
; %bb.77:                               ;   in Loop: Header=BB153_74 Depth=1
	ds_load_2addr_b32 v[50:51], v7 offset1:1
	ds_load_2addr_b32 v[52:53], v7 offset0:2 offset1:3
	ds_load_2addr_b32 v[54:55], v7 offset0:4 offset1:5
	ds_load_2addr_b32 v[56:57], v7 offset0:6 offset1:7
	s_waitcnt lgkmcnt(3)
	v_add_f32_e32 v50, v50, v51
	s_waitcnt lgkmcnt(2)
	s_delay_alu instid0(VALU_DEP_1) | instskip(NEXT) | instid1(VALU_DEP_1)
	v_add_f32_e32 v50, v50, v52
	v_add_f32_e32 v50, v50, v53
	s_waitcnt lgkmcnt(1)
	s_delay_alu instid0(VALU_DEP_1) | instskip(SKIP_3) | instid1(VALU_DEP_1)
	v_add_f32_e32 v52, v50, v54
	ds_load_2addr_b32 v[50:51], v7 offset0:8 offset1:9
	v_add_f32_e32 v52, v52, v55
	s_waitcnt lgkmcnt(1)
	v_add_f32_e32 v54, v52, v56
	ds_load_2addr_b32 v[52:53], v7 offset0:10 offset1:11
	v_add_f32_e32 v56, v54, v57
	ds_load_2addr_b32 v[54:55], v7 offset0:12 offset1:13
	ds_load_b32 v57, v7 offset:56
	s_waitcnt lgkmcnt(3)
	v_add_f32_e32 v50, v56, v50
	s_delay_alu instid0(VALU_DEP_1) | instskip(SKIP_1) | instid1(VALU_DEP_1)
	v_add_f32_e32 v50, v50, v51
	s_waitcnt lgkmcnt(2)
	v_add_f32_e32 v50, v50, v52
	ds_load_b32 v52, v8
	v_add_f32_e32 v50, v50, v53
	s_waitcnt lgkmcnt(2)
	s_delay_alu instid0(VALU_DEP_1) | instskip(NEXT) | instid1(VALU_DEP_1)
	v_add_f32_e32 v50, v50, v54
	v_add_f32_e32 v50, v50, v55
	s_waitcnt lgkmcnt(1)
	s_delay_alu instid0(VALU_DEP_1) | instskip(SKIP_2) | instid1(VALU_DEP_2)
	v_add_f32_e32 v53, v50, v57
	v_lshlrev_b64 v[50:51], 2, v[0:1]
	s_waitcnt lgkmcnt(0)
	v_add_f32_e32 v52, v53, v52
	s_delay_alu instid0(VALU_DEP_2) | instskip(NEXT) | instid1(VALU_DEP_1)
	v_add_co_u32 v50, s1, s15, v50
	v_add_co_ci_u32_e64 v51, s1, s24, v51, s1
	global_store_b32 v[50:51], v52, off
	s_branch .LBB153_73
.LBB153_78:
	v_mad_u32_u24 v0, 0x10c, v15, v11
	s_or_b32 s0, s2, vcc_lo
	s_delay_alu instid0(SALU_CYCLE_1)
	s_xor_b32 s0, s0, -1
	ds_store_b32 v0, v16
	s_waitcnt lgkmcnt(0)
	s_barrier
	buffer_gl0_inv
	s_and_saveexec_b32 s1, s0
	s_cbranch_execz .LBB153_80
; %bb.79:
	ds_load_2addr_b32 v[0:1], v11 offset1:67
	ds_load_2addr_b32 v[2:3], v11 offset0:134 offset1:201
	v_ashrrev_i32_e32 v5, 31, v4
	s_waitcnt lgkmcnt(1)
	v_add_f32_e32 v0, v0, v1
	s_waitcnt lgkmcnt(0)
	s_delay_alu instid0(VALU_DEP_1) | instskip(SKIP_1) | instid1(VALU_DEP_2)
	v_add_f32_e32 v2, v0, v2
	v_lshlrev_b64 v[0:1], 2, v[4:5]
	v_add_f32_e32 v2, v2, v3
	s_delay_alu instid0(VALU_DEP_2) | instskip(NEXT) | instid1(VALU_DEP_3)
	v_add_co_u32 v0, vcc_lo, s15, v0
	v_add_co_ci_u32_e32 v1, vcc_lo, s24, v1, vcc_lo
	global_store_b32 v[0:1], v2, off
.LBB153_80:
	s_nop 0
	s_sendmsg sendmsg(MSG_DEALLOC_VGPRS)
	s_endpgm
	.section	.rodata,"a",@progbits
	.p2align	6, 0x0
	.amdhsa_kernel _ZL26rocblas_hemvn_kernel_lowerILb0ELi64ELi4ELi33ELi32ELi16EifPKPKfPfEviT6_lT7_lT5_lS6_lS7_lS5_lT8_i
		.amdhsa_group_segment_fixed_size 4800
		.amdhsa_private_segment_fixed_size 0
		.amdhsa_kernarg_size 368
		.amdhsa_user_sgpr_count 14
		.amdhsa_user_sgpr_dispatch_ptr 0
		.amdhsa_user_sgpr_queue_ptr 0
		.amdhsa_user_sgpr_kernarg_segment_ptr 1
		.amdhsa_user_sgpr_dispatch_id 0
		.amdhsa_user_sgpr_private_segment_size 0
		.amdhsa_wavefront_size32 1
		.amdhsa_uses_dynamic_stack 0
		.amdhsa_enable_private_segment 0
		.amdhsa_system_sgpr_workgroup_id_x 1
		.amdhsa_system_sgpr_workgroup_id_y 0
		.amdhsa_system_sgpr_workgroup_id_z 1
		.amdhsa_system_sgpr_workgroup_info 0
		.amdhsa_system_vgpr_workitem_id 1
		.amdhsa_next_free_vgpr 66
		.amdhsa_next_free_sgpr 46
		.amdhsa_reserve_vcc 1
		.amdhsa_float_round_mode_32 0
		.amdhsa_float_round_mode_16_64 0
		.amdhsa_float_denorm_mode_32 3
		.amdhsa_float_denorm_mode_16_64 3
		.amdhsa_dx10_clamp 1
		.amdhsa_ieee_mode 1
		.amdhsa_fp16_overflow 0
		.amdhsa_workgroup_processor_mode 1
		.amdhsa_memory_ordered 1
		.amdhsa_forward_progress 0
		.amdhsa_shared_vgpr_count 0
		.amdhsa_exception_fp_ieee_invalid_op 0
		.amdhsa_exception_fp_denorm_src 0
		.amdhsa_exception_fp_ieee_div_zero 0
		.amdhsa_exception_fp_ieee_overflow 0
		.amdhsa_exception_fp_ieee_underflow 0
		.amdhsa_exception_fp_ieee_inexact 0
		.amdhsa_exception_int_div_zero 0
	.end_amdhsa_kernel
	.section	.text._ZL26rocblas_hemvn_kernel_lowerILb0ELi64ELi4ELi33ELi32ELi16EifPKPKfPfEviT6_lT7_lT5_lS6_lS7_lS5_lT8_i,"axG",@progbits,_ZL26rocblas_hemvn_kernel_lowerILb0ELi64ELi4ELi33ELi32ELi16EifPKPKfPfEviT6_lT7_lT5_lS6_lS7_lS5_lT8_i,comdat
.Lfunc_end153:
	.size	_ZL26rocblas_hemvn_kernel_lowerILb0ELi64ELi4ELi33ELi32ELi16EifPKPKfPfEviT6_lT7_lT5_lS6_lS7_lS5_lT8_i, .Lfunc_end153-_ZL26rocblas_hemvn_kernel_lowerILb0ELi64ELi4ELi33ELi32ELi16EifPKPKfPfEviT6_lT7_lT5_lS6_lS7_lS5_lT8_i
                                        ; -- End function
	.section	.AMDGPU.csdata,"",@progbits
; Kernel info:
; codeLenInByte = 6572
; NumSgprs: 48
; NumVgprs: 66
; ScratchSize: 0
; MemoryBound: 0
; FloatMode: 240
; IeeeMode: 1
; LDSByteSize: 4800 bytes/workgroup (compile time only)
; SGPRBlocks: 5
; VGPRBlocks: 8
; NumSGPRsForWavesPerEU: 48
; NumVGPRsForWavesPerEU: 66
; Occupancy: 16
; WaveLimiterHint : 1
; COMPUTE_PGM_RSRC2:SCRATCH_EN: 0
; COMPUTE_PGM_RSRC2:USER_SGPR: 14
; COMPUTE_PGM_RSRC2:TRAP_HANDLER: 0
; COMPUTE_PGM_RSRC2:TGID_X_EN: 1
; COMPUTE_PGM_RSRC2:TGID_Y_EN: 0
; COMPUTE_PGM_RSRC2:TGID_Z_EN: 1
; COMPUTE_PGM_RSRC2:TIDIG_COMP_CNT: 1
	.section	.text._ZL36rocblas_hemvn_kernel_lower_block_sumILi64EifPKPffEviT1_lS3_lT2_lT0_lPT3_i,"axG",@progbits,_ZL36rocblas_hemvn_kernel_lower_block_sumILi64EifPKPffEviT1_lS3_lT2_lT0_lPT3_i,comdat
	.globl	_ZL36rocblas_hemvn_kernel_lower_block_sumILi64EifPKPffEviT1_lS3_lT2_lT0_lPT3_i ; -- Begin function _ZL36rocblas_hemvn_kernel_lower_block_sumILi64EifPKPffEviT1_lS3_lT2_lT0_lPT3_i
	.p2align	8
	.type	_ZL36rocblas_hemvn_kernel_lower_block_sumILi64EifPKPffEviT1_lS3_lT2_lT0_lPT3_i,@function
_ZL36rocblas_hemvn_kernel_lower_block_sumILi64EifPKPffEviT1_lS3_lT2_lT0_lPT3_i: ; @_ZL36rocblas_hemvn_kernel_lower_block_sumILi64EifPKPffEviT1_lS3_lT2_lT0_lPT3_i
; %bb.0:
	s_clause 0x1
	s_load_b64 s[6:7], s[0:1], 0x0
	s_load_b32 s9, s[0:1], 0x10
	s_mov_b32 s5, 0
	s_waitcnt lgkmcnt(0)
	v_cmp_eq_f32_e64 s2, s7, 0
	v_cmp_eq_f32_e64 s3, s9, 1.0
	s_delay_alu instid0(VALU_DEP_1) | instskip(NEXT) | instid1(SALU_CYCLE_1)
	s_and_b32 s2, s2, s3
	s_and_b32 vcc_lo, exec_lo, s2
	s_cbranch_vccnz .LBB154_19
; %bb.1:
	s_clause 0x1
	s_load_b128 s[16:19], s[0:1], 0x20
	s_load_b32 s10, s[0:1], 0x30
	s_mov_b32 s4, s15
	v_lshl_or_b32 v0, s14, 6, v0
	s_lshl_b64 s[2:3], s[4:5], 3
	s_waitcnt lgkmcnt(0)
	s_add_u32 s2, s16, s2
	s_addc_u32 s3, s17, s3
	s_lshl_b64 s[16:17], s[18:19], 2
	s_load_b64 s[12:13], s[2:3], 0x0
	v_cmp_neq_f32_e64 s2, s7, 0
	s_waitcnt lgkmcnt(0)
	s_add_u32 s3, s12, s16
	s_addc_u32 s8, s13, s17
	s_delay_alu instid0(VALU_DEP_1)
	s_and_b32 vcc_lo, exec_lo, s2
	v_cmp_gt_i32_e64 s2, s6, v0
	s_cbranch_vccnz .LBB154_6
; %bb.2:
	s_mov_b32 s11, 0
                                        ; implicit-def: $vgpr3
                                        ; implicit-def: $vgpr1_vgpr2
	s_delay_alu instid0(VALU_DEP_1)
	s_and_saveexec_b32 s12, s2
	s_cbranch_execz .LBB154_7
; %bb.3:
	v_mul_lo_u32 v1, v0, s10
	v_cmp_eq_f32_e64 s2, s9, 0
	v_mov_b32_e32 v3, 0
	s_delay_alu instid0(VALU_DEP_2) | instskip(NEXT) | instid1(VALU_DEP_3)
	s_and_b32 vcc_lo, exec_lo, s2
	v_ashrrev_i32_e32 v2, 31, v1
	s_cbranch_vccnz .LBB154_5
; %bb.4:
	s_delay_alu instid0(VALU_DEP_1) | instskip(NEXT) | instid1(VALU_DEP_1)
	v_lshlrev_b64 v[3:4], 2, v[1:2]
	v_add_co_u32 v3, vcc_lo, s3, v3
	s_delay_alu instid0(VALU_DEP_2)
	v_add_co_ci_u32_e32 v4, vcc_lo, s8, v4, vcc_lo
	global_load_b32 v3, v[3:4], off
	s_waitcnt vmcnt(0)
	v_mul_f32_e32 v3, s9, v3
.LBB154_5:
	s_mov_b32 s5, exec_lo
	s_or_b32 exec_lo, exec_lo, s12
	s_delay_alu instid0(SALU_CYCLE_1)
	s_and_b32 vcc_lo, exec_lo, s11
	s_cbranch_vccnz .LBB154_8
	s_branch .LBB154_17
.LBB154_6:
                                        ; implicit-def: $vgpr3
                                        ; implicit-def: $vgpr1_vgpr2
	s_cbranch_execnz .LBB154_8
	s_branch .LBB154_17
.LBB154_7:
	s_or_b32 exec_lo, exec_lo, s12
	s_delay_alu instid0(SALU_CYCLE_1)
	s_and_b32 vcc_lo, exec_lo, s11
	s_cbranch_vccz .LBB154_17
.LBB154_8:
	s_mov_b32 s2, exec_lo
                                        ; implicit-def: $vgpr3
                                        ; implicit-def: $vgpr1_vgpr2
	v_cmpx_gt_i32_e64 s6, v0
	s_cbranch_execz .LBB154_16
; %bb.9:
	s_load_b32 s11, s[0:1], 0x50
	v_mov_b32_e32 v4, 0
	s_waitcnt lgkmcnt(0)
	s_cmp_ge_i32 s14, s11
	s_cbranch_scc1 .LBB154_12
; %bb.10:
	s_load_b64 s[0:1], s[0:1], 0x40
	v_mad_u64_u32 v[1:2], null, s14, s6, v[0:1]
	s_ashr_i32 s13, s6, 31
	s_mul_hi_u32 s12, s6, s4
	s_mul_i32 s15, s13, s4
	s_mul_i32 s4, s6, s4
	s_add_i32 s12, s12, s15
	s_mul_hi_u32 s15, s4, s11
	s_delay_alu instid0(VALU_DEP_1)
	v_ashrrev_i32_e32 v2, 31, v1
	s_mul_i32 s12, s12, s11
	s_mul_i32 s16, s4, s11
	s_add_i32 s17, s15, s12
	v_mov_b32_e32 v4, 0
	v_lshlrev_b64 v[1:2], 2, v[1:2]
	s_lshl_b64 s[16:17], s[16:17], 2
	s_mov_b32 s12, s6
	s_waitcnt lgkmcnt(0)
	s_add_u32 s0, s0, s16
	s_addc_u32 s1, s1, s17
	v_add_co_u32 v1, vcc_lo, s0, v1
	v_add_co_ci_u32_e32 v2, vcc_lo, s1, v2, vcc_lo
	s_lshl_b64 s[0:1], s[12:13], 2
.LBB154_11:                             ; =>This Inner Loop Header: Depth=1
	global_load_b32 v3, v[1:2], off
	v_add_co_u32 v1, vcc_lo, v1, s0
	v_add_co_ci_u32_e32 v2, vcc_lo, s1, v2, vcc_lo
	s_add_i32 s14, s14, 1
	s_delay_alu instid0(SALU_CYCLE_1)
	s_cmp_ge_i32 s14, s11
	s_waitcnt vmcnt(0)
	v_add_f32_e32 v4, v4, v3
	s_cbranch_scc0 .LBB154_11
.LBB154_12:
	v_mul_lo_u32 v1, v0, s10
	v_cmp_eq_f32_e64 s0, s9, 0
	s_delay_alu instid0(VALU_DEP_1) | instskip(SKIP_1) | instid1(VALU_DEP_2)
	s_and_b32 vcc_lo, exec_lo, s0
	s_mov_b32 s0, 0
	v_ashrrev_i32_e32 v2, 31, v1
	s_cbranch_vccz .LBB154_20
; %bb.13:
	v_mul_f32_e32 v3, s7, v4
	s_and_not1_b32 vcc_lo, exec_lo, s0
	s_cbranch_vccnz .LBB154_15
.LBB154_14:
	s_delay_alu instid0(VALU_DEP_1) | instskip(NEXT) | instid1(VALU_DEP_1)
	v_lshlrev_b64 v[5:6], 2, v[1:2]
	v_add_co_u32 v5, vcc_lo, s3, v5
	s_delay_alu instid0(VALU_DEP_2) | instskip(SKIP_3) | instid1(VALU_DEP_1)
	v_add_co_ci_u32_e32 v6, vcc_lo, s8, v6, vcc_lo
	global_load_b32 v0, v[5:6], off
	s_waitcnt vmcnt(0)
	v_mul_f32_e32 v3, s9, v0
	v_fmac_f32_e32 v3, s7, v4
.LBB154_15:
	s_or_b32 s5, s5, exec_lo
.LBB154_16:
	s_or_b32 exec_lo, exec_lo, s2
.LBB154_17:
	s_and_saveexec_b32 s0, s5
	s_cbranch_execz .LBB154_19
; %bb.18:
	v_lshlrev_b64 v[0:1], 2, v[1:2]
	s_delay_alu instid0(VALU_DEP_1) | instskip(NEXT) | instid1(VALU_DEP_2)
	v_add_co_u32 v0, vcc_lo, s3, v0
	v_add_co_ci_u32_e32 v1, vcc_lo, s8, v1, vcc_lo
	global_store_b32 v[0:1], v3, off
.LBB154_19:
	s_nop 0
	s_sendmsg sendmsg(MSG_DEALLOC_VGPRS)
	s_endpgm
.LBB154_20:
                                        ; implicit-def: $vgpr3
	s_branch .LBB154_14
	.section	.rodata,"a",@progbits
	.p2align	6, 0x0
	.amdhsa_kernel _ZL36rocblas_hemvn_kernel_lower_block_sumILi64EifPKPffEviT1_lS3_lT2_lT0_lPT3_i
		.amdhsa_group_segment_fixed_size 0
		.amdhsa_private_segment_fixed_size 0
		.amdhsa_kernarg_size 336
		.amdhsa_user_sgpr_count 14
		.amdhsa_user_sgpr_dispatch_ptr 0
		.amdhsa_user_sgpr_queue_ptr 0
		.amdhsa_user_sgpr_kernarg_segment_ptr 1
		.amdhsa_user_sgpr_dispatch_id 0
		.amdhsa_user_sgpr_private_segment_size 0
		.amdhsa_wavefront_size32 1
		.amdhsa_uses_dynamic_stack 0
		.amdhsa_enable_private_segment 0
		.amdhsa_system_sgpr_workgroup_id_x 1
		.amdhsa_system_sgpr_workgroup_id_y 0
		.amdhsa_system_sgpr_workgroup_id_z 1
		.amdhsa_system_sgpr_workgroup_info 0
		.amdhsa_system_vgpr_workitem_id 0
		.amdhsa_next_free_vgpr 7
		.amdhsa_next_free_sgpr 20
		.amdhsa_reserve_vcc 1
		.amdhsa_float_round_mode_32 0
		.amdhsa_float_round_mode_16_64 0
		.amdhsa_float_denorm_mode_32 3
		.amdhsa_float_denorm_mode_16_64 3
		.amdhsa_dx10_clamp 1
		.amdhsa_ieee_mode 1
		.amdhsa_fp16_overflow 0
		.amdhsa_workgroup_processor_mode 1
		.amdhsa_memory_ordered 1
		.amdhsa_forward_progress 0
		.amdhsa_shared_vgpr_count 0
		.amdhsa_exception_fp_ieee_invalid_op 0
		.amdhsa_exception_fp_denorm_src 0
		.amdhsa_exception_fp_ieee_div_zero 0
		.amdhsa_exception_fp_ieee_overflow 0
		.amdhsa_exception_fp_ieee_underflow 0
		.amdhsa_exception_fp_ieee_inexact 0
		.amdhsa_exception_int_div_zero 0
	.end_amdhsa_kernel
	.section	.text._ZL36rocblas_hemvn_kernel_lower_block_sumILi64EifPKPffEviT1_lS3_lT2_lT0_lPT3_i,"axG",@progbits,_ZL36rocblas_hemvn_kernel_lower_block_sumILi64EifPKPffEviT1_lS3_lT2_lT0_lPT3_i,comdat
.Lfunc_end154:
	.size	_ZL36rocblas_hemvn_kernel_lower_block_sumILi64EifPKPffEviT1_lS3_lT2_lT0_lPT3_i, .Lfunc_end154-_ZL36rocblas_hemvn_kernel_lower_block_sumILi64EifPKPffEviT1_lS3_lT2_lT0_lPT3_i
                                        ; -- End function
	.section	.AMDGPU.csdata,"",@progbits
; Kernel info:
; codeLenInByte = 656
; NumSgprs: 22
; NumVgprs: 7
; ScratchSize: 0
; MemoryBound: 0
; FloatMode: 240
; IeeeMode: 1
; LDSByteSize: 0 bytes/workgroup (compile time only)
; SGPRBlocks: 2
; VGPRBlocks: 0
; NumSGPRsForWavesPerEU: 22
; NumVGPRsForWavesPerEU: 7
; Occupancy: 16
; WaveLimiterHint : 1
; COMPUTE_PGM_RSRC2:SCRATCH_EN: 0
; COMPUTE_PGM_RSRC2:USER_SGPR: 14
; COMPUTE_PGM_RSRC2:TRAP_HANDLER: 0
; COMPUTE_PGM_RSRC2:TGID_X_EN: 1
; COMPUTE_PGM_RSRC2:TGID_Y_EN: 0
; COMPUTE_PGM_RSRC2:TGID_Z_EN: 1
; COMPUTE_PGM_RSRC2:TIDIG_COMP_CNT: 0
	.section	.text._ZL50rocblas_symv_kernel_upper_double_buffered_diagonalILi32ELi4E24rocblas_internal_val_ptrIdEPKPKdPKPdEvbiT1_lT2_lllSA_lllS9_lT3_llli,"axG",@progbits,_ZL50rocblas_symv_kernel_upper_double_buffered_diagonalILi32ELi4E24rocblas_internal_val_ptrIdEPKPKdPKPdEvbiT1_lT2_lllSA_lllS9_lT3_llli,comdat
	.globl	_ZL50rocblas_symv_kernel_upper_double_buffered_diagonalILi32ELi4E24rocblas_internal_val_ptrIdEPKPKdPKPdEvbiT1_lT2_lllSA_lllS9_lT3_llli ; -- Begin function _ZL50rocblas_symv_kernel_upper_double_buffered_diagonalILi32ELi4E24rocblas_internal_val_ptrIdEPKPKdPKPdEvbiT1_lT2_lllSA_lllS9_lT3_llli
	.p2align	8
	.type	_ZL50rocblas_symv_kernel_upper_double_buffered_diagonalILi32ELi4E24rocblas_internal_val_ptrIdEPKPKdPKPdEvbiT1_lT2_lllSA_lllS9_lT3_llli,@function
_ZL50rocblas_symv_kernel_upper_double_buffered_diagonalILi32ELi4E24rocblas_internal_val_ptrIdEPKPKdPKPdEvbiT1_lT2_lllSA_lllS9_lT3_llli: ; @_ZL50rocblas_symv_kernel_upper_double_buffered_diagonalILi32ELi4E24rocblas_internal_val_ptrIdEPKPKdPKPdEvbiT1_lT2_lllSA_lllS9_lT3_llli
; %bb.0:
	s_clause 0x3
	s_load_b32 s2, s[0:1], 0x0
	s_load_b256 s[4:11], s[0:1], 0x8
	s_load_b64 s[12:13], s[0:1], 0x28
	s_load_b128 s[16:19], s[0:1], 0x58
	s_mov_b32 s20, s15
	s_waitcnt lgkmcnt(0)
	s_bitcmp1_b32 s2, 0
	v_dual_mov_b32 v1, s4 :: v_dual_mov_b32 v2, s5
	s_cselect_b32 s2, -1, 0
	s_delay_alu instid0(SALU_CYCLE_1)
	s_and_b32 vcc_lo, exec_lo, s2
	s_xor_b32 s2, s2, -1
	s_cbranch_vccnz .LBB155_2
; %bb.1:
	s_mul_i32 s3, s20, s7
	s_mul_hi_u32 s7, s20, s6
	s_mul_i32 s6, s20, s6
	s_add_i32 s7, s7, s3
	s_delay_alu instid0(SALU_CYCLE_1) | instskip(NEXT) | instid1(SALU_CYCLE_1)
	s_lshl_b64 s[6:7], s[6:7], 3
	s_add_u32 s4, s4, s6
	s_addc_u32 s5, s5, s7
	s_delay_alu instid0(SALU_CYCLE_1)
	v_dual_mov_b32 v1, s4 :: v_dual_mov_b32 v2, s5
	flat_load_b64 v[1:2], v[1:2]
.LBB155_2:
	v_dual_mov_b32 v3, s16 :: v_dual_mov_b32 v4, s17
	s_and_not1_b32 vcc_lo, exec_lo, s2
	s_cbranch_vccnz .LBB155_4
; %bb.3:
	s_mul_i32 s2, s20, s19
	s_mul_hi_u32 s3, s20, s18
	s_delay_alu instid0(SALU_CYCLE_1) | instskip(SKIP_1) | instid1(SALU_CYCLE_1)
	s_add_i32 s3, s3, s2
	s_mul_i32 s2, s20, s18
	s_lshl_b64 s[2:3], s[2:3], 3
	s_delay_alu instid0(SALU_CYCLE_1) | instskip(SKIP_1) | instid1(SALU_CYCLE_1)
	s_add_u32 s2, s16, s2
	s_addc_u32 s3, s17, s3
	v_dual_mov_b32 v4, s3 :: v_dual_mov_b32 v3, s2
	flat_load_b64 v[3:4], v[3:4]
.LBB155_4:
	s_waitcnt vmcnt(0) lgkmcnt(0)
	v_cmp_neq_f64_e32 vcc_lo, 0, v[1:2]
	v_cmp_neq_f64_e64 s2, 1.0, v[3:4]
	s_delay_alu instid0(VALU_DEP_1) | instskip(NEXT) | instid1(SALU_CYCLE_1)
	s_or_b32 s2, vcc_lo, s2
	s_and_saveexec_b32 s3, s2
	s_cbranch_execz .LBB155_42
; %bb.5:
	v_cmp_neq_f64_e64 s2, 0, v[1:2]
	v_cmp_eq_f64_e32 vcc_lo, 0, v[1:2]
                                        ; implicit-def: $sgpr4_sgpr5
	s_and_saveexec_b32 s3, vcc_lo
	s_delay_alu instid0(SALU_CYCLE_1)
	s_xor_b32 s3, exec_lo, s3
; %bb.6:
	s_mov_b32 s21, 0
	s_mov_b64 s[4:5], 0
; %bb.7:
	s_or_saveexec_b32 s3, s3
	s_load_b64 s[16:17], s[0:1], 0x68
	v_dual_mov_b32 v5, s20 :: v_dual_mov_b32 v6, s21
	v_dual_mov_b32 v8, s5 :: v_dual_mov_b32 v7, s4
	s_xor_b32 exec_lo, exec_lo, s3
	s_cbranch_execz .LBB155_9
; %bb.8:
	s_mov_b32 s21, 0
	s_delay_alu instid0(SALU_CYCLE_1) | instskip(SKIP_1) | instid1(SALU_CYCLE_1)
	v_dual_mov_b32 v5, s20 :: v_dual_mov_b32 v6, s21
	s_lshl_b64 s[4:5], s[20:21], 3
	s_add_u32 s4, s8, s4
	s_addc_u32 s5, s9, s5
	s_lshl_b64 s[6:7], s[10:11], 3
	s_load_b64 s[4:5], s[4:5], 0x0
	s_waitcnt lgkmcnt(0)
	s_add_u32 s4, s4, s6
	s_addc_u32 s5, s5, s7
	s_delay_alu instid0(SALU_CYCLE_1)
	v_dual_mov_b32 v8, s5 :: v_dual_mov_b32 v7, s4
.LBB155_9:
	s_or_b32 exec_lo, exec_lo, s3
	s_clause 0x1
	s_load_b128 s[4:7], s[0:1], 0x38
	s_load_b64 s[8:9], s[0:1], 0x48
	v_mov_b32_e32 v9, 0
	v_lshlrev_b64 v[5:6], 3, v[5:6]
	v_mov_b32_e32 v10, 0
	s_and_saveexec_b32 s3, s2
	s_cbranch_execz .LBB155_11
; %bb.10:
	s_waitcnt lgkmcnt(0)
	s_delay_alu instid0(VALU_DEP_2) | instskip(NEXT) | instid1(VALU_DEP_1)
	v_add_co_u32 v9, s2, s4, v5
	v_add_co_ci_u32_e64 v10, s2, s5, v6, s2
	s_lshl_b64 s[4:5], s[6:7], 3
	global_load_b64 v[9:10], v[9:10], off
	s_waitcnt vmcnt(0)
	v_add_co_u32 v9, s2, v9, s4
	s_delay_alu instid0(VALU_DEP_1)
	v_add_co_ci_u32_e64 v10, s2, s5, v10, s2
.LBB155_11:
	s_or_b32 exec_lo, exec_lo, s3
	s_waitcnt lgkmcnt(0)
	v_add_co_u32 v5, s2, s16, v5
	s_delay_alu instid0(VALU_DEP_1)
	v_add_co_ci_u32_e64 v6, s2, s17, v6, s2
	s_load_b128 s[0:3], s[0:1], 0x70
	s_lshl_b32 s4, s14, 5
	v_and_b32_e32 v15, 0x3ff, v0
	global_load_b64 v[5:6], v[5:6], off
	s_ashr_i32 s5, s4, 31
	v_bfe_u32 v17, v0, 10, 10
	s_waitcnt lgkmcnt(0)
	s_mul_i32 s6, s4, s3
	s_mul_hi_u32 s7, s4, s2
	s_mul_i32 s10, s5, s2
	s_add_i32 s7, s7, s6
	s_mul_i32 s6, s4, s2
	s_add_i32 s7, s7, s10
	s_lshl_b64 s[0:1], s[0:1], 3
	s_lshl_b64 s[6:7], s[6:7], 3
	s_delay_alu instid0(SALU_CYCLE_1) | instskip(SKIP_3) | instid1(VALU_DEP_1)
	s_add_u32 s0, s6, s0
	s_addc_u32 s1, s7, s1
	s_waitcnt vmcnt(0)
	v_add_co_u32 v0, s0, s0, v5
	v_add_co_ci_u32_e64 v16, s0, s1, v6, s0
	s_and_saveexec_b32 s0, vcc_lo
	s_delay_alu instid0(SALU_CYCLE_1)
	s_xor_b32 s0, exec_lo, s0
	s_cbranch_execz .LBB155_15
; %bb.12:
	s_mov_b32 s1, exec_lo
	v_cmpx_eq_u32_e32 0, v17
	s_cbranch_execz .LBB155_14
; %bb.13:
	v_mad_u64_u32 v[1:2], null, v15, s2, 0
	s_delay_alu instid0(VALU_DEP_1) | instskip(NEXT) | instid1(VALU_DEP_1)
	v_mad_u64_u32 v[5:6], null, v15, s3, v[2:3]
	v_mov_b32_e32 v2, v5
	s_delay_alu instid0(VALU_DEP_1) | instskip(NEXT) | instid1(VALU_DEP_1)
	v_lshlrev_b64 v[1:2], 3, v[1:2]
	v_add_co_u32 v0, vcc_lo, v0, v1
	s_delay_alu instid0(VALU_DEP_2)
	v_add_co_ci_u32_e32 v1, vcc_lo, v16, v2, vcc_lo
	global_load_b64 v[5:6], v[0:1], off
	s_waitcnt vmcnt(0)
	v_mul_f64 v[2:3], v[3:4], v[5:6]
	global_store_b64 v[0:1], v[2:3], off
.LBB155_14:
	s_or_b32 exec_lo, exec_lo, s1
                                        ; implicit-def: $vgpr17
                                        ; implicit-def: $vgpr1_vgpr2
                                        ; implicit-def: $vgpr3_vgpr4
                                        ; implicit-def: $vgpr15
                                        ; implicit-def: $vgpr0
                                        ; implicit-def: $vgpr16
                                        ; implicit-def: $vgpr7_vgpr8
                                        ; implicit-def: $vgpr9_vgpr10
.LBB155_15:
	s_and_not1_saveexec_b32 s0, s0
	s_cbranch_execz .LBB155_42
; %bb.16:
	v_mov_b32_e32 v5, 0
	v_mov_b32_e32 v6, 0
	v_cmp_eq_u32_e32 vcc_lo, 0, v17
	s_and_saveexec_b32 s1, vcc_lo
	s_cbranch_execz .LBB155_20
; %bb.17:
	v_mov_b32_e32 v5, 0
	v_mov_b32_e32 v6, 0
	s_mov_b32 s6, exec_lo
	v_cmpx_neq_f64_e32 0, v[3:4]
	s_cbranch_execz .LBB155_19
; %bb.18:
	v_mad_u64_u32 v[5:6], null, v15, s2, 0
	s_delay_alu instid0(VALU_DEP_1) | instskip(NEXT) | instid1(VALU_DEP_1)
	v_mad_u64_u32 v[11:12], null, v15, s3, v[6:7]
	v_mov_b32_e32 v6, v11
	s_delay_alu instid0(VALU_DEP_1) | instskip(NEXT) | instid1(VALU_DEP_1)
	v_lshlrev_b64 v[5:6], 3, v[5:6]
	v_add_co_u32 v5, s0, v0, v5
	s_delay_alu instid0(VALU_DEP_1)
	v_add_co_ci_u32_e64 v6, s0, v16, v6, s0
	global_load_b64 v[5:6], v[5:6], off
	s_waitcnt vmcnt(0)
	v_mul_f64 v[5:6], v[3:4], v[5:6]
.LBB155_19:
	s_or_b32 exec_lo, exec_lo, s6
	v_mad_u64_u32 v[11:12], null, v15, s8, 0
	s_mul_i32 s0, s4, s9
	s_mul_hi_u32 s6, s4, s8
	s_mul_i32 s7, s5, s8
	s_add_i32 s0, s6, s0
	s_mul_i32 s6, s4, s8
	s_add_i32 s7, s0, s7
	s_delay_alu instid0(VALU_DEP_1) | instskip(SKIP_1) | instid1(SALU_CYCLE_1)
	v_mad_u64_u32 v[13:14], null, v15, s9, v[12:13]
	s_lshl_b64 s[6:7], s[6:7], 3
	v_add_co_u32 v9, s0, v9, s6
	s_delay_alu instid0(VALU_DEP_1) | instskip(NEXT) | instid1(VALU_DEP_3)
	v_add_co_ci_u32_e64 v10, s0, s7, v10, s0
	v_mov_b32_e32 v12, v13
	s_delay_alu instid0(VALU_DEP_1) | instskip(NEXT) | instid1(VALU_DEP_1)
	v_lshlrev_b64 v[11:12], 3, v[11:12]
	v_add_co_u32 v9, s0, v9, v11
	v_lshlrev_b32_e32 v11, 3, v15
	s_delay_alu instid0(VALU_DEP_3)
	v_add_co_ci_u32_e64 v10, s0, v10, v12, s0
	flat_load_b64 v[9:10], v[9:10]
	s_waitcnt vmcnt(0) lgkmcnt(0)
	ds_store_b64 v11, v[9:10] offset:10240
.LBB155_20:
	s_or_b32 exec_lo, exec_lo, s1
	v_mad_u64_u32 v[9:10], null, v17, s12, 0
	s_add_u32 s0, s12, 1
	s_addc_u32 s1, s13, 0
	s_mul_i32 s5, s0, s5
	s_mul_hi_u32 s6, s0, s4
	s_mul_i32 s1, s1, s4
	s_add_i32 s5, s6, s5
	s_delay_alu instid0(VALU_DEP_1)
	v_mad_u64_u32 v[11:12], null, v17, s13, v[10:11]
	s_mul_i32 s0, s0, s4
	s_add_i32 s1, s5, s1
	v_lshlrev_b32_e32 v18, 3, v15
	s_lshl_b64 s[0:1], s[0:1], 3
	s_mul_hi_u32 s10, s12, 12
	v_add_co_u32 v7, s0, v7, s0
	s_delay_alu instid0(VALU_DEP_3) | instskip(SKIP_3) | instid1(VALU_DEP_2)
	v_mov_b32_e32 v10, v11
	v_add_co_ci_u32_e64 v8, s0, s1, v8, s0
	s_mul_i32 s1, s13, 12
	s_mul_i32 s4, s12, 12
	v_lshlrev_b64 v[9:10], 3, v[9:10]
                                        ; implicit-def: $sgpr6_sgpr7
                                        ; implicit-def: $sgpr8_sgpr9
	s_delay_alu instid0(VALU_DEP_1) | instskip(NEXT) | instid1(VALU_DEP_1)
	v_add_co_u32 v7, s0, v7, v9
	v_add_co_ci_u32_e64 v8, s0, v8, v10, s0
	s_delay_alu instid0(VALU_DEP_2) | instskip(NEXT) | instid1(VALU_DEP_1)
	v_add_co_u32 v7, s0, v7, v18
	v_add_co_ci_u32_e64 v8, s0, 0, v8, s0
	v_cmp_lt_u32_e64 s0, 15, v15
	s_delay_alu instid0(VALU_DEP_1) | instskip(NEXT) | instid1(SALU_CYCLE_1)
	s_and_saveexec_b32 s5, s0
	s_xor_b32 s0, exec_lo, s5
; %bb.21:
	s_lshl_b64 s[6:7], s[12:13], 2
	s_lshl_b64 s[8:9], s[12:13], 3
	s_add_i32 s5, s10, s1
; %bb.22:
	s_or_saveexec_b32 s11, s0
	v_dual_mov_b32 v10, s5 :: v_dual_lshlrev_b32 v19, 5, v17
	v_dual_mov_b32 v9, s4 :: v_dual_mov_b32 v12, s9
	v_dual_mov_b32 v11, s8 :: v_dual_mov_b32 v14, s7
	v_mov_b32_e32 v13, s6
	s_xor_b32 exec_lo, exec_lo, s11
	s_cbranch_execz .LBB155_24
; %bb.23:
	flat_load_b64 v[9:10], v[7:8]
	v_or_b32_e32 v11, v19, v15
	s_lshl_b64 s[6:7], s[12:13], 5
	s_add_i32 s5, s10, s1
	s_delay_alu instid0(VALU_DEP_1) | instskip(SKIP_1) | instid1(VALU_DEP_1)
	v_lshlrev_b32_e32 v22, 3, v11
	v_add_co_u32 v11, s0, v7, s6
	v_add_co_ci_u32_e64 v12, s0, s7, v8, s0
	s_waitcnt vmcnt(0) lgkmcnt(0)
	ds_store_b64 v22, v[9:10]
	flat_load_b64 v[9:10], v[11:12]
	v_add_co_u32 v11, s0, v11, s6
	s_delay_alu instid0(VALU_DEP_1) | instskip(SKIP_4) | instid1(VALU_DEP_1)
	v_add_co_ci_u32_e64 v12, s0, s7, v12, s0
	s_waitcnt vmcnt(0) lgkmcnt(0)
	ds_store_b64 v22, v[9:10] offset:1024
	flat_load_b64 v[9:10], v[11:12]
	v_add_co_u32 v11, s0, v11, s6
	v_add_co_ci_u32_e64 v12, s0, s7, v12, s0
	s_lshl_b64 s[6:7], s[12:13], 2
	s_lshl_b64 s[0:1], s[12:13], 3
	v_dual_mov_b32 v14, s7 :: v_dual_mov_b32 v13, s6
	s_waitcnt vmcnt(0) lgkmcnt(0)
	ds_store_b64 v22, v[9:10] offset:2048
	flat_load_b64 v[20:21], v[11:12]
	v_mov_b32_e32 v10, s5
	v_dual_mov_b32 v12, s1 :: v_dual_mov_b32 v9, s4
	v_mov_b32_e32 v11, s0
	s_waitcnt vmcnt(0) lgkmcnt(0)
	ds_store_b64 v22, v[20:21] offset:3072
.LBB155_24:
	s_or_b32 exec_lo, exec_lo, s11
	s_lshl_b64 s[0:1], s[12:13], 7
	v_lshlrev_b64 v[13:14], 3, v[13:14]
	v_add_co_u32 v20, s0, v7, s0
	s_delay_alu instid0(VALU_DEP_1) | instskip(SKIP_1) | instid1(VALU_DEP_3)
	v_add_co_ci_u32_e64 v21, s0, s1, v8, s0
	v_add_lshl_u32 v7, v19, v15, 3
	v_add_co_u32 v13, s0, v20, v13
	flat_load_b64 v[22:23], v[20:21]
	v_add_co_ci_u32_e64 v14, s0, v21, v14, s0
	v_lshlrev_b64 v[11:12], 3, v[11:12]
	v_lshlrev_b64 v[8:9], 3, v[9:10]
	s_mov_b32 s1, exec_lo
	s_delay_alu instid0(VALU_DEP_2) | instskip(NEXT) | instid1(VALU_DEP_1)
	v_add_co_u32 v11, s0, v20, v11
	v_add_co_ci_u32_e64 v12, s0, v21, v12, s0
	s_delay_alu instid0(VALU_DEP_3) | instskip(NEXT) | instid1(VALU_DEP_1)
	v_add_co_u32 v8, s0, v20, v8
	v_add_co_ci_u32_e64 v9, s0, v21, v9, s0
	s_waitcnt vmcnt(0) lgkmcnt(0)
	ds_store_b64 v7, v[22:23] offset:4096
	flat_load_b64 v[13:14], v[13:14]
	s_waitcnt vmcnt(0) lgkmcnt(0)
	ds_store_b64 v7, v[13:14] offset:5120
	flat_load_b64 v[11:12], v[11:12]
	;; [unrolled: 3-line block ×3, first 2 shown]
	v_sub_nc_u32_e32 v8, v15, v17
	v_lshlrev_b32_e32 v12, 5, v15
	s_delay_alu instid0(VALU_DEP_2) | instskip(NEXT) | instid1(VALU_DEP_1)
	v_sub_nc_u32_e32 v11, 0, v8
	v_max_i32_e32 v13, v8, v11
	v_add_nc_u32_e32 v8, 0x1000, v7
	s_delay_alu instid0(VALU_DEP_4)
	v_add_lshl_u32 v11, v17, v12, 3
	s_waitcnt vmcnt(0) lgkmcnt(0)
	ds_store_b64 v7, v[9:10] offset:7168
	s_waitcnt lgkmcnt(0)
	s_waitcnt_vscnt null, 0x0
	s_barrier
	buffer_gl0_inv
	v_cmpx_lt_u32_e32 16, v13
	s_cbranch_execz .LBB155_26
; %bb.25:
	ds_load_b64 v[9:10], v11 offset:128
	s_waitcnt lgkmcnt(0)
	ds_store_b64 v8, v[9:10]
.LBB155_26:
	s_or_b32 exec_lo, exec_lo, s1
	v_add_nc_u32_e32 v9, 0x1400, v7
	s_mov_b32 s1, exec_lo
	v_cmpx_lt_u32_e32 20, v13
	s_cbranch_execz .LBB155_28
; %bb.27:
	ds_load_b64 v[20:21], v11 offset:160
	s_waitcnt lgkmcnt(0)
	ds_store_b64 v9, v[20:21]
.LBB155_28:
	s_or_b32 exec_lo, exec_lo, s1
	v_add_nc_u32_e32 v10, 0x1800, v7
	s_mov_b32 s1, exec_lo
	;; [unrolled: 10-line block ×4, first 2 shown]
	s_delay_alu instid0(VALU_DEP_1)
	v_lshlrev_b32_e32 v14, 3, v14
	v_cmpx_ge_u32_e64 v15, v17
	s_cbranch_execz .LBB155_34
; %bb.33:
	ds_load_b64 v[20:21], v11
	s_waitcnt lgkmcnt(0)
	ds_store_b64 v14, v[20:21]
.LBB155_34:
	s_or_b32 exec_lo, exec_lo, s1
	s_delay_alu instid0(SALU_CYCLE_1)
	s_mov_b32 s1, exec_lo
	v_cmpx_lt_u32_e32 4, v13
	s_cbranch_execz .LBB155_36
; %bb.35:
	ds_load_b64 v[20:21], v11 offset:32
	s_waitcnt lgkmcnt(0)
	ds_store_b64 v7, v[20:21] offset:1024
.LBB155_36:
	s_or_b32 exec_lo, exec_lo, s1
	s_delay_alu instid0(SALU_CYCLE_1)
	s_mov_b32 s1, exec_lo
	v_cmpx_lt_u32_e32 8, v13
	s_cbranch_execz .LBB155_38
; %bb.37:
	ds_load_b64 v[20:21], v11 offset:64
	s_waitcnt lgkmcnt(0)
	ds_store_b64 v7, v[20:21] offset:2048
.LBB155_38:
	s_or_b32 exec_lo, exec_lo, s1
	v_add3_u32 v19, v19, v15, 0x180
	v_cmp_lt_u32_e64 s0, 12, v13
	s_delay_alu instid0(VALU_DEP_2) | instskip(NEXT) | instid1(VALU_DEP_2)
	v_lshlrev_b32_e32 v13, 3, v19
	s_and_saveexec_b32 s1, s0
	s_cbranch_execz .LBB155_40
; %bb.39:
	ds_load_b64 v[19:20], v11 offset:96
	s_waitcnt lgkmcnt(0)
	ds_store_b64 v13, v[19:20]
.LBB155_40:
	s_or_b32 exec_lo, exec_lo, s1
	v_lshlrev_b32_e32 v11, 3, v17
	s_waitcnt lgkmcnt(0)
	s_barrier
	buffer_gl0_inv
	v_add_nc_u32_e32 v17, 0x2800, v11
	ds_load_2addr_b64 v[19:22], v17 offset1:4
	ds_load_b64 v[23:24], v14
	ds_load_b64 v[27:28], v13
	s_waitcnt lgkmcnt(1)
	v_fma_f64 v[19:20], v[23:24], v[19:20], 0
	ds_load_2addr_stride64_b64 v[23:26], v7 offset0:2 offset1:4
	s_waitcnt lgkmcnt(0)
	v_fma_f64 v[23:24], v[23:24], v[21:22], v[19:20]
	ds_load_2addr_b64 v[19:22], v17 offset0:8 offset1:12
	s_waitcnt lgkmcnt(0)
	v_fma_f64 v[19:20], v[25:26], v[19:20], v[23:24]
	s_delay_alu instid0(VALU_DEP_1)
	v_fma_f64 v[23:24], v[27:28], v[21:22], v[19:20]
	ds_load_2addr_b64 v[19:22], v17 offset0:16 offset1:20
	ds_load_b64 v[7:8], v8
	ds_load_b64 v[25:26], v9
	;; [unrolled: 1-line block ×4, first 2 shown]
	s_waitcnt lgkmcnt(3)
	v_fma_f64 v[7:8], v[7:8], v[19:20], v[23:24]
	s_waitcnt lgkmcnt(2)
	s_delay_alu instid0(VALU_DEP_1) | instskip(SKIP_3) | instid1(VALU_DEP_1)
	v_fma_f64 v[19:20], v[25:26], v[21:22], v[7:8]
	ds_load_2addr_b64 v[7:10], v17 offset0:24 offset1:28
	s_waitcnt lgkmcnt(0)
	v_fma_f64 v[7:8], v[27:28], v[7:8], v[19:20]
	v_fma_f64 v[7:8], v[11:12], v[9:10], v[7:8]
	ds_store_b64 v14, v[7:8] offset:8192
	s_waitcnt lgkmcnt(0)
	s_barrier
	buffer_gl0_inv
	s_and_saveexec_b32 s0, vcc_lo
	s_cbranch_execz .LBB155_42
; %bb.41:
	v_add_nc_u32_e32 v13, 0x2000, v18
	v_cmp_neq_f64_e32 vcc_lo, 0, v[3:4]
	v_mad_u64_u32 v[3:4], null, v15, s2, 0
	ds_load_2addr_b64 v[7:10], v13 offset1:32
	s_waitcnt lgkmcnt(0)
	v_add_f64 v[7:8], v[7:8], 0
	s_delay_alu instid0(VALU_DEP_1) | instskip(SKIP_3) | instid1(VALU_DEP_1)
	v_add_f64 v[11:12], v[7:8], v[9:10]
	ds_load_2addr_b64 v[7:10], v13 offset0:64 offset1:96
	s_waitcnt lgkmcnt(0)
	v_add_f64 v[7:8], v[11:12], v[7:8]
	v_add_f64 v[7:8], v[7:8], v[9:10]
	s_delay_alu instid0(VALU_DEP_1) | instskip(SKIP_2) | instid1(VALU_DEP_1)
	v_mul_f64 v[9:10], v[1:2], v[7:8]
	v_fma_f64 v[1:2], v[1:2], v[7:8], v[5:6]
	v_mad_u64_u32 v[5:6], null, v15, s3, v[4:5]
	v_mov_b32_e32 v4, v5
	s_delay_alu instid0(VALU_DEP_1) | instskip(NEXT) | instid1(VALU_DEP_4)
	v_lshlrev_b64 v[3:4], 3, v[3:4]
	v_dual_cndmask_b32 v2, v10, v2 :: v_dual_cndmask_b32 v1, v9, v1
	s_delay_alu instid0(VALU_DEP_2) | instskip(NEXT) | instid1(VALU_DEP_3)
	v_add_co_u32 v3, vcc_lo, v0, v3
	v_add_co_ci_u32_e32 v4, vcc_lo, v16, v4, vcc_lo
	global_store_b64 v[3:4], v[1:2], off
.LBB155_42:
	s_nop 0
	s_sendmsg sendmsg(MSG_DEALLOC_VGPRS)
	s_endpgm
	.section	.rodata,"a",@progbits
	.p2align	6, 0x0
	.amdhsa_kernel _ZL50rocblas_symv_kernel_upper_double_buffered_diagonalILi32ELi4E24rocblas_internal_val_ptrIdEPKPKdPKPdEvbiT1_lT2_lllSA_lllS9_lT3_llli
		.amdhsa_group_segment_fixed_size 10496
		.amdhsa_private_segment_fixed_size 0
		.amdhsa_kernarg_size 140
		.amdhsa_user_sgpr_count 14
		.amdhsa_user_sgpr_dispatch_ptr 0
		.amdhsa_user_sgpr_queue_ptr 0
		.amdhsa_user_sgpr_kernarg_segment_ptr 1
		.amdhsa_user_sgpr_dispatch_id 0
		.amdhsa_user_sgpr_private_segment_size 0
		.amdhsa_wavefront_size32 1
		.amdhsa_uses_dynamic_stack 0
		.amdhsa_enable_private_segment 0
		.amdhsa_system_sgpr_workgroup_id_x 1
		.amdhsa_system_sgpr_workgroup_id_y 0
		.amdhsa_system_sgpr_workgroup_id_z 1
		.amdhsa_system_sgpr_workgroup_info 0
		.amdhsa_system_vgpr_workitem_id 1
		.amdhsa_next_free_vgpr 29
		.amdhsa_next_free_sgpr 22
		.amdhsa_reserve_vcc 1
		.amdhsa_float_round_mode_32 0
		.amdhsa_float_round_mode_16_64 0
		.amdhsa_float_denorm_mode_32 3
		.amdhsa_float_denorm_mode_16_64 3
		.amdhsa_dx10_clamp 1
		.amdhsa_ieee_mode 1
		.amdhsa_fp16_overflow 0
		.amdhsa_workgroup_processor_mode 1
		.amdhsa_memory_ordered 1
		.amdhsa_forward_progress 0
		.amdhsa_shared_vgpr_count 0
		.amdhsa_exception_fp_ieee_invalid_op 0
		.amdhsa_exception_fp_denorm_src 0
		.amdhsa_exception_fp_ieee_div_zero 0
		.amdhsa_exception_fp_ieee_overflow 0
		.amdhsa_exception_fp_ieee_underflow 0
		.amdhsa_exception_fp_ieee_inexact 0
		.amdhsa_exception_int_div_zero 0
	.end_amdhsa_kernel
	.section	.text._ZL50rocblas_symv_kernel_upper_double_buffered_diagonalILi32ELi4E24rocblas_internal_val_ptrIdEPKPKdPKPdEvbiT1_lT2_lllSA_lllS9_lT3_llli,"axG",@progbits,_ZL50rocblas_symv_kernel_upper_double_buffered_diagonalILi32ELi4E24rocblas_internal_val_ptrIdEPKPKdPKPdEvbiT1_lT2_lllSA_lllS9_lT3_llli,comdat
.Lfunc_end155:
	.size	_ZL50rocblas_symv_kernel_upper_double_buffered_diagonalILi32ELi4E24rocblas_internal_val_ptrIdEPKPKdPKPdEvbiT1_lT2_lllSA_lllS9_lT3_llli, .Lfunc_end155-_ZL50rocblas_symv_kernel_upper_double_buffered_diagonalILi32ELi4E24rocblas_internal_val_ptrIdEPKPKdPKPdEvbiT1_lT2_lllSA_lllS9_lT3_llli
                                        ; -- End function
	.section	.AMDGPU.csdata,"",@progbits
; Kernel info:
; codeLenInByte = 2404
; NumSgprs: 24
; NumVgprs: 29
; ScratchSize: 0
; MemoryBound: 0
; FloatMode: 240
; IeeeMode: 1
; LDSByteSize: 10496 bytes/workgroup (compile time only)
; SGPRBlocks: 2
; VGPRBlocks: 3
; NumSGPRsForWavesPerEU: 24
; NumVGPRsForWavesPerEU: 29
; Occupancy: 12
; WaveLimiterHint : 1
; COMPUTE_PGM_RSRC2:SCRATCH_EN: 0
; COMPUTE_PGM_RSRC2:USER_SGPR: 14
; COMPUTE_PGM_RSRC2:TRAP_HANDLER: 0
; COMPUTE_PGM_RSRC2:TGID_X_EN: 1
; COMPUTE_PGM_RSRC2:TGID_Y_EN: 0
; COMPUTE_PGM_RSRC2:TGID_Z_EN: 1
; COMPUTE_PGM_RSRC2:TIDIG_COMP_CNT: 1
	.section	.text._ZL54rocblas_symv_kernel_upper_double_buffered_non_diagonalILi32ELi4ELi4E24rocblas_internal_val_ptrIdEPKPKdPKPdEvbiT2_lT3_lllSA_lllT4_llli,"axG",@progbits,_ZL54rocblas_symv_kernel_upper_double_buffered_non_diagonalILi32ELi4ELi4E24rocblas_internal_val_ptrIdEPKPKdPKPdEvbiT2_lT3_lllSA_lllT4_llli,comdat
	.globl	_ZL54rocblas_symv_kernel_upper_double_buffered_non_diagonalILi32ELi4ELi4E24rocblas_internal_val_ptrIdEPKPKdPKPdEvbiT2_lT3_lllSA_lllT4_llli ; -- Begin function _ZL54rocblas_symv_kernel_upper_double_buffered_non_diagonalILi32ELi4ELi4E24rocblas_internal_val_ptrIdEPKPKdPKPdEvbiT2_lT3_lllSA_lllT4_llli
	.p2align	8
	.type	_ZL54rocblas_symv_kernel_upper_double_buffered_non_diagonalILi32ELi4ELi4E24rocblas_internal_val_ptrIdEPKPKdPKPdEvbiT2_lT3_lllSA_lllT4_llli,@function
_ZL54rocblas_symv_kernel_upper_double_buffered_non_diagonalILi32ELi4ELi4E24rocblas_internal_val_ptrIdEPKPKdPKPdEvbiT2_lT3_lllSA_lllT4_llli: ; @_ZL54rocblas_symv_kernel_upper_double_buffered_non_diagonalILi32ELi4ELi4E24rocblas_internal_val_ptrIdEPKPKdPKPdEvbiT2_lT3_lllSA_lllT4_llli
; %bb.0:
	s_clause 0x2
	s_load_b32 s3, s[0:1], 0x0
	s_load_b256 s[4:11], s[0:1], 0x8
	s_load_b64 s[16:17], s[0:1], 0x28
	s_mov_b32 s2, s15
	s_waitcnt lgkmcnt(0)
	s_bitcmp1_b32 s3, 0
	v_dual_mov_b32 v9, s5 :: v_dual_mov_b32 v8, s4
	s_cselect_b32 s3, -1, 0
	s_delay_alu instid0(SALU_CYCLE_1)
	s_and_b32 vcc_lo, exec_lo, s3
	s_cbranch_vccnz .LBB156_2
; %bb.1:
	s_mul_i32 s3, s2, s7
	s_mul_hi_u32 s7, s2, s6
	s_mul_i32 s6, s2, s6
	s_add_i32 s7, s7, s3
	s_delay_alu instid0(SALU_CYCLE_1) | instskip(NEXT) | instid1(SALU_CYCLE_1)
	s_lshl_b64 s[6:7], s[6:7], 3
	s_add_u32 s4, s4, s6
	s_addc_u32 s5, s5, s7
	s_delay_alu instid0(SALU_CYCLE_1)
	v_dual_mov_b32 v1, s4 :: v_dual_mov_b32 v2, s5
	flat_load_b64 v[8:9], v[1:2]
.LBB156_2:
	s_mov_b32 s3, exec_lo
	s_waitcnt vmcnt(0) lgkmcnt(0)
	v_cmpx_neq_f64_e32 0, v[8:9]
	s_cbranch_execz .LBB156_22
; %bb.3:
	s_load_b32 s21, s[0:1], 0x84
	s_cmp_eq_u32 s13, 0
	s_mov_b32 s3, 0
	s_waitcnt lgkmcnt(0)
	v_cvt_f32_u32_e32 v1, s21
	s_delay_alu instid0(VALU_DEP_1) | instskip(SKIP_2) | instid1(VALU_DEP_1)
	v_rcp_iflag_f32_e32 v1, v1
	s_waitcnt_depctr 0xfff
	v_mul_f32_e32 v1, 0x4f7ffffe, v1
	v_cvt_u32_f32_e32 v1, v1
	s_delay_alu instid0(VALU_DEP_1)
	v_readfirstlane_b32 s4, v1
	s_cbranch_scc1 .LBB156_22
; %bb.4:
	s_clause 0x1
	s_load_b128 s[24:27], s[0:1], 0x38
	s_load_b64 s[6:7], s[0:1], 0x48
	s_sub_i32 s5, 0, s21
	s_lshl_b64 s[2:3], s[2:3], 3
	s_mul_i32 s5, s5, s4
	v_bfe_u32 v1, v0, 10, 10
	s_mul_hi_u32 s5, s4, s5
	v_and_b32_e32 v67, 0x3ff, v0
	s_add_i32 s15, s4, s5
	s_add_u32 s4, s8, s2
	s_addc_u32 s5, s9, s3
	v_cmp_eq_u32_e32 vcc_lo, 0, v1
	s_waitcnt lgkmcnt(0)
	s_add_u32 s8, s24, s2
	s_addc_u32 s9, s25, s3
	s_lshl_b64 s[24:25], s[26:27], 3
	s_load_b64 s[8:9], s[8:9], 0x0
	s_load_b64 s[22:23], s[0:1], 0x58
	s_waitcnt lgkmcnt(0)
	s_add_u32 s19, s8, s24
	s_addc_u32 s20, s9, s25
	s_add_u32 s8, s22, s2
	s_addc_u32 s9, s23, s3
	s_lshl_b32 s12, s13, 5
	s_mul_hi_u32 s3, s13, s15
	s_ashr_i32 s15, s12, 31
	s_and_saveexec_b32 s18, vcc_lo
	s_cbranch_execz .LBB156_6
; %bb.5:
	v_mad_u64_u32 v[2:3], null, v67, s6, 0
	s_mul_i32 s2, s12, s7
	s_mul_hi_u32 s22, s12, s6
	s_mul_i32 s23, s15, s6
	s_add_i32 s2, s22, s2
	s_mul_i32 s22, s12, s6
	s_add_i32 s23, s2, s23
	s_delay_alu instid0(VALU_DEP_1) | instskip(SKIP_1) | instid1(SALU_CYCLE_1)
	v_mov_b32_e32 v0, v3
	s_lshl_b64 s[22:23], s[22:23], 3
	s_add_u32 s2, s19, s22
	s_addc_u32 s22, s20, s23
	s_delay_alu instid0(VALU_DEP_1) | instskip(SKIP_1) | instid1(VALU_DEP_2)
	v_mad_u64_u32 v[3:4], null, v67, s7, v[0:1]
	v_lshlrev_b32_e32 v0, 3, v67
	v_lshlrev_b64 v[2:3], 3, v[2:3]
	s_delay_alu instid0(VALU_DEP_1) | instskip(NEXT) | instid1(VALU_DEP_1)
	v_add_co_u32 v2, s2, s2, v2
	v_add_co_ci_u32_e64 v3, s2, s22, v3, s2
	global_load_b64 v[2:3], v[2:3], off
	s_waitcnt vmcnt(0)
	ds_store_b64 v0, v[2:3] offset:6144
.LBB156_6:
	s_or_b32 exec_lo, exec_lo, s18
	s_mul_i32 s2, s3, s21
	s_add_i32 s18, s3, 1
	s_sub_i32 s2, s13, s2
	s_delay_alu instid0(SALU_CYCLE_1)
	s_sub_i32 s22, s2, s21
	s_cmp_ge_u32 s2, s21
	s_cselect_b32 s3, s18, s3
	s_cselect_b32 s2, s22, s2
	s_add_i32 s18, s3, 1
	s_cmp_ge_u32 s2, s21
	s_cselect_b32 s22, s18, s3
	s_add_i32 s2, s21, -1
	s_mov_b32 s18, s22
	s_cmp_lg_u32 s14, s2
	s_cbranch_scc1 .LBB156_8
; %bb.7:
	s_mul_i32 s2, s22, s21
	s_delay_alu instid0(SALU_CYCLE_1) | instskip(NEXT) | instid1(SALU_CYCLE_1)
	s_sub_i32 s2, s13, s2
	s_add_i32 s18, s2, s22
.LBB156_8:
	s_delay_alu instid0(SALU_CYCLE_1)
	s_cmp_eq_u32 s18, 0
	s_cbranch_scc1 .LBB156_22
; %bb.9:
	s_load_b128 s[0:3], s[0:1], 0x60
	s_load_b64 s[8:9], s[8:9], 0x0
	v_dual_mov_b32 v19, 0 :: v_dual_and_b32 v10, 15, v67
	v_lshl_add_u32 v0, v1, 5, v67
	v_mov_b32_e32 v20, 0
	s_delay_alu instid0(VALU_DEP_3)
	v_mov_b32_e32 v15, v19
	s_waitcnt lgkmcnt(0)
	s_barrier
	v_lshrrev_b32_e32 v68, 4, v0
	v_mov_b32_e32 v16, v20
	v_dual_mov_b32 v22, v20 :: v_dual_mov_b32 v21, v19
	v_dual_mov_b32 v24, v20 :: v_dual_mov_b32 v23, v19
	buffer_gl0_inv
	s_lshl_b64 s[24:25], s[0:1], 3
	s_delay_alu instid0(SALU_CYCLE_1)
	s_add_u32 s1, s8, s24
	s_addc_u32 s13, s9, s25
	s_cmp_lt_i32 s18, 1
	s_cbranch_scc1 .LBB156_19
; %bb.10:
	s_load_b64 s[4:5], s[4:5], 0x0
	v_dual_mov_b32 v11, 0 :: v_dual_lshlrev_b32 v4, 2, v68
	s_mul_i32 s14, s14, s22
	v_lshlrev_b32_e32 v7, 5, v68
	s_lshl_b32 s22, s14, 5
	v_lshl_add_u32 v71, v67, 3, 0x1000
	s_mul_i32 s0, s22, s3
	s_mul_hi_u32 s8, s22, s2
	s_ashr_i32 s23, s22, 31
	v_mad_u64_u32 v[0:1], null, v4, s16, v[10:11]
	s_add_i32 s0, s8, s0
	s_mul_i32 s8, s23, s2
	s_delay_alu instid0(SALU_CYCLE_1) | instskip(SKIP_1) | instid1(SALU_CYCLE_1)
	s_add_i32 s9, s0, s8
	s_mul_i32 s8, s22, s2
	s_lshl_b64 s[8:9], s[8:9], 3
	s_delay_alu instid0(VALU_DEP_1)
	v_mad_u64_u32 v[2:3], null, v4, s17, v[1:2]
	s_add_u32 s8, s1, s8
	s_addc_u32 s9, s13, s9
	s_lshl_b64 s[10:11], s[10:11], 3
	v_mad_u64_u32 v[3:4], null, v10, s6, 0
	s_waitcnt lgkmcnt(0)
	s_add_u32 s0, s4, s10
	s_mul_i32 s4, s12, s17
	s_mul_hi_u32 s10, s12, s16
	s_addc_u32 s11, s5, s11
	s_add_i32 s4, s10, s4
	s_mul_i32 s5, s15, s16
	v_dual_mov_b32 v1, v2 :: v_dual_mov_b32 v2, v4
	s_add_i32 s5, s4, s5
	s_mul_i32 s4, s12, s16
	v_mov_b32_e32 v34, s9
	s_lshl_b64 s[4:5], s[4:5], 3
	v_lshlrev_b64 v[11:12], 3, v[0:1]
	s_add_u32 s0, s0, s4
	s_addc_u32 s11, s11, s5
	s_lshl_b64 s[4:5], s[22:23], 3
	v_mad_u64_u32 v[4:5], null, v10, s7, v[2:3]
	s_add_u32 s10, s0, s4
	s_mul_i32 s0, s22, s7
	s_mul_hi_u32 s4, s22, s6
	s_addc_u32 s11, s11, s5
	s_add_i32 s0, s4, s0
	s_mul_i32 s4, s23, s6
	s_delay_alu instid0(VALU_DEP_1)
	v_lshlrev_b64 v[13:14], 3, v[3:4]
	s_add_i32 s5, s0, s4
	s_mul_i32 s4, s22, s6
	v_add_co_u32 v0, s0, s10, v11
	s_lshl_b64 s[4:5], s[4:5], 3
	v_add_co_ci_u32_e64 v1, s0, s11, v12, s0
	s_add_u32 s14, s19, s4
	s_addc_u32 s19, s20, s5
	s_lshl_b64 s[4:5], s[16:17], 3
	s_add_i32 s16, s18, -1
	v_add_co_u32 v5, s0, v0, s4
	s_delay_alu instid0(VALU_DEP_1) | instskip(SKIP_1) | instid1(VALU_DEP_2)
	v_add_co_ci_u32_e64 v6, s0, s5, v1, s0
	s_mov_b32 s17, 0
	v_add_co_u32 v2, s0, v5, s4
	s_delay_alu instid0(VALU_DEP_1) | instskip(SKIP_1) | instid1(VALU_DEP_1)
	v_add_co_ci_u32_e64 v3, s0, s5, v6, s0
	v_add_co_u32 v15, s0, s14, v13
	v_add_co_ci_u32_e64 v16, s0, s19, v14, s0
	s_delay_alu instid0(VALU_DEP_4) | instskip(NEXT) | instid1(VALU_DEP_1)
	v_add_co_u32 v19, s0, v2, s4
	v_add_co_ci_u32_e64 v20, s0, s5, v3, s0
	global_load_b64 v[17:18], v[15:16], off
	s_clause 0x1
	global_load_b64 v[25:26], v[0:1], off
	global_load_b64 v[27:28], v[5:6], off
	;; [unrolled: 1-line block ×4, first 2 shown]
	v_or_b32_e32 v6, 16, v10
	v_mad_u64_u32 v[2:3], null, v67, s2, 0
	v_mov_b32_e32 v15, 0
	v_mov_b32_e32 v16, 0
	s_delay_alu instid0(VALU_DEP_4) | instskip(SKIP_1) | instid1(VALU_DEP_3)
	v_mad_u64_u32 v[0:1], null, v6, s6, 0
	v_dual_mov_b32 v33, s8 :: v_dual_add_nc_u32 v70, 0x1800, v7
	v_dual_mov_b32 v24, v16 :: v_dual_mov_b32 v23, v15
	v_dual_mov_b32 v22, v16 :: v_dual_mov_b32 v21, v15
	v_mov_b32_e32 v20, v16
	v_mad_u64_u32 v[4:5], null, v6, s7, v[1:2]
	v_mov_b32_e32 v19, v15
	s_lshl_b64 s[6:7], s[6:7], 8
	s_lshl_b64 s[8:9], s[2:3], 8
	s_delay_alu instid0(VALU_DEP_2) | instskip(SKIP_2) | instid1(VALU_DEP_2)
	v_mad_u64_u32 v[5:6], null, v67, s3, v[3:4]
	v_or_b32_e32 v3, v7, v10
	v_mov_b32_e32 v1, v4
	v_lshl_add_u32 v69, v3, 3, 0x1000
	s_delay_alu instid0(VALU_DEP_4) | instskip(NEXT) | instid1(VALU_DEP_3)
	v_mov_b32_e32 v3, v5
	v_lshlrev_b64 v[35:36], 3, v[0:1]
	s_delay_alu instid0(VALU_DEP_2)
	v_lshlrev_b64 v[37:38], 3, v[2:3]
	s_waitcnt vmcnt(4)
	v_dual_mov_b32 v46, v18 :: v_dual_mov_b32 v45, v17
	s_waitcnt vmcnt(2)
	v_mov_b32_e32 v42, v28
	v_dual_mov_b32 v40, v26 :: v_dual_mov_b32 v39, v25
	s_waitcnt vmcnt(1)
	v_dual_mov_b32 v44, v30 :: v_dual_mov_b32 v41, v27
	s_waitcnt vmcnt(0)
	v_dual_mov_b32 v48, v32 :: v_dual_mov_b32 v43, v29
	v_mov_b32_e32 v47, v31
.LBB156_11:                             ; =>This Loop Header: Depth=1
                                        ;     Child Loop BB156_15 Depth 2
	v_add_co_u32 v59, s0, s10, v11
	s_delay_alu instid0(VALU_DEP_1) | instskip(NEXT) | instid1(VALU_DEP_2)
	v_add_co_ci_u32_e64 v60, s0, s11, v12, s0
	v_add_co_u32 v61, s0, v59, s4
	s_delay_alu instid0(VALU_DEP_1) | instskip(NEXT) | instid1(VALU_DEP_2)
	v_add_co_ci_u32_e64 v62, s0, s5, v60, s0
	v_add_co_u32 v63, s0, v61, s4
	s_delay_alu instid0(VALU_DEP_1) | instskip(SKIP_1) | instid1(VALU_DEP_1)
	v_add_co_ci_u32_e64 v64, s0, s5, v62, s0
	v_add_co_u32 v0, s0, s14, v35
	v_add_co_ci_u32_e64 v1, s0, s19, v36, s0
	s_delay_alu instid0(VALU_DEP_4) | instskip(NEXT) | instid1(VALU_DEP_1)
	v_add_co_u32 v65, s0, v63, s4
	v_add_co_ci_u32_e64 v66, s0, s5, v64, s0
	global_load_b64 v[49:50], v[0:1], off
	s_clause 0x3
	global_load_b64 v[51:52], v[59:60], off offset:128
	global_load_b64 v[53:54], v[61:62], off offset:128
	;; [unrolled: 1-line block ×4, first 2 shown]
	ds_load_b128 v[4:7], v70
	ds_load_b128 v[0:3], v70 offset:16
	s_add_u32 s14, s14, s6
	s_addc_u32 s19, s19, s7
	s_cmp_eq_u32 s17, s16
	s_cbranch_scc1 .LBB156_13
; %bb.12:                               ;   in Loop: Header=BB156_11 Depth=1
	v_add_co_u32 v45, s0, s14, v13
	s_delay_alu instid0(VALU_DEP_1)
	v_add_co_ci_u32_e64 v46, s0, s19, v14, s0
	s_clause 0x3
	global_load_b64 v[39:40], v[59:60], off offset:256
	global_load_b64 v[41:42], v[61:62], off offset:256
	;; [unrolled: 1-line block ×4, first 2 shown]
	global_load_b64 v[45:46], v[45:46], off
.LBB156_13:                             ;   in Loop: Header=BB156_11 Depth=1
	s_waitcnt lgkmcnt(1)
	v_fma_f64 v[59:60], v[25:26], v[4:5], 0
	s_waitcnt vmcnt(3)
	v_fma_f64 v[4:5], v[51:52], v[4:5], 0
	s_waitcnt vmcnt(0) lgkmcnt(0)
	s_barrier
	buffer_gl0_inv
	v_fma_f64 v[59:60], v[27:28], v[6:7], v[59:60]
	v_fma_f64 v[4:5], v[53:54], v[6:7], v[4:5]
	s_delay_alu instid0(VALU_DEP_2) | instskip(NEXT) | instid1(VALU_DEP_2)
	v_fma_f64 v[6:7], v[29:30], v[0:1], v[59:60]
	v_fma_f64 v[0:1], v[55:56], v[0:1], v[4:5]
	s_delay_alu instid0(VALU_DEP_2) | instskip(NEXT) | instid1(VALU_DEP_2)
	v_fma_f64 v[4:5], v[31:32], v[2:3], v[6:7]
	v_fma_f64 v[0:1], v[57:58], v[2:3], v[0:1]
	ds_store_2addr_b64 v69, v[4:5], v[0:1] offset1:16
	s_waitcnt lgkmcnt(0)
	s_barrier
	buffer_gl0_inv
	s_and_saveexec_b32 s20, vcc_lo
	s_cbranch_execz .LBB156_17
; %bb.14:                               ;   in Loop: Header=BB156_11 Depth=1
	ds_load_2addr_b64 v[4:7], v71 offset1:32
	ds_load_2addr_b64 v[59:62], v71 offset0:64 offset1:96
	s_mov_b32 s21, 0
	s_waitcnt lgkmcnt(1)
	v_add_f64 v[0:1], v[4:5], 0
	v_add_co_u32 v4, s0, v33, v37
	s_delay_alu instid0(VALU_DEP_1) | instskip(SKIP_3) | instid1(VALU_DEP_1)
	v_add_co_ci_u32_e64 v5, s0, v34, v38, s0
	global_load_b64 v[2:3], v[4:5], off
	v_add_f64 v[0:1], v[0:1], v[6:7]
	s_waitcnt lgkmcnt(0)
	v_add_f64 v[0:1], v[0:1], v[59:60]
	s_delay_alu instid0(VALU_DEP_1) | instskip(SKIP_3) | instid1(VALU_DEP_1)
	v_add_f64 v[0:1], v[0:1], v[61:62]
	ds_load_2addr_b64 v[59:62], v71 offset0:128 offset1:160
	s_waitcnt lgkmcnt(0)
	v_add_f64 v[0:1], v[0:1], v[59:60]
	v_add_f64 v[0:1], v[0:1], v[61:62]
	ds_load_2addr_b64 v[59:62], v71 offset0:192 offset1:224
	s_waitcnt lgkmcnt(0)
	v_add_f64 v[0:1], v[0:1], v[59:60]
	s_delay_alu instid0(VALU_DEP_1) | instskip(NEXT) | instid1(VALU_DEP_1)
	v_add_f64 v[0:1], v[0:1], v[61:62]
	v_mul_f64 v[6:7], v[8:9], v[0:1]
.LBB156_15:                             ;   Parent Loop BB156_11 Depth=1
                                        ; =>  This Inner Loop Header: Depth=2
	s_waitcnt vmcnt(0)
	s_delay_alu instid0(VALU_DEP_1) | instskip(SKIP_4) | instid1(VALU_DEP_2)
	v_add_f64 v[0:1], v[2:3], v[6:7]
	global_atomic_cmpswap_b64 v[0:1], v[4:5], v[0:3], off glc
	s_waitcnt vmcnt(0)
	v_cmp_eq_u64_e64 s0, v[0:1], v[2:3]
	v_dual_mov_b32 v3, v1 :: v_dual_mov_b32 v2, v0
	s_or_b32 s21, s0, s21
	s_delay_alu instid0(SALU_CYCLE_1)
	s_and_not1_b32 exec_lo, exec_lo, s21
	s_cbranch_execnz .LBB156_15
; %bb.16:                               ;   in Loop: Header=BB156_11 Depth=1
	s_or_b32 exec_lo, exec_lo, s21
	v_add_co_u32 v33, s0, v33, s8
	s_delay_alu instid0(VALU_DEP_1)
	v_add_co_ci_u32_e64 v34, s0, s9, v34, s0
.LBB156_17:                             ;   in Loop: Header=BB156_11 Depth=1
	s_or_b32 exec_lo, exec_lo, s20
	v_fma_f64 v[0:1], v[17:18], v[25:26], v[15:16]
	v_fma_f64 v[2:3], v[17:18], v[27:28], v[23:24]
	;; [unrolled: 1-line block ×4, first 2 shown]
	s_add_u32 s10, s10, 0x100
	s_addc_u32 s11, s11, 0
	s_add_i32 s17, s17, 1
	s_delay_alu instid0(SALU_CYCLE_1) | instskip(NEXT) | instid1(VALU_DEP_4)
	s_cmp_eq_u32 s17, s18
	v_fma_f64 v[15:16], v[49:50], v[51:52], v[0:1]
	s_delay_alu instid0(VALU_DEP_4) | instskip(NEXT) | instid1(VALU_DEP_4)
	v_fma_f64 v[23:24], v[49:50], v[53:54], v[2:3]
	v_fma_f64 v[21:22], v[49:50], v[55:56], v[4:5]
	s_delay_alu instid0(VALU_DEP_4)
	v_fma_f64 v[19:20], v[49:50], v[57:58], v[6:7]
	s_cbranch_scc1 .LBB156_19
; %bb.18:                               ;   in Loop: Header=BB156_11 Depth=1
	v_dual_mov_b32 v17, v45 :: v_dual_mov_b32 v18, v46
	v_dual_mov_b32 v25, v39 :: v_dual_mov_b32 v26, v40
	v_dual_mov_b32 v27, v41 :: v_dual_mov_b32 v28, v42
	v_dual_mov_b32 v29, v43 :: v_dual_mov_b32 v30, v44
	v_dual_mov_b32 v31, v47 :: v_dual_mov_b32 v32, v48
	s_branch .LBB156_11
.LBB156_19:
	v_lshlrev_b32_e32 v0, 3, v10
	s_delay_alu instid0(VALU_DEP_1)
	v_lshl_or_b32 v0, v68, 9, v0
	ds_store_2addr_b64 v0, v[15:16], v[23:24] offset1:16
	ds_store_2addr_b64 v0, v[21:22], v[19:20] offset0:32 offset1:48
	s_waitcnt lgkmcnt(0)
	s_barrier
	buffer_gl0_inv
	s_and_b32 exec_lo, exec_lo, vcc_lo
	s_cbranch_execz .LBB156_22
; %bb.20:
	v_lshlrev_b32_e32 v16, 4, v67
	v_add_nc_u32_e32 v2, 1, v67
	v_add_nc_u32_e32 v3, 2, v67
	;; [unrolled: 1-line block ×3, first 2 shown]
	s_mul_i32 s0, s12, s3
	v_or_b32_e32 v12, v10, v16
	v_and_or_b32 v2, v2, 15, v16
	v_and_or_b32 v3, v3, 15, v16
	;; [unrolled: 1-line block ×3, first 2 shown]
	s_mul_i32 s15, s15, s2
	v_lshlrev_b32_e32 v0, 3, v12
	v_lshlrev_b32_e32 v2, 3, v2
	;; [unrolled: 1-line block ×4, first 2 shown]
	ds_load_b64 v[0:1], v0
	ds_load_b64 v[2:3], v2
	;; [unrolled: 1-line block ×4, first 2 shown]
	s_waitcnt lgkmcnt(3)
	v_add_f64 v[0:1], v[0:1], 0
	s_waitcnt lgkmcnt(2)
	s_delay_alu instid0(VALU_DEP_1) | instskip(SKIP_1) | instid1(VALU_DEP_1)
	v_add_f64 v[0:1], v[0:1], v[2:3]
	v_add_nc_u32_e32 v2, 4, v67
	v_and_or_b32 v2, v2, 15, v16
	s_delay_alu instid0(VALU_DEP_1)
	v_lshlrev_b32_e32 v2, 3, v2
	ds_load_b64 v[2:3], v2
	s_waitcnt lgkmcnt(2)
	v_add_f64 v[0:1], v[0:1], v[4:5]
	v_add_nc_u32_e32 v4, 5, v67
	v_add_nc_u32_e32 v5, 6, v67
	s_delay_alu instid0(VALU_DEP_2) | instskip(NEXT) | instid1(VALU_DEP_2)
	v_and_or_b32 v4, v4, 15, v16
	v_and_or_b32 v5, v5, 15, v16
	s_delay_alu instid0(VALU_DEP_2) | instskip(SKIP_4) | instid1(VALU_DEP_2)
	v_lshlrev_b32_e32 v4, 3, v4
	s_waitcnt lgkmcnt(1)
	v_add_f64 v[0:1], v[0:1], v[6:7]
	v_add_nc_u32_e32 v6, 7, v67
	v_lshlrev_b32_e32 v7, 3, v5
	v_and_or_b32 v6, v6, 15, v16
	s_delay_alu instid0(VALU_DEP_1)
	v_lshlrev_b32_e32 v10, 3, v6
	ds_load_b64 v[4:5], v4
	ds_load_b64 v[6:7], v7
	;; [unrolled: 1-line block ×3, first 2 shown]
	s_waitcnt lgkmcnt(3)
	v_add_f64 v[0:1], v[0:1], v[2:3]
	v_xor_b32_e32 v2, 8, v12
	s_delay_alu instid0(VALU_DEP_1)
	v_lshlrev_b32_e32 v2, 3, v2
	ds_load_b64 v[2:3], v2
	s_waitcnt lgkmcnt(3)
	v_add_f64 v[0:1], v[0:1], v[4:5]
	v_mad_u64_u32 v[4:5], null, v67, s2, 0
	s_waitcnt lgkmcnt(2)
	s_delay_alu instid0(VALU_DEP_2) | instskip(SKIP_2) | instid1(VALU_DEP_2)
	v_add_f64 v[0:1], v[0:1], v[6:7]
	v_add_nc_u32_e32 v6, 9, v67
	v_add_nc_u32_e32 v7, 10, v67
	v_and_or_b32 v6, v6, 15, v16
	s_delay_alu instid0(VALU_DEP_2) | instskip(NEXT) | instid1(VALU_DEP_1)
	v_and_or_b32 v7, v7, 15, v16
	v_lshlrev_b32_e32 v12, 3, v7
	s_waitcnt lgkmcnt(1)
	v_add_f64 v[0:1], v[0:1], v[10:11]
	v_lshlrev_b32_e32 v11, 3, v6
	v_mad_u64_u32 v[6:7], null, v67, s3, v[5:6]
	s_mul_hi_u32 s3, s12, s2
	v_add_nc_u32_e32 v10, 11, v67
	s_add_i32 s0, s3, s0
	s_mul_i32 s2, s12, s2
	s_add_i32 s3, s0, s15
	s_delay_alu instid0(VALU_DEP_2)
	v_mov_b32_e32 v5, v6
	s_lshl_b64 s[2:3], s[2:3], 3
	v_and_or_b32 v10, v10, 15, v16
	s_add_u32 s0, s1, s2
	s_addc_u32 s1, s13, s3
	v_add_nc_u32_e32 v6, 12, v67
	s_delay_alu instid0(VALU_DEP_2) | instskip(SKIP_4) | instid1(VALU_DEP_1)
	v_lshlrev_b32_e32 v14, 3, v10
	ds_load_b64 v[10:11], v11
	ds_load_b64 v[12:13], v12
	;; [unrolled: 1-line block ×3, first 2 shown]
	v_and_or_b32 v6, v6, 15, v16
	v_lshlrev_b32_e32 v6, 3, v6
	ds_load_b64 v[6:7], v6
	s_waitcnt lgkmcnt(4)
	v_add_f64 v[0:1], v[0:1], v[2:3]
	v_lshlrev_b64 v[2:3], 3, v[4:5]
	s_delay_alu instid0(VALU_DEP_1) | instskip(NEXT) | instid1(VALU_DEP_2)
	v_add_co_u32 v4, vcc_lo, s0, v2
	v_add_co_ci_u32_e32 v5, vcc_lo, s1, v3, vcc_lo
	s_mov_b32 s0, 0
	global_load_b64 v[2:3], v[4:5], off
	s_waitcnt lgkmcnt(3)
	v_add_f64 v[0:1], v[0:1], v[10:11]
	v_add_nc_u32_e32 v10, 13, v67
	v_add_nc_u32_e32 v11, 14, v67
	s_delay_alu instid0(VALU_DEP_2) | instskip(NEXT) | instid1(VALU_DEP_2)
	v_and_or_b32 v10, v10, 15, v16
	v_and_or_b32 v11, v11, 15, v16
	s_delay_alu instid0(VALU_DEP_2) | instskip(SKIP_4) | instid1(VALU_DEP_2)
	v_lshlrev_b32_e32 v10, 3, v10
	s_waitcnt lgkmcnt(2)
	v_add_f64 v[0:1], v[0:1], v[12:13]
	v_add_nc_u32_e32 v12, -1, v67
	v_lshlrev_b32_e32 v13, 3, v11
	v_and_or_b32 v12, v12, 15, v16
	s_waitcnt lgkmcnt(1)
	s_delay_alu instid0(VALU_DEP_4) | instskip(NEXT) | instid1(VALU_DEP_2)
	v_add_f64 v[0:1], v[0:1], v[14:15]
	v_lshlrev_b32_e32 v14, 3, v12
	ds_load_b64 v[10:11], v10
	ds_load_b64 v[12:13], v13
	;; [unrolled: 1-line block ×3, first 2 shown]
	s_waitcnt lgkmcnt(3)
	v_add_f64 v[0:1], v[0:1], v[6:7]
	s_waitcnt lgkmcnt(2)
	s_delay_alu instid0(VALU_DEP_1) | instskip(SKIP_1) | instid1(VALU_DEP_1)
	v_add_f64 v[0:1], v[0:1], v[10:11]
	s_waitcnt lgkmcnt(1)
	v_add_f64 v[0:1], v[0:1], v[12:13]
	s_waitcnt lgkmcnt(0)
	s_delay_alu instid0(VALU_DEP_1) | instskip(NEXT) | instid1(VALU_DEP_1)
	v_add_f64 v[0:1], v[0:1], v[14:15]
	v_mul_f64 v[6:7], v[8:9], v[0:1]
.LBB156_21:                             ; =>This Inner Loop Header: Depth=1
	s_waitcnt vmcnt(0)
	s_delay_alu instid0(VALU_DEP_1)
	v_add_f64 v[0:1], v[2:3], v[6:7]
	global_atomic_cmpswap_b64 v[0:1], v[4:5], v[0:3], off glc
	s_waitcnt vmcnt(0)
	v_cmp_eq_u64_e32 vcc_lo, v[0:1], v[2:3]
	v_dual_mov_b32 v3, v1 :: v_dual_mov_b32 v2, v0
	s_or_b32 s0, vcc_lo, s0
	s_delay_alu instid0(SALU_CYCLE_1)
	s_and_not1_b32 exec_lo, exec_lo, s0
	s_cbranch_execnz .LBB156_21
.LBB156_22:
	s_endpgm
	.section	.rodata,"a",@progbits
	.p2align	6, 0x0
	.amdhsa_kernel _ZL54rocblas_symv_kernel_upper_double_buffered_non_diagonalILi32ELi4ELi4E24rocblas_internal_val_ptrIdEPKPKdPKPdEvbiT2_lT3_lllSA_lllT4_llli
		.amdhsa_group_segment_fixed_size 6400
		.amdhsa_private_segment_fixed_size 0
		.amdhsa_kernarg_size 384
		.amdhsa_user_sgpr_count 13
		.amdhsa_user_sgpr_dispatch_ptr 0
		.amdhsa_user_sgpr_queue_ptr 0
		.amdhsa_user_sgpr_kernarg_segment_ptr 1
		.amdhsa_user_sgpr_dispatch_id 0
		.amdhsa_user_sgpr_private_segment_size 0
		.amdhsa_wavefront_size32 1
		.amdhsa_uses_dynamic_stack 0
		.amdhsa_enable_private_segment 0
		.amdhsa_system_sgpr_workgroup_id_x 1
		.amdhsa_system_sgpr_workgroup_id_y 1
		.amdhsa_system_sgpr_workgroup_id_z 1
		.amdhsa_system_sgpr_workgroup_info 0
		.amdhsa_system_vgpr_workitem_id 1
		.amdhsa_next_free_vgpr 72
		.amdhsa_next_free_sgpr 28
		.amdhsa_reserve_vcc 1
		.amdhsa_float_round_mode_32 0
		.amdhsa_float_round_mode_16_64 0
		.amdhsa_float_denorm_mode_32 3
		.amdhsa_float_denorm_mode_16_64 3
		.amdhsa_dx10_clamp 1
		.amdhsa_ieee_mode 1
		.amdhsa_fp16_overflow 0
		.amdhsa_workgroup_processor_mode 1
		.amdhsa_memory_ordered 1
		.amdhsa_forward_progress 0
		.amdhsa_shared_vgpr_count 0
		.amdhsa_exception_fp_ieee_invalid_op 0
		.amdhsa_exception_fp_denorm_src 0
		.amdhsa_exception_fp_ieee_div_zero 0
		.amdhsa_exception_fp_ieee_overflow 0
		.amdhsa_exception_fp_ieee_underflow 0
		.amdhsa_exception_fp_ieee_inexact 0
		.amdhsa_exception_int_div_zero 0
	.end_amdhsa_kernel
	.section	.text._ZL54rocblas_symv_kernel_upper_double_buffered_non_diagonalILi32ELi4ELi4E24rocblas_internal_val_ptrIdEPKPKdPKPdEvbiT2_lT3_lllSA_lllT4_llli,"axG",@progbits,_ZL54rocblas_symv_kernel_upper_double_buffered_non_diagonalILi32ELi4ELi4E24rocblas_internal_val_ptrIdEPKPKdPKPdEvbiT2_lT3_lllSA_lllT4_llli,comdat
.Lfunc_end156:
	.size	_ZL54rocblas_symv_kernel_upper_double_buffered_non_diagonalILi32ELi4ELi4E24rocblas_internal_val_ptrIdEPKPKdPKPdEvbiT2_lT3_lllSA_lllT4_llli, .Lfunc_end156-_ZL54rocblas_symv_kernel_upper_double_buffered_non_diagonalILi32ELi4ELi4E24rocblas_internal_val_ptrIdEPKPKdPKPdEvbiT2_lT3_lllSA_lllT4_llli
                                        ; -- End function
	.section	.AMDGPU.csdata,"",@progbits
; Kernel info:
; codeLenInByte = 2844
; NumSgprs: 30
; NumVgprs: 72
; ScratchSize: 0
; MemoryBound: 0
; FloatMode: 240
; IeeeMode: 1
; LDSByteSize: 6400 bytes/workgroup (compile time only)
; SGPRBlocks: 3
; VGPRBlocks: 8
; NumSGPRsForWavesPerEU: 30
; NumVGPRsForWavesPerEU: 72
; Occupancy: 16
; WaveLimiterHint : 1
; COMPUTE_PGM_RSRC2:SCRATCH_EN: 0
; COMPUTE_PGM_RSRC2:USER_SGPR: 13
; COMPUTE_PGM_RSRC2:TRAP_HANDLER: 0
; COMPUTE_PGM_RSRC2:TGID_X_EN: 1
; COMPUTE_PGM_RSRC2:TGID_Y_EN: 1
; COMPUTE_PGM_RSRC2:TGID_Z_EN: 1
; COMPUTE_PGM_RSRC2:TIDIG_COMP_CNT: 1
	.section	.text._ZL58rocblas_symv_kernel_upper_double_buffered_diagonal_genericILi32ELi8E24rocblas_internal_val_ptrIdEPKPKdPKPdEvbiT1_lT2_lllSA_lllS9_lT3_lllii,"axG",@progbits,_ZL58rocblas_symv_kernel_upper_double_buffered_diagonal_genericILi32ELi8E24rocblas_internal_val_ptrIdEPKPKdPKPdEvbiT1_lT2_lllSA_lllS9_lT3_lllii,comdat
	.globl	_ZL58rocblas_symv_kernel_upper_double_buffered_diagonal_genericILi32ELi8E24rocblas_internal_val_ptrIdEPKPKdPKPdEvbiT1_lT2_lllSA_lllS9_lT3_lllii ; -- Begin function _ZL58rocblas_symv_kernel_upper_double_buffered_diagonal_genericILi32ELi8E24rocblas_internal_val_ptrIdEPKPKdPKPdEvbiT1_lT2_lllSA_lllS9_lT3_lllii
	.p2align	8
	.type	_ZL58rocblas_symv_kernel_upper_double_buffered_diagonal_genericILi32ELi8E24rocblas_internal_val_ptrIdEPKPKdPKPdEvbiT1_lT2_lllSA_lllS9_lT3_lllii,@function
_ZL58rocblas_symv_kernel_upper_double_buffered_diagonal_genericILi32ELi8E24rocblas_internal_val_ptrIdEPKPKdPKPdEvbiT1_lT2_lllSA_lllS9_lT3_lllii: ; @_ZL58rocblas_symv_kernel_upper_double_buffered_diagonal_genericILi32ELi8E24rocblas_internal_val_ptrIdEPKPKdPKPdEvbiT1_lT2_lllSA_lllS9_lT3_lllii
; %bb.0:
	s_clause 0x3
	s_load_b32 s2, s[0:1], 0x0
	s_load_b256 s[4:11], s[0:1], 0x8
	s_load_b64 s[12:13], s[0:1], 0x28
	s_load_b128 s[16:19], s[0:1], 0x58
	s_mov_b32 s20, s15
	s_waitcnt lgkmcnt(0)
	s_bitcmp1_b32 s2, 0
	v_dual_mov_b32 v3, s4 :: v_dual_mov_b32 v4, s5
	s_cselect_b32 s2, -1, 0
	s_delay_alu instid0(SALU_CYCLE_1)
	s_and_b32 vcc_lo, exec_lo, s2
	s_xor_b32 s2, s2, -1
	s_cbranch_vccnz .LBB157_2
; %bb.1:
	s_mul_i32 s3, s20, s7
	s_mul_hi_u32 s7, s20, s6
	s_mul_i32 s6, s20, s6
	s_add_i32 s7, s7, s3
	s_delay_alu instid0(SALU_CYCLE_1) | instskip(NEXT) | instid1(SALU_CYCLE_1)
	s_lshl_b64 s[6:7], s[6:7], 3
	s_add_u32 s4, s4, s6
	s_addc_u32 s5, s5, s7
	s_delay_alu instid0(SALU_CYCLE_1)
	v_dual_mov_b32 v1, s4 :: v_dual_mov_b32 v2, s5
	flat_load_b64 v[3:4], v[1:2]
.LBB157_2:
	v_dual_mov_b32 v1, s16 :: v_dual_mov_b32 v2, s17
	s_and_not1_b32 vcc_lo, exec_lo, s2
	s_cbranch_vccnz .LBB157_4
; %bb.3:
	s_mul_i32 s2, s20, s19
	s_mul_hi_u32 s3, s20, s18
	s_delay_alu instid0(SALU_CYCLE_1) | instskip(SKIP_1) | instid1(SALU_CYCLE_1)
	s_add_i32 s3, s3, s2
	s_mul_i32 s2, s20, s18
	s_lshl_b64 s[2:3], s[2:3], 3
	s_delay_alu instid0(SALU_CYCLE_1) | instskip(SKIP_1) | instid1(SALU_CYCLE_1)
	s_add_u32 s2, s16, s2
	s_addc_u32 s3, s17, s3
	v_dual_mov_b32 v1, s2 :: v_dual_mov_b32 v2, s3
	flat_load_b64 v[1:2], v[1:2]
.LBB157_4:
	s_waitcnt vmcnt(0) lgkmcnt(0)
	v_cmp_neq_f64_e32 vcc_lo, 0, v[3:4]
	v_cmp_neq_f64_e64 s2, 1.0, v[1:2]
	s_delay_alu instid0(VALU_DEP_1) | instskip(NEXT) | instid1(SALU_CYCLE_1)
	s_or_b32 s2, vcc_lo, s2
	s_and_saveexec_b32 s3, s2
	s_cbranch_execz .LBB157_57
; %bb.5:
	v_cmp_neq_f64_e64 s2, 0, v[3:4]
	v_cmp_eq_f64_e32 vcc_lo, 0, v[3:4]
                                        ; implicit-def: $sgpr4_sgpr5
	s_and_saveexec_b32 s3, vcc_lo
	s_delay_alu instid0(SALU_CYCLE_1)
	s_xor_b32 s3, exec_lo, s3
; %bb.6:
	s_mov_b32 s21, 0
	s_mov_b64 s[4:5], 0
; %bb.7:
	s_or_saveexec_b32 s3, s3
	s_load_b64 s[16:17], s[0:1], 0x68
	v_dual_mov_b32 v5, s20 :: v_dual_mov_b32 v6, s21
	v_dual_mov_b32 v8, s5 :: v_dual_mov_b32 v7, s4
	s_xor_b32 exec_lo, exec_lo, s3
	s_cbranch_execz .LBB157_9
; %bb.8:
	s_mov_b32 s21, 0
	s_delay_alu instid0(SALU_CYCLE_1) | instskip(SKIP_1) | instid1(SALU_CYCLE_1)
	v_dual_mov_b32 v5, s20 :: v_dual_mov_b32 v6, s21
	s_lshl_b64 s[4:5], s[20:21], 3
	s_add_u32 s4, s8, s4
	s_addc_u32 s5, s9, s5
	s_lshl_b64 s[6:7], s[10:11], 3
	s_load_b64 s[4:5], s[4:5], 0x0
	s_waitcnt lgkmcnt(0)
	s_add_u32 s4, s4, s6
	s_addc_u32 s5, s5, s7
	s_delay_alu instid0(SALU_CYCLE_1)
	v_dual_mov_b32 v8, s5 :: v_dual_mov_b32 v7, s4
.LBB157_9:
	s_or_b32 exec_lo, exec_lo, s3
	s_clause 0x1
	s_load_b128 s[4:7], s[0:1], 0x38
	s_load_b64 s[8:9], s[0:1], 0x48
	v_mov_b32_e32 v9, 0
	v_lshlrev_b64 v[5:6], 3, v[5:6]
	v_mov_b32_e32 v10, 0
	s_and_saveexec_b32 s3, s2
	s_cbranch_execz .LBB157_11
; %bb.10:
	s_waitcnt lgkmcnt(0)
	s_delay_alu instid0(VALU_DEP_2) | instskip(NEXT) | instid1(VALU_DEP_1)
	v_add_co_u32 v9, s2, s4, v5
	v_add_co_ci_u32_e64 v10, s2, s5, v6, s2
	s_lshl_b64 s[4:5], s[6:7], 3
	global_load_b64 v[9:10], v[9:10], off
	s_waitcnt vmcnt(0)
	v_add_co_u32 v9, s2, v9, s4
	s_delay_alu instid0(VALU_DEP_1)
	v_add_co_ci_u32_e64 v10, s2, s5, v10, s2
.LBB157_11:
	s_or_b32 exec_lo, exec_lo, s3
	s_waitcnt lgkmcnt(0)
	v_add_co_u32 v5, s2, s16, v5
	s_delay_alu instid0(VALU_DEP_1)
	v_add_co_ci_u32_e64 v6, s2, s17, v6, s2
	s_lshl_b32 s15, s14, 5
	v_and_b32_e32 v13, 0x3ff, v0
	s_ashr_i32 s16, s15, 31
	global_load_b64 v[5:6], v[5:6], off
	s_clause 0x1
	s_load_b128 s[4:7], s[0:1], 0x70
	s_load_b32 s10, s[0:1], 0x88
	v_bfe_u32 v15, v0, 10, 10
	s_waitcnt lgkmcnt(0)
	s_mul_i32 s2, s15, s7
	s_mul_hi_u32 s3, s15, s6
	s_mul_i32 s11, s16, s6
	s_add_i32 s3, s3, s2
	s_mul_i32 s2, s15, s6
	s_add_i32 s3, s3, s11
	s_lshl_b64 s[4:5], s[4:5], 3
	s_lshl_b64 s[2:3], s[2:3], 3
	s_delay_alu instid0(SALU_CYCLE_1) | instskip(SKIP_3) | instid1(VALU_DEP_1)
	s_add_u32 s2, s2, s4
	s_addc_u32 s3, s3, s5
	s_waitcnt vmcnt(0)
	v_add_co_u32 v0, s2, s2, v5
	v_add_co_ci_u32_e64 v14, s2, s3, v6, s2
	s_and_saveexec_b32 s2, vcc_lo
	s_delay_alu instid0(SALU_CYCLE_1)
	s_xor_b32 s2, exec_lo, s2
	s_cbranch_execz .LBB157_18
; %bb.12:
	s_mov_b32 s3, exec_lo
	v_cmpx_eq_u32_e32 0, v15
	s_cbranch_execz .LBB157_17
; %bb.13:
	v_cmp_gt_i32_e64 s4, s10, v13
	s_mov_b32 s5, exec_lo
	v_cmpx_le_i32_e64 s10, v13
	s_cbranch_execz .LBB157_15
; %bb.14:
	s_load_b32 s11, s[0:1], 0x90
	s_waitcnt lgkmcnt(0)
	s_add_i32 s11, s11, -1
	s_delay_alu instid0(SALU_CYCLE_1) | instskip(SKIP_3) | instid1(SALU_CYCLE_1)
	s_cmp_lt_u32 s14, s11
	s_cselect_b32 s11, -1, 0
	s_and_not1_b32 s4, s4, exec_lo
	s_and_b32 s11, s11, exec_lo
	s_or_b32 s4, s4, s11
.LBB157_15:
	s_or_b32 exec_lo, exec_lo, s5
	s_delay_alu instid0(SALU_CYCLE_1)
	s_and_b32 exec_lo, exec_lo, s4
	s_cbranch_execz .LBB157_17
; %bb.16:
	v_mad_u64_u32 v[3:4], null, v13, s6, 0
	s_delay_alu instid0(VALU_DEP_1) | instskip(NEXT) | instid1(VALU_DEP_1)
	v_mad_u64_u32 v[5:6], null, v13, s7, v[4:5]
	v_mov_b32_e32 v4, v5
	s_delay_alu instid0(VALU_DEP_1) | instskip(NEXT) | instid1(VALU_DEP_1)
	v_lshlrev_b64 v[3:4], 3, v[3:4]
	v_add_co_u32 v3, vcc_lo, v0, v3
	s_delay_alu instid0(VALU_DEP_2)
	v_add_co_ci_u32_e32 v4, vcc_lo, v14, v4, vcc_lo
	global_load_b64 v[5:6], v[3:4], off
	s_waitcnt vmcnt(0)
	v_mul_f64 v[0:1], v[1:2], v[5:6]
	global_store_b64 v[3:4], v[0:1], off
.LBB157_17:
	s_or_b32 exec_lo, exec_lo, s3
                                        ; implicit-def: $vgpr15
                                        ; implicit-def: $vgpr13
                                        ; implicit-def: $vgpr1_vgpr2
                                        ; implicit-def: $vgpr3_vgpr4
                                        ; implicit-def: $vgpr0
                                        ; implicit-def: $vgpr14
                                        ; implicit-def: $vgpr7_vgpr8
                                        ; implicit-def: $vgpr9_vgpr10
.LBB157_18:
	s_and_not1_saveexec_b32 s2, s2
	s_cbranch_execz .LBB157_57
; %bb.19:
	v_mov_b32_e32 v5, 0
	v_cmp_ne_u32_e64 s3, 0, v15
	v_mov_b32_e32 v6, 0
	v_cmp_eq_u32_e64 s2, 0, v15
	s_mov_b32 s11, 0
	s_delay_alu instid0(VALU_DEP_1)
	s_and_saveexec_b32 s17, s2
	s_cbranch_execz .LBB157_27
; %bb.20:
	v_cmp_gt_i32_e64 s18, s10, v13
	s_mov_b32 s19, exec_lo
                                        ; implicit-def: $sgpr4_sgpr5
	v_cmpx_le_i32_e64 s10, v13
	s_cbranch_execz .LBB157_22
; %bb.21:
	s_load_b32 s4, s[0:1], 0x90
	s_waitcnt lgkmcnt(0)
	s_add_i32 s4, s4, -1
	s_delay_alu instid0(SALU_CYCLE_1)
	s_cmp_lt_u32 s14, s4
	s_cselect_b32 s4, -1, 0
	s_and_not1_b32 s18, s18, exec_lo
	s_and_b32 s20, s4, exec_lo
	s_mov_b64 s[4:5], 0
	s_or_b32 s18, s18, s20
.LBB157_22:
	s_or_b32 exec_lo, exec_lo, s19
	v_dual_mov_b32 v6, s5 :: v_dual_mov_b32 v5, s4
	s_and_saveexec_b32 s4, s18
	s_cbranch_execz .LBB157_26
; %bb.23:
	v_mad_u64_u32 v[5:6], null, v13, s8, 0
	s_mul_i32 s5, s15, s9
	s_mul_i32 s18, s16, s8
	s_delay_alu instid0(VALU_DEP_1) | instskip(SKIP_3) | instid1(SALU_CYCLE_1)
	v_mad_u64_u32 v[11:12], null, v13, s9, v[6:7]
	s_mul_hi_u32 s9, s15, s8
	s_mul_i32 s8, s15, s8
	s_add_i32 s5, s9, s5
	s_add_i32 s9, s5, s18
	s_mov_b32 s5, exec_lo
	s_delay_alu instid0(VALU_DEP_1) | instskip(SKIP_1) | instid1(SALU_CYCLE_1)
	v_dual_mov_b32 v6, v11 :: v_dual_lshlrev_b32 v11, 3, v13
	s_lshl_b64 s[8:9], s[8:9], 3
	v_add_co_u32 v9, vcc_lo, v9, s8
	s_delay_alu instid0(VALU_DEP_2) | instskip(SKIP_1) | instid1(VALU_DEP_2)
	v_lshlrev_b64 v[5:6], 3, v[5:6]
	v_add_co_ci_u32_e32 v10, vcc_lo, s9, v10, vcc_lo
	v_add_co_u32 v5, vcc_lo, v9, v5
	s_delay_alu instid0(VALU_DEP_2)
	v_add_co_ci_u32_e32 v6, vcc_lo, v10, v6, vcc_lo
	flat_load_b64 v[9:10], v[5:6]
	v_mov_b32_e32 v5, 0
	v_mov_b32_e32 v6, 0
	s_waitcnt vmcnt(0) lgkmcnt(0)
	ds_store_b64 v11, v[9:10] offset:12288
	v_cmpx_neq_f64_e32 0, v[1:2]
	s_cbranch_execz .LBB157_25
; %bb.24:
	v_mad_u64_u32 v[5:6], null, v13, s6, 0
	s_delay_alu instid0(VALU_DEP_1) | instskip(NEXT) | instid1(VALU_DEP_1)
	v_mad_u64_u32 v[9:10], null, v13, s7, v[6:7]
	v_mov_b32_e32 v6, v9
	s_delay_alu instid0(VALU_DEP_1) | instskip(NEXT) | instid1(VALU_DEP_1)
	v_lshlrev_b64 v[5:6], 3, v[5:6]
	v_add_co_u32 v5, vcc_lo, v0, v5
	s_delay_alu instid0(VALU_DEP_2)
	v_add_co_ci_u32_e32 v6, vcc_lo, v14, v6, vcc_lo
	global_load_b64 v[5:6], v[5:6], off
	s_waitcnt vmcnt(0)
	v_mul_f64 v[5:6], v[1:2], v[5:6]
.LBB157_25:
	s_or_b32 exec_lo, exec_lo, s5
.LBB157_26:
	s_delay_alu instid0(SALU_CYCLE_1)
	s_or_b32 exec_lo, exec_lo, s4
.LBB157_27:
	s_delay_alu instid0(SALU_CYCLE_1)
	s_or_b32 exec_lo, exec_lo, s17
	v_mad_u64_u32 v[9:10], null, v15, s12, 0
	s_add_u32 s4, s12, 1
	s_load_b32 s8, s[0:1], 0x90
	s_addc_u32 s0, s13, 0
	s_mul_i32 s1, s4, s16
	s_mul_hi_u32 s5, s4, s15
	s_mul_i32 s9, s0, s15
	s_delay_alu instid0(VALU_DEP_1)
	v_mad_u64_u32 v[11:12], null, v15, s13, v[10:11]
	s_add_i32 s1, s5, s1
	v_lshl_add_u32 v19, v15, 5, v13
	s_mul_i32 s0, s4, s15
	s_add_i32 s1, s1, s9
	v_lshlrev_b32_e32 v16, 3, v13
	s_lshl_b64 s[0:1], s[0:1], 3
	s_delay_alu instid0(VALU_DEP_3) | instskip(SKIP_2) | instid1(VALU_DEP_3)
	v_dual_mov_b32 v10, v11 :: v_dual_lshlrev_b32 v17, 3, v19
	v_add_co_u32 v11, vcc_lo, v7, s0
	v_add_co_ci_u32_e32 v12, vcc_lo, s1, v8, vcc_lo
	v_lshlrev_b64 v[9:10], 3, v[9:10]
	v_add_nc_u32_e32 v18, 16, v15
	s_waitcnt lgkmcnt(0)
	s_add_i32 s8, s8, -1
	s_mov_b32 s4, -1
	s_cmp_eq_u32 s14, s8
	v_add_co_u32 v20, vcc_lo, v11, v9
	v_add_co_ci_u32_e32 v21, vcc_lo, v12, v10, vcc_lo
	s_delay_alu instid0(VALU_DEP_2) | instskip(NEXT) | instid1(VALU_DEP_2)
	v_add_co_u32 v9, vcc_lo, v20, v16
	v_add_co_ci_u32_e32 v10, vcc_lo, 0, v21, vcc_lo
	s_cbranch_scc1 .LBB157_30
; %bb.28:
	flat_load_b64 v[11:12], v[9:10]
	s_lshl_b64 s[4:5], s[12:13], 6
	v_lshlrev_b32_e32 v24, 3, v19
	v_add_co_u32 v22, vcc_lo, v9, s4
	v_add_co_ci_u32_e32 v23, vcc_lo, s5, v10, vcc_lo
	s_mov_b32 s11, -1
	s_waitcnt vmcnt(0) lgkmcnt(0)
	ds_store_b64 v24, v[11:12]
	flat_load_b64 v[11:12], v[22:23]
	v_add_co_u32 v22, vcc_lo, v22, s4
	v_add_co_ci_u32_e32 v23, vcc_lo, s5, v23, vcc_lo
	s_waitcnt vmcnt(0) lgkmcnt(0)
	ds_store_b64 v24, v[11:12] offset:2048
	flat_load_b64 v[24:25], v[22:23]
	v_mad_u64_u32 v[11:12], null, 0xc0, s12, v[9:10]
	v_add_nc_u32_e32 v22, 0x300, v19
	s_delay_alu instid0(VALU_DEP_2) | instskip(SKIP_1) | instid1(VALU_DEP_1)
	v_mad_u64_u32 v[26:27], null, 0xc0, s13, v[12:13]
	v_add_nc_u32_e32 v23, 16, v15
	v_lshlrev_b32_e32 v12, 5, v23
	s_delay_alu instid0(VALU_DEP_1) | instskip(NEXT) | instid1(VALU_DEP_4)
	v_add_lshl_u32 v27, v12, v13, 3
	v_mov_b32_e32 v12, v26
	s_waitcnt vmcnt(0) lgkmcnt(0)
	ds_store_b64 v27, v[24:25]
	s_cbranch_execz .LBB157_31
.LBB157_29:
                                        ; implicit-def: $vgpr18
	s_and_saveexec_b32 s0, s11
	s_cbranch_execnz .LBB157_45
	s_branch .LBB157_46
.LBB157_30:
                                        ; implicit-def: $vgpr23
                                        ; implicit-def: $vgpr11_vgpr12
                                        ; implicit-def: $vgpr22
	s_and_not1_b32 vcc_lo, exec_lo, s4
	s_cbranch_vccnz .LBB157_29
.LBB157_31:
	s_mov_b32 s4, 0
	v_cmp_gt_i32_e32 vcc_lo, s10, v13
	s_mov_b32 s5, s4
	v_lshlrev_b32_e32 v22, 5, v18
	v_dual_mov_b32 v12, s5 :: v_dual_mov_b32 v11, s4
	s_or_b32 s3, s3, vcc_lo
	s_delay_alu instid0(VALU_DEP_2)
	v_add_lshl_u32 v22, v22, v13, 3
	s_xor_b32 s4, s3, -1
	ds_store_2addr_stride64_b64 v17, v[11:12], v[11:12] offset1:4
	ds_store_b64 v22, v[11:12]
	ds_store_b64 v17, v[11:12] offset:6144
	s_and_saveexec_b32 s3, s4
	s_cbranch_execz .LBB157_33
; %bb.32:
	v_mov_b32_e32 v11, 0
	s_delay_alu instid0(VALU_DEP_1)
	v_mov_b32_e32 v12, v11
	ds_store_b64 v16, v[11:12] offset:12288
.LBB157_33:
	s_or_b32 exec_lo, exec_lo, s3
                                        ; implicit-def: $vgpr23
                                        ; implicit-def: $vgpr11_vgpr12
                                        ; implicit-def: $vgpr22
	s_and_saveexec_b32 s3, vcc_lo
	s_cbranch_execz .LBB157_44
; %bb.34:
	s_cmp_lt_u32 s10, 8
	s_mov_b32 s9, 0
	s_cbranch_scc1 .LBB157_41
; %bb.35:
	s_lshr_b32 s9, s10, 3
	s_mov_b32 s15, 0
	s_add_i32 s4, s9, -1
	s_delay_alu instid0(SALU_CYCLE_1)
	s_cmp_lt_u32 s4, 3
	s_cbranch_scc1 .LBB157_38
; %bb.36:
	v_lshlrev_b32_e32 v11, 3, v15
	s_and_b32 s15, s9, 0x1ffffffc
	s_lshl_b64 s[4:5], s[12:13], 8
	s_mov_b32 s16, 0
	s_delay_alu instid0(VALU_DEP_1) | instskip(SKIP_2) | instid1(VALU_DEP_3)
	v_add_nc_u32_e32 v28, 0xc0, v11
	v_add_nc_u32_e32 v29, 0x80, v11
	;; [unrolled: 1-line block ×3, first 2 shown]
	v_mad_u64_u32 v[11:12], null, s12, v28, s[0:1]
	s_delay_alu instid0(VALU_DEP_3) | instskip(NEXT) | instid1(VALU_DEP_3)
	v_mad_u64_u32 v[22:23], null, s12, v29, s[0:1]
	v_mad_u64_u32 v[24:25], null, s12, v30, s[0:1]
	s_delay_alu instid0(VALU_DEP_3) | instskip(NEXT) | instid1(VALU_DEP_4)
	v_mad_u64_u32 v[26:27], null, s13, v28, v[12:13]
	v_add_co_u32 v11, vcc_lo, v7, v11
	s_delay_alu instid0(VALU_DEP_3) | instskip(NEXT) | instid1(VALU_DEP_3)
	v_mad_u64_u32 v[27:28], null, s13, v29, v[23:24]
	v_mad_u64_u32 v[28:29], null, s13, v30, v[25:26]
	v_mov_b32_e32 v12, v26
	s_delay_alu instid0(VALU_DEP_3) | instskip(NEXT) | instid1(VALU_DEP_2)
	v_dual_mov_b32 v26, v17 :: v_dual_mov_b32 v23, v27
	v_add_co_ci_u32_e32 v12, vcc_lo, v8, v12, vcc_lo
	s_delay_alu instid0(VALU_DEP_4) | instskip(SKIP_1) | instid1(VALU_DEP_4)
	v_mov_b32_e32 v25, v28
	v_add_co_u32 v22, vcc_lo, v7, v22
	v_add_co_ci_u32_e32 v23, vcc_lo, v8, v23, vcc_lo
	v_add_co_u32 v24, vcc_lo, v7, v24
	s_delay_alu instid0(VALU_DEP_4)
	v_add_co_ci_u32_e32 v25, vcc_lo, v8, v25, vcc_lo
	s_set_inst_prefetch_distance 0x1
	.p2align	6
.LBB157_37:                             ; =>This Inner Loop Header: Depth=1
	v_add_co_u32 v27, vcc_lo, v20, v16
	v_add_co_ci_u32_e32 v28, vcc_lo, 0, v21, vcc_lo
	v_add_co_u32 v29, vcc_lo, v24, v16
	v_add_co_ci_u32_e32 v30, vcc_lo, 0, v25, vcc_lo
	flat_load_b64 v[27:28], v[27:28]
	s_add_i32 s16, s16, 4
	s_delay_alu instid0(SALU_CYCLE_1)
	s_cmp_lg_u32 s15, s16
	s_waitcnt vmcnt(0) lgkmcnt(0)
	ds_store_b64 v26, v[27:28]
	flat_load_b64 v[27:28], v[29:30]
	v_add_co_u32 v29, vcc_lo, v22, v16
	v_add_co_ci_u32_e32 v30, vcc_lo, 0, v23, vcc_lo
	s_waitcnt vmcnt(0) lgkmcnt(0)
	ds_store_b64 v26, v[27:28] offset:2048
	flat_load_b64 v[27:28], v[29:30]
	v_add_co_u32 v29, vcc_lo, v11, v16
	v_add_co_ci_u32_e32 v30, vcc_lo, 0, v12, vcc_lo
	v_add_co_u32 v11, vcc_lo, v11, s4
	v_add_co_ci_u32_e32 v12, vcc_lo, s5, v12, vcc_lo
	;; [unrolled: 2-line block ×5, first 2 shown]
	s_waitcnt vmcnt(0) lgkmcnt(0)
	ds_store_b64 v26, v[27:28] offset:4096
	flat_load_b64 v[27:28], v[29:30]
	s_waitcnt vmcnt(0) lgkmcnt(0)
	ds_store_b64 v26, v[27:28] offset:6144
	v_add_nc_u32_e32 v26, 0x2000, v26
	s_cbranch_scc1 .LBB157_37
.LBB157_38:
	s_set_inst_prefetch_distance 0x2
	s_bfe_u32 s16, s10, 0x20003
	s_mov_b32 s5, 0
	s_cmp_eq_u32 s16, 0
	s_cbranch_scc1 .LBB157_41
; %bb.39:
	v_lshlrev_b32_e32 v11, 3, v15
	s_lshl_b32 s4, s15, 3
	s_delay_alu instid0(SALU_CYCLE_1)
	s_lshl_b64 s[4:5], s[4:5], 3
	s_delay_alu instid0(VALU_DEP_1) | instid1(SALU_CYCLE_1)
	v_add_co_u32 v20, s4, v11, s4
	s_delay_alu instid0(VALU_DEP_1) | instskip(NEXT) | instid1(VALU_DEP_2)
	v_add_co_ci_u32_e64 v11, null, 0, s5, s4
	v_mul_lo_u32 v22, s13, v20
	s_delay_alu instid0(VALU_DEP_2) | instskip(SKIP_3) | instid1(VALU_DEP_2)
	v_mul_lo_u32 v21, s12, v11
	v_mad_u64_u32 v[11:12], null, s12, v20, s[0:1]
	v_lshlrev_b32_e32 v20, 8, v15
	s_lshl_b32 s0, s15, 11
	v_add3_u32 v12, v22, v12, v21
	s_delay_alu instid0(VALU_DEP_3) | instskip(NEXT) | instid1(VALU_DEP_3)
	v_add_co_u32 v21, vcc_lo, v11, v16
	v_add3_u32 v11, s0, v20, v16
	s_lshl_b64 s[0:1], s[12:13], 6
	s_delay_alu instid0(VALU_DEP_3) | instskip(NEXT) | instid1(VALU_DEP_3)
	v_add_co_ci_u32_e32 v12, vcc_lo, 0, v12, vcc_lo
	v_add_co_u32 v7, vcc_lo, v7, v21
	s_delay_alu instid0(VALU_DEP_2)
	v_add_co_ci_u32_e32 v8, vcc_lo, v8, v12, vcc_lo
.LBB157_40:                             ; =>This Inner Loop Header: Depth=1
	flat_load_b64 v[20:21], v[7:8]
	v_add_co_u32 v7, vcc_lo, v7, s0
	v_add_co_ci_u32_e32 v8, vcc_lo, s1, v8, vcc_lo
	s_add_i32 s16, s16, -1
	s_delay_alu instid0(SALU_CYCLE_1)
	s_cmp_lg_u32 s16, 0
	s_waitcnt vmcnt(0) lgkmcnt(0)
	ds_store_b64 v11, v[20:21]
	v_add_nc_u32_e32 v11, 0x800, v11
	s_cbranch_scc1 .LBB157_40
.LBB157_41:
	s_and_b32 s0, s10, 7
                                        ; implicit-def: $vgpr11_vgpr12
                                        ; implicit-def: $vgpr22
	s_delay_alu instid0(SALU_CYCLE_1)
	v_cmp_gt_u32_e32 vcc_lo, s0, v15
	s_mov_b32 s0, s11
	s_and_saveexec_b32 s1, vcc_lo
; %bb.42:
	s_lshl_b32 s0, s9, 3
	v_lshl_add_u32 v22, s9, 8, v19
	s_mul_i32 s5, s0, s13
	s_mul_hi_u32 s13, s0, s12
	s_mul_i32 s4, s0, s12
	s_add_i32 s5, s13, s5
	s_or_b32 s0, s11, exec_lo
	s_lshl_b64 s[4:5], s[4:5], 3
	s_delay_alu instid0(SALU_CYCLE_1)
	v_add_co_u32 v11, vcc_lo, v9, s4
	v_add_co_ci_u32_e32 v12, vcc_lo, s5, v10, vcc_lo
; %bb.43:
	s_or_b32 exec_lo, exec_lo, s1
	v_mov_b32_e32 v23, v18
	s_and_not1_b32 s1, s11, exec_lo
	s_and_b32 s0, s0, exec_lo
	s_delay_alu instid0(SALU_CYCLE_1)
	s_or_b32 s11, s1, s0
.LBB157_44:
	s_or_b32 exec_lo, exec_lo, s3
	s_and_saveexec_b32 s0, s11
	s_cbranch_execz .LBB157_46
.LBB157_45:
	flat_load_b64 v[7:8], v[11:12]
	v_dual_mov_b32 v18, v23 :: v_dual_lshlrev_b32 v9, 3, v22
	s_waitcnt vmcnt(0) lgkmcnt(0)
	ds_store_b64 v9, v[7:8]
.LBB157_46:
	s_or_b32 exec_lo, exec_lo, s0
	v_sub_nc_u32_e32 v7, v13, v15
	v_lshlrev_b32_e32 v8, 5, v13
	s_mov_b32 s0, exec_lo
	s_waitcnt lgkmcnt(0)
	s_waitcnt_vscnt null, 0x0
	s_barrier
	v_sub_nc_u32_e32 v9, 0, v7
	v_add_nc_u32_e32 v10, v18, v8
	buffer_gl0_inv
	v_max_i32_e32 v9, v7, v9
	v_lshlrev_b32_e32 v7, 5, v18
	v_lshlrev_b32_e32 v10, 3, v10
	s_delay_alu instid0(VALU_DEP_3)
	v_cmpx_lt_u32_e32 16, v9
	s_cbranch_execz .LBB157_48
; %bb.47:
	ds_load_b64 v[11:12], v10
	v_add_lshl_u32 v19, v7, v13, 3
	s_waitcnt lgkmcnt(0)
	ds_store_b64 v19, v[11:12]
.LBB157_48:
	s_or_b32 exec_lo, exec_lo, s0
	s_delay_alu instid0(SALU_CYCLE_1)
	s_mov_b32 s0, exec_lo
	v_cmpx_lt_u32_e32 24, v9
	s_cbranch_execz .LBB157_50
; %bb.49:
	ds_load_b64 v[10:11], v10 offset:64
	s_waitcnt lgkmcnt(0)
	ds_store_b64 v17, v[10:11] offset:6144
.LBB157_50:
	s_or_b32 exec_lo, exec_lo, s0
	s_delay_alu instid0(SALU_CYCLE_1)
	s_mov_b32 s0, exec_lo
	v_cmpx_ge_u32_e64 v13, v15
	s_cbranch_execz .LBB157_52
; %bb.51:
	v_add_lshl_u32 v10, v8, v15, 3
	ds_load_b64 v[10:11], v10
	s_waitcnt lgkmcnt(0)
	ds_store_b64 v17, v[10:11]
.LBB157_52:
	s_or_b32 exec_lo, exec_lo, s0
	v_lshlrev_b32_e32 v10, 5, v15
	v_cmp_lt_u32_e32 vcc_lo, 8, v9
	s_delay_alu instid0(VALU_DEP_2) | instskip(NEXT) | instid1(VALU_DEP_1)
	v_add3_u32 v11, v10, v13, 0x100
	v_lshlrev_b32_e32 v9, 3, v11
	s_and_saveexec_b32 s0, vcc_lo
	s_cbranch_execz .LBB157_54
; %bb.53:
	v_add_lshl_u32 v8, v15, v8, 3
	ds_load_b64 v[11:12], v8 offset:64
	s_waitcnt lgkmcnt(0)
	ds_store_b64 v9, v[11:12]
.LBB157_54:
	s_or_b32 exec_lo, exec_lo, s0
	v_lshlrev_b32_e32 v15, 3, v15
	s_waitcnt lgkmcnt(0)
	s_barrier
	buffer_gl0_inv
	v_add_lshl_u32 v7, v7, v13, 3
	v_add_nc_u32_e32 v8, 0x3000, v15
	v_lshlrev_b32_e32 v18, 3, v18
	ds_load_2addr_b64 v[19:22], v8 offset1:8
	ds_load_b64 v[11:12], v17
	ds_load_b64 v[8:9], v9
	s_waitcnt lgkmcnt(1)
	v_fma_f64 v[11:12], v[11:12], v[19:20], 0
	s_waitcnt lgkmcnt(0)
	s_delay_alu instid0(VALU_DEP_1)
	v_fma_f64 v[8:9], v[8:9], v[21:22], v[11:12]
	ds_load_b64 v[11:12], v7
	ds_load_b64 v[18:19], v18 offset:12288
	v_add_lshl_u32 v7, v10, v13, 3
	ds_load_b64 v[20:21], v7 offset:6144
	ds_load_b64 v[22:23], v15 offset:12480
	s_waitcnt lgkmcnt(2)
	v_fma_f64 v[7:8], v[11:12], v[18:19], v[8:9]
	s_waitcnt lgkmcnt(0)
	s_delay_alu instid0(VALU_DEP_1)
	v_fma_f64 v[7:8], v[20:21], v[22:23], v[7:8]
	ds_store_b64 v17, v[7:8] offset:8192
	s_waitcnt lgkmcnt(0)
	s_barrier
	buffer_gl0_inv
	s_and_saveexec_b32 s0, s2
	s_cbranch_execz .LBB157_57
; %bb.55:
	v_cmp_gt_i32_e32 vcc_lo, s10, v13
	s_cmp_lt_u32 s14, s8
	s_cselect_b32 s0, -1, 0
	s_delay_alu instid0(SALU_CYCLE_1) | instskip(NEXT) | instid1(SALU_CYCLE_1)
	s_or_b32 s0, vcc_lo, s0
	s_and_b32 exec_lo, exec_lo, s0
	s_cbranch_execz .LBB157_57
; %bb.56:
	v_add_nc_u32_e32 v15, 0x2000, v16
	v_cmp_neq_f64_e32 vcc_lo, 0, v[1:2]
	v_mad_u64_u32 v[1:2], null, v13, s6, 0
	ds_load_2addr_b64 v[7:10], v15 offset1:32
	s_waitcnt lgkmcnt(0)
	v_add_f64 v[7:8], v[7:8], 0
	s_delay_alu instid0(VALU_DEP_1) | instskip(SKIP_3) | instid1(VALU_DEP_1)
	v_add_f64 v[11:12], v[7:8], v[9:10]
	ds_load_2addr_b64 v[7:10], v15 offset0:64 offset1:96
	s_waitcnt lgkmcnt(0)
	v_add_f64 v[7:8], v[11:12], v[7:8]
	v_add_f64 v[11:12], v[7:8], v[9:10]
	ds_load_2addr_b64 v[7:10], v15 offset0:128 offset1:160
	s_waitcnt lgkmcnt(0)
	v_add_f64 v[7:8], v[11:12], v[7:8]
	s_delay_alu instid0(VALU_DEP_1) | instskip(SKIP_3) | instid1(VALU_DEP_1)
	v_add_f64 v[11:12], v[7:8], v[9:10]
	ds_load_2addr_b64 v[7:10], v15 offset0:192 offset1:224
	s_waitcnt lgkmcnt(0)
	v_add_f64 v[7:8], v[11:12], v[7:8]
	v_add_f64 v[7:8], v[7:8], v[9:10]
	s_delay_alu instid0(VALU_DEP_1) | instskip(SKIP_1) | instid1(VALU_DEP_1)
	v_mul_f64 v[9:10], v[3:4], v[7:8]
	v_fma_f64 v[3:4], v[3:4], v[7:8], v[5:6]
	v_mad_u64_u32 v[5:6], null, v13, s7, v[2:3]
	s_delay_alu instid0(VALU_DEP_2) | instskip(NEXT) | instid1(VALU_DEP_2)
	v_dual_cndmask_b32 v4, v10, v4 :: v_dual_cndmask_b32 v3, v9, v3
	v_mov_b32_e32 v2, v5
	s_delay_alu instid0(VALU_DEP_1) | instskip(NEXT) | instid1(VALU_DEP_1)
	v_lshlrev_b64 v[1:2], 3, v[1:2]
	v_add_co_u32 v0, vcc_lo, v0, v1
	s_delay_alu instid0(VALU_DEP_2)
	v_add_co_ci_u32_e32 v1, vcc_lo, v14, v2, vcc_lo
	global_store_b64 v[0:1], v[3:4], off
.LBB157_57:
	s_nop 0
	s_sendmsg sendmsg(MSG_DEALLOC_VGPRS)
	s_endpgm
	.section	.rodata,"a",@progbits
	.p2align	6, 0x0
	.amdhsa_kernel _ZL58rocblas_symv_kernel_upper_double_buffered_diagonal_genericILi32ELi8E24rocblas_internal_val_ptrIdEPKPKdPKPdEvbiT1_lT2_lllSA_lllS9_lT3_lllii
		.amdhsa_group_segment_fixed_size 12544
		.amdhsa_private_segment_fixed_size 0
		.amdhsa_kernarg_size 400
		.amdhsa_user_sgpr_count 14
		.amdhsa_user_sgpr_dispatch_ptr 0
		.amdhsa_user_sgpr_queue_ptr 0
		.amdhsa_user_sgpr_kernarg_segment_ptr 1
		.amdhsa_user_sgpr_dispatch_id 0
		.amdhsa_user_sgpr_private_segment_size 0
		.amdhsa_wavefront_size32 1
		.amdhsa_uses_dynamic_stack 0
		.amdhsa_enable_private_segment 0
		.amdhsa_system_sgpr_workgroup_id_x 1
		.amdhsa_system_sgpr_workgroup_id_y 0
		.amdhsa_system_sgpr_workgroup_id_z 1
		.amdhsa_system_sgpr_workgroup_info 0
		.amdhsa_system_vgpr_workitem_id 1
		.amdhsa_next_free_vgpr 31
		.amdhsa_next_free_sgpr 22
		.amdhsa_reserve_vcc 1
		.amdhsa_float_round_mode_32 0
		.amdhsa_float_round_mode_16_64 0
		.amdhsa_float_denorm_mode_32 3
		.amdhsa_float_denorm_mode_16_64 3
		.amdhsa_dx10_clamp 1
		.amdhsa_ieee_mode 1
		.amdhsa_fp16_overflow 0
		.amdhsa_workgroup_processor_mode 1
		.amdhsa_memory_ordered 1
		.amdhsa_forward_progress 0
		.amdhsa_shared_vgpr_count 0
		.amdhsa_exception_fp_ieee_invalid_op 0
		.amdhsa_exception_fp_denorm_src 0
		.amdhsa_exception_fp_ieee_div_zero 0
		.amdhsa_exception_fp_ieee_overflow 0
		.amdhsa_exception_fp_ieee_underflow 0
		.amdhsa_exception_fp_ieee_inexact 0
		.amdhsa_exception_int_div_zero 0
	.end_amdhsa_kernel
	.section	.text._ZL58rocblas_symv_kernel_upper_double_buffered_diagonal_genericILi32ELi8E24rocblas_internal_val_ptrIdEPKPKdPKPdEvbiT1_lT2_lllSA_lllS9_lT3_lllii,"axG",@progbits,_ZL58rocblas_symv_kernel_upper_double_buffered_diagonal_genericILi32ELi8E24rocblas_internal_val_ptrIdEPKPKdPKPdEvbiT1_lT2_lllSA_lllS9_lT3_lllii,comdat
.Lfunc_end157:
	.size	_ZL58rocblas_symv_kernel_upper_double_buffered_diagonal_genericILi32ELi8E24rocblas_internal_val_ptrIdEPKPKdPKPdEvbiT1_lT2_lllSA_lllS9_lT3_lllii, .Lfunc_end157-_ZL58rocblas_symv_kernel_upper_double_buffered_diagonal_genericILi32ELi8E24rocblas_internal_val_ptrIdEPKPKdPKPdEvbiT1_lT2_lllSA_lllS9_lT3_lllii
                                        ; -- End function
	.section	.AMDGPU.csdata,"",@progbits
; Kernel info:
; codeLenInByte = 3092
; NumSgprs: 24
; NumVgprs: 31
; ScratchSize: 0
; MemoryBound: 0
; FloatMode: 240
; IeeeMode: 1
; LDSByteSize: 12544 bytes/workgroup (compile time only)
; SGPRBlocks: 2
; VGPRBlocks: 3
; NumSGPRsForWavesPerEU: 24
; NumVGPRsForWavesPerEU: 31
; Occupancy: 16
; WaveLimiterHint : 1
; COMPUTE_PGM_RSRC2:SCRATCH_EN: 0
; COMPUTE_PGM_RSRC2:USER_SGPR: 14
; COMPUTE_PGM_RSRC2:TRAP_HANDLER: 0
; COMPUTE_PGM_RSRC2:TGID_X_EN: 1
; COMPUTE_PGM_RSRC2:TGID_Y_EN: 0
; COMPUTE_PGM_RSRC2:TGID_Z_EN: 1
; COMPUTE_PGM_RSRC2:TIDIG_COMP_CNT: 1
	.section	.text._ZL62rocblas_symv_kernel_upper_double_buffered_non_diagonal_genericILi32ELi8ELi2ELi0E24rocblas_internal_val_ptrIdEPKPKdPKPdEvbiT3_lT4_lllSA_lllT5_lllii,"axG",@progbits,_ZL62rocblas_symv_kernel_upper_double_buffered_non_diagonal_genericILi32ELi8ELi2ELi0E24rocblas_internal_val_ptrIdEPKPKdPKPdEvbiT3_lT4_lllSA_lllT5_lllii,comdat
	.globl	_ZL62rocblas_symv_kernel_upper_double_buffered_non_diagonal_genericILi32ELi8ELi2ELi0E24rocblas_internal_val_ptrIdEPKPKdPKPdEvbiT3_lT4_lllSA_lllT5_lllii ; -- Begin function _ZL62rocblas_symv_kernel_upper_double_buffered_non_diagonal_genericILi32ELi8ELi2ELi0E24rocblas_internal_val_ptrIdEPKPKdPKPdEvbiT3_lT4_lllSA_lllT5_lllii
	.p2align	8
	.type	_ZL62rocblas_symv_kernel_upper_double_buffered_non_diagonal_genericILi32ELi8ELi2ELi0E24rocblas_internal_val_ptrIdEPKPKdPKPdEvbiT3_lT4_lllSA_lllT5_lllii,@function
_ZL62rocblas_symv_kernel_upper_double_buffered_non_diagonal_genericILi32ELi8ELi2ELi0E24rocblas_internal_val_ptrIdEPKPKdPKPdEvbiT3_lT4_lllSA_lllT5_lllii: ; @_ZL62rocblas_symv_kernel_upper_double_buffered_non_diagonal_genericILi32ELi8ELi2ELi0E24rocblas_internal_val_ptrIdEPKPKdPKPdEvbiT3_lT4_lllSA_lllT5_lllii
; %bb.0:
	s_clause 0x2
	s_load_b32 s2, s[0:1], 0x0
	s_load_b256 s[4:11], s[0:1], 0x8
	s_load_b64 s[16:17], s[0:1], 0x28
	s_mov_b32 s18, s15
	s_waitcnt lgkmcnt(0)
	s_bitcmp1_b32 s2, 0
	v_dual_mov_b32 v13, s5 :: v_dual_mov_b32 v12, s4
	s_cselect_b32 s2, -1, 0
	s_delay_alu instid0(SALU_CYCLE_1)
	s_and_b32 vcc_lo, exec_lo, s2
	s_cbranch_vccnz .LBB158_2
; %bb.1:
	s_mul_i32 s2, s18, s7
	s_mul_hi_u32 s3, s18, s6
	s_delay_alu instid0(SALU_CYCLE_1) | instskip(SKIP_1) | instid1(SALU_CYCLE_1)
	s_add_i32 s3, s3, s2
	s_mul_i32 s2, s18, s6
	s_lshl_b64 s[2:3], s[2:3], 3
	s_delay_alu instid0(SALU_CYCLE_1) | instskip(SKIP_1) | instid1(SALU_CYCLE_1)
	s_add_u32 s2, s4, s2
	s_addc_u32 s3, s5, s3
	v_dual_mov_b32 v1, s2 :: v_dual_mov_b32 v2, s3
	flat_load_b64 v[12:13], v[1:2]
.LBB158_2:
	s_mov_b32 s2, exec_lo
	s_waitcnt vmcnt(0) lgkmcnt(0)
	v_cmpx_neq_f64_e32 0, v[12:13]
	s_cbranch_execz .LBB158_41
; %bb.3:
	s_load_b32 s12, s[0:1], 0x84
	s_add_u32 s2, s0, 0x80
	s_addc_u32 s3, s1, 0
	s_cmp_eq_u32 s13, 0
	s_mov_b32 s19, 0
	s_waitcnt lgkmcnt(0)
	v_cvt_f32_u32_e32 v1, s12
	s_delay_alu instid0(VALU_DEP_1) | instskip(SKIP_2) | instid1(VALU_DEP_1)
	v_rcp_iflag_f32_e32 v1, v1
	s_waitcnt_depctr 0xfff
	v_mul_f32_e32 v1, 0x4f7ffffe, v1
	v_cvt_u32_f32_e32 v1, v1
	s_delay_alu instid0(VALU_DEP_1)
	v_readfirstlane_b32 s15, v1
	s_cbranch_scc1 .LBB158_41
; %bb.4:
	s_clause 0x1
	s_load_b128 s[4:7], s[0:1], 0x38
	s_load_b64 s[20:21], s[0:1], 0x58
	s_sub_i32 s22, 0, s12
	s_delay_alu instid0(SALU_CYCLE_1) | instskip(NEXT) | instid1(SALU_CYCLE_1)
	s_mul_i32 s22, s22, s15
	s_mul_hi_u32 s24, s15, s22
	s_lshl_b64 s[22:23], s[18:19], 3
	s_add_i32 s15, s15, s24
	s_add_u32 s18, s8, s22
	s_mul_hi_u32 s8, s13, s15
	s_addc_u32 s19, s9, s23
	s_mul_i32 s9, s8, s12
	s_waitcnt lgkmcnt(0)
	s_add_u32 s4, s4, s22
	s_addc_u32 s5, s5, s23
	s_add_u32 s20, s20, s22
	s_addc_u32 s21, s21, s23
	s_sub_i32 s9, s13, s9
	s_add_i32 s15, s8, 1
	s_sub_i32 s22, s9, s12
	s_cmp_ge_u32 s9, s12
	s_cselect_b32 s8, s15, s8
	s_cselect_b32 s9, s22, s9
	s_add_i32 s15, s8, 1
	s_cmp_ge_u32 s9, s12
	s_cselect_b32 s22, s15, s8
	s_add_i32 s8, s12, -1
	s_mov_b32 s15, s22
	s_cmp_lg_u32 s14, s8
	s_cbranch_scc1 .LBB158_6
; %bb.5:
	s_mul_i32 s8, s22, s12
	s_delay_alu instid0(SALU_CYCLE_1) | instskip(NEXT) | instid1(SALU_CYCLE_1)
	s_sub_i32 s8, s13, s8
	s_add_i32 s15, s8, s22
.LBB158_6:
	s_delay_alu instid0(SALU_CYCLE_1)
	s_cmp_eq_u32 s15, 0
	s_cbranch_scc1 .LBB158_41
; %bb.7:
	s_load_b64 s[26:27], s[4:5], 0x0
	s_load_b64 s[8:9], s[0:1], 0x48
	s_load_b64 s[4:5], s[18:19], 0x0
	s_load_b64 s[18:19], s[20:21], 0x0
	s_load_b32 s21, s[2:3], 0x0
	s_lshl_b64 s[2:3], s[6:7], 3
	s_load_b32 s20, s[0:1], 0x78
	v_and_b32_e32 v45, 0x3ff, v0
	v_bfe_u32 v0, v0, 10, 10
	s_delay_alu instid0(VALU_DEP_2) | instskip(NEXT) | instid1(VALU_DEP_2)
	v_and_b32_e32 v14, 15, v45
	v_lshl_add_u32 v1, v0, 5, v45
	s_delay_alu instid0(VALU_DEP_1) | instskip(SKIP_4) | instid1(SALU_CYCLE_1)
	v_lshrrev_b32_e32 v6, 4, v1
	s_waitcnt lgkmcnt(0)
	s_add_u32 s25, s26, s2
	s_addc_u32 s26, s27, s3
	s_lshl_b32 s3, s13, 5
	s_mul_i32 s2, s3, s9
	s_mul_hi_u32 s6, s3, s8
	s_ashr_i32 s12, s3, 31
	s_add_i32 s2, s6, s2
	s_mul_i32 s7, s12, s8
	s_mul_i32 s6, s3, s8
	s_add_i32 s7, s2, s7
	v_cmp_eq_u32_e64 s2, 0, v0
	s_lshl_b64 s[6:7], s[6:7], 3
	s_delay_alu instid0(SALU_CYCLE_1)
	s_add_u32 s23, s25, s6
	s_addc_u32 s27, s26, s7
	s_add_i32 s21, s21, -1
	s_mov_b32 s6, -1
	s_cmp_lg_u32 s13, s21
	s_cselect_b32 s24, -1, 0
	s_delay_alu instid0(SALU_CYCLE_1)
	s_and_b32 vcc_lo, exec_lo, s24
	s_cbranch_vccnz .LBB158_13
; %bb.8:
	s_and_saveexec_b32 s6, s2
	s_cbranch_execz .LBB158_12
; %bb.9:
	v_mov_b32_e32 v0, 0
	v_mov_b32_e32 v1, 0
	s_mov_b32 s7, exec_lo
	v_cmpx_gt_i32_e64 s20, v45
	s_cbranch_execz .LBB158_11
; %bb.10:
	v_mad_u64_u32 v[0:1], null, v45, s8, 0
	s_delay_alu instid0(VALU_DEP_1) | instskip(NEXT) | instid1(VALU_DEP_1)
	v_mad_u64_u32 v[2:3], null, v45, s9, v[1:2]
	v_mov_b32_e32 v1, v2
	s_delay_alu instid0(VALU_DEP_1) | instskip(NEXT) | instid1(VALU_DEP_1)
	v_lshlrev_b64 v[0:1], 3, v[0:1]
	v_add_co_u32 v0, vcc_lo, s23, v0
	s_delay_alu instid0(VALU_DEP_2)
	v_add_co_ci_u32_e32 v1, vcc_lo, s27, v1, vcc_lo
	global_load_b64 v[0:1], v[0:1], off
.LBB158_11:
	s_or_b32 exec_lo, exec_lo, s7
	v_lshlrev_b32_e32 v2, 3, v45
	s_waitcnt vmcnt(0)
	ds_store_b64 v2, v[0:1] offset:8192
.LBB158_12:
	s_or_b32 exec_lo, exec_lo, s6
	s_mov_b32 s6, 0
	s_delay_alu instid0(SALU_CYCLE_1) | instskip(SKIP_1) | instid1(VALU_DEP_1)
	s_mov_b32 s7, s6
	v_lshlrev_b32_e32 v0, 3, v14
	v_lshl_or_b32 v2, v6, 8, v0
	v_dual_mov_b32 v0, s6 :: v_dual_mov_b32 v1, s7
	s_delay_alu instid0(VALU_DEP_2)
	v_add_nc_u32_e32 v3, 0x1000, v2
	ds_store_2addr_b64 v2, v[0:1], v[0:1] offset1:16
	ds_store_2addr_b64 v3, v[0:1], v[0:1] offset1:16
.LBB158_13:
	s_and_b32 vcc_lo, exec_lo, s6
	s_cbranch_vccz .LBB158_17
; %bb.14:
	s_and_saveexec_b32 s6, s2
	s_cbranch_execz .LBB158_16
; %bb.15:
	v_mad_u64_u32 v[0:1], null, v45, s8, 0
	s_delay_alu instid0(VALU_DEP_1) | instskip(NEXT) | instid1(VALU_DEP_1)
	v_mad_u64_u32 v[2:3], null, v45, s9, v[1:2]
	v_dual_mov_b32 v1, v2 :: v_dual_lshlrev_b32 v2, 3, v45
	s_delay_alu instid0(VALU_DEP_1) | instskip(NEXT) | instid1(VALU_DEP_1)
	v_lshlrev_b64 v[0:1], 3, v[0:1]
	v_add_co_u32 v0, vcc_lo, s23, v0
	s_delay_alu instid0(VALU_DEP_2)
	v_add_co_ci_u32_e32 v1, vcc_lo, s27, v1, vcc_lo
	global_load_b64 v[0:1], v[0:1], off
	s_waitcnt vmcnt(0)
	ds_store_b64 v2, v[0:1] offset:8192
.LBB158_16:
	s_or_b32 exec_lo, exec_lo, s6
.LBB158_17:
	s_lshr_b32 s23, s20, 31
	s_lshl_b64 s[6:7], s[10:11], 3
	s_add_i32 s10, s20, s23
	s_mul_i32 s11, s3, s17
	s_ashr_i32 s27, s10, 1
	s_add_u32 s6, s4, s6
	s_mul_hi_u32 s4, s3, s16
	s_addc_u32 s7, s5, s7
	s_add_i32 s4, s4, s11
	s_mul_i32 s5, s12, s16
	s_mul_i32 s14, s14, s22
	s_add_i32 s5, s4, s5
	s_mul_i32 s4, s3, s16
	v_lshlrev_b32_e32 v7, 1, v6
	s_lshl_b64 s[4:5], s[4:5], 3
	v_cmp_gt_i32_e32 vcc_lo, s27, v6
	s_add_u32 s6, s6, s4
	s_addc_u32 s7, s7, s5
	s_lshl_b32 s10, s14, 5
	s_waitcnt lgkmcnt(0)
	s_ashr_i32 s11, s10, 31
	s_barrier
	s_lshl_b64 s[4:5], s[10:11], 3
	buffer_gl0_inv
	s_add_u32 s22, s6, s4
	s_mov_b32 s4, 0
	s_addc_u32 s23, s7, s5
	s_mov_b32 s5, s4
	s_mov_b32 s6, s4
	;; [unrolled: 1-line block ×3, first 2 shown]
	v_mov_b32_e32 v15, 0
	s_or_b32 s24, s24, vcc_lo
	s_delay_alu instid0(VALU_DEP_1) | instskip(NEXT) | instid1(VALU_DEP_1)
	v_mad_u64_u32 v[4:5], null, v7, s16, v[14:15]
	v_mov_b32_e32 v0, v5
	s_delay_alu instid0(VALU_DEP_1) | instskip(NEXT) | instid1(VALU_DEP_1)
	v_mad_u64_u32 v[1:2], null, v7, s17, v[0:1]
	v_dual_mov_b32 v5, v1 :: v_dual_mov_b32 v0, s4
	v_dual_mov_b32 v2, s6 :: v_dual_mov_b32 v1, s5
	v_mov_b32_e32 v3, s7
	s_delay_alu instid0(VALU_DEP_3)
	v_lshlrev_b64 v[15:16], 3, v[4:5]
	s_and_saveexec_b32 s4, s24
; %bb.18:
	s_delay_alu instid0(VALU_DEP_1) | instskip(NEXT) | instid1(VALU_DEP_2)
	v_add_co_u32 v0, vcc_lo, s22, v15
	v_add_co_ci_u32_e32 v1, vcc_lo, s23, v16, vcc_lo
	s_lshl_b64 s[6:7], s[16:17], 3
	s_delay_alu instid0(VALU_DEP_2) | instid1(SALU_CYCLE_1)
	v_add_co_u32 v2, vcc_lo, v0, s6
	s_delay_alu instid0(VALU_DEP_2)
	v_add_co_ci_u32_e32 v3, vcc_lo, s7, v1, vcc_lo
	s_clause 0x1
	global_load_b64 v[0:1], v[0:1], off
	global_load_b64 v[2:3], v[2:3], off
; %bb.19:
	s_or_b32 exec_lo, exec_lo, s4
	s_load_b128 s[4:7], s[0:1], 0x60
	v_lshl_or_b32 v46, v6, 5, v14
	s_waitcnt lgkmcnt(0)
	s_lshl_b64 s[0:1], s[4:5], 3
	s_delay_alu instid0(SALU_CYCLE_1)
	s_add_u32 s14, s18, s0
	s_addc_u32 s18, s19, s1
	s_cmp_gt_i32 s15, 0
	s_cbranch_scc1 .LBB158_21
; %bb.20:
	v_lshl_or_b32 v6, v6, 5, v14
	s_mov_b32 s4, 0
	s_mov_b64 s[0:1], 0
	s_delay_alu instid0(VALU_DEP_1)
	v_or_b32_e32 v47, 16, v6
	s_branch .LBB158_22
.LBB158_21:
	s_mov_b32 s4, -1
                                        ; implicit-def: $sgpr0_sgpr1
                                        ; implicit-def: $vgpr6
                                        ; implicit-def: $vgpr47
.LBB158_22:
	v_dual_mov_b32 v24, s1 :: v_dual_mov_b32 v23, s0
	v_dual_mov_b32 v22, s1 :: v_dual_mov_b32 v21, s0
	s_and_not1_b32 vcc_lo, exec_lo, s4
	s_cbranch_vccnz .LBB158_37
; %bb.23:
	v_mad_u64_u32 v[8:9], null, v14, s8, 0
	s_mul_i32 s0, s10, s9
	s_mul_hi_u32 s1, s10, s8
	s_mul_i32 s4, s11, s8
	s_add_i32 s1, s1, s0
	s_mul_i32 s0, s10, s8
	s_add_i32 s1, s1, s4
	s_delay_alu instid0(VALU_DEP_1)
	v_mov_b32_e32 v6, v9
	s_lshl_b64 s[0:1], s[0:1], 3
	v_or_b32_e32 v23, 16, v14
	s_add_u32 s19, s25, s0
	s_addc_u32 s25, s26, s1
	v_mad_u64_u32 v[9:10], null, v14, s9, v[6:7]
	v_mad_u64_u32 v[10:11], null, v45, s6, 0
	s_mul_i32 s0, s10, s7
	s_mul_hi_u32 s1, s10, s6
	v_or_b32_e32 v47, 16, v46
	s_add_i32 s0, s1, s0
	s_delay_alu instid0(VALU_DEP_3)
	v_lshlrev_b64 v[17:18], 3, v[8:9]
	s_mul_i32 s1, s11, s6
	v_lshl_add_u32 v49, v7, 3, 0x2000
	s_add_i32 s1, s0, s1
	s_mul_i32 s0, s10, s6
	s_mov_b32 s11, 0
	v_add_co_u32 v8, vcc_lo, s19, v17
	v_add_co_ci_u32_e32 v9, vcc_lo, s25, v18, vcc_lo
	v_add_co_u32 v4, vcc_lo, v4, s16
	s_lshl_b64 s[0:1], s[0:1], 3
	global_load_b64 v[19:20], v[8:9], off
	v_mad_u64_u32 v[8:9], null, v23, s8, 0
	v_add_co_ci_u32_e32 v5, vcc_lo, s17, v5, vcc_lo
	s_add_u32 s4, s14, s0
	s_addc_u32 s5, s18, s1
	v_lshlrev_b32_e32 v48, 3, v46
	s_delay_alu instid0(VALU_DEP_2) | instskip(NEXT) | instid1(VALU_DEP_4)
	v_lshlrev_b64 v[29:30], 3, v[4:5]
	v_mov_b32_e32 v6, v9
	s_lshl_b64 s[0:1], s[8:9], 8
	s_add_i32 s10, s15, -1
	s_delay_alu instid0(VALU_DEP_1) | instskip(SKIP_2) | instid1(VALU_DEP_2)
	v_mad_u64_u32 v[21:22], null, v23, s9, v[6:7]
	v_mov_b32_e32 v6, v11
	s_lshl_b64 s[8:9], s[16:17], 3
	v_mov_b32_e32 v9, v21
	s_delay_alu instid0(VALU_DEP_2) | instskip(NEXT) | instid1(VALU_DEP_2)
	v_mad_u64_u32 v[22:23], null, v45, s7, v[6:7]
	v_lshlrev_b64 v[27:28], 3, v[8:9]
	s_delay_alu instid0(VALU_DEP_2)
	v_mov_b32_e32 v11, v22
	v_mov_b32_e32 v21, 0
	;; [unrolled: 1-line block ×4, first 2 shown]
	v_lshlrev_b32_e32 v50, 3, v45
	v_lshlrev_b64 v[31:32], 3, v[10:11]
	s_delay_alu instid0(VALU_DEP_4)
	v_dual_mov_b32 v25, s4 :: v_dual_mov_b32 v24, v22
	v_mov_b32_e32 v34, v22
	v_dual_mov_b32 v36, v22 :: v_dual_mov_b32 v35, v21
	v_mov_b32_e32 v23, v21
	v_mov_b32_e32 v33, v21
	s_lshl_b64 s[4:5], s[6:7], 8
.LBB158_24:                             ; =>This Loop Header: Depth=1
                                        ;     Child Loop BB158_32 Depth 2
	v_add_co_u32 v4, vcc_lo, s19, v27
	v_add_co_ci_u32_e32 v5, vcc_lo, s25, v28, vcc_lo
	global_load_b64 v[37:38], v[4:5], off
	s_and_saveexec_b32 s16, s24
; %bb.25:                               ;   in Loop: Header=BB158_24 Depth=1
	v_add_co_u32 v4, vcc_lo, s22, v15
	v_add_co_ci_u32_e32 v5, vcc_lo, s23, v16, vcc_lo
	v_add_co_u32 v6, vcc_lo, s22, v29
	v_add_co_ci_u32_e32 v7, vcc_lo, s23, v30, vcc_lo
	s_clause 0x1
	global_load_b64 v[33:34], v[4:5], off offset:128
	global_load_b64 v[35:36], v[6:7], off offset:128
; %bb.26:                               ;   in Loop: Header=BB158_24 Depth=1
	s_or_b32 exec_lo, exec_lo, s16
	ds_load_b128 v[8:11], v49
	s_waitcnt vmcnt(2)
	v_dual_mov_b32 v7, v3 :: v_dual_mov_b32 v6, v2
	s_waitcnt vmcnt(1)
	v_dual_mov_b32 v40, v20 :: v_dual_mov_b32 v39, v19
	v_dual_mov_b32 v5, v1 :: v_dual_mov_b32 v4, v0
	s_add_u32 s19, s19, s0
	s_addc_u32 s25, s25, s1
	s_cmp_eq_u32 s11, s10
	s_cbranch_scc1 .LBB158_30
; %bb.27:                               ;   in Loop: Header=BB158_24 Depth=1
	v_dual_mov_b32 v7, v3 :: v_dual_mov_b32 v6, v2
	v_dual_mov_b32 v5, v1 :: v_dual_mov_b32 v4, v0
	s_and_saveexec_b32 s16, s24
; %bb.28:                               ;   in Loop: Header=BB158_24 Depth=1
	v_add_co_u32 v4, vcc_lo, s22, v15
	v_add_co_ci_u32_e32 v5, vcc_lo, s23, v16, vcc_lo
	s_delay_alu instid0(VALU_DEP_2) | instskip(NEXT) | instid1(VALU_DEP_2)
	v_add_co_u32 v6, vcc_lo, v4, s8
	v_add_co_ci_u32_e32 v7, vcc_lo, s9, v5, vcc_lo
	s_clause 0x1
	global_load_b64 v[4:5], v[4:5], off offset:256
	global_load_b64 v[6:7], v[6:7], off offset:256
; %bb.29:                               ;   in Loop: Header=BB158_24 Depth=1
	s_or_b32 exec_lo, exec_lo, s16
	v_add_co_u32 v39, vcc_lo, s19, v17
	v_add_co_ci_u32_e32 v40, vcc_lo, s25, v18, vcc_lo
	global_load_b64 v[39:40], v[39:40], off
.LBB158_30:                             ;   in Loop: Header=BB158_24 Depth=1
	s_waitcnt lgkmcnt(0)
	v_fma_f64 v[41:42], v[0:1], v[8:9], 0
	v_fma_f64 v[8:9], v[33:34], v[8:9], 0
	s_waitcnt vmcnt(0)
	s_barrier
	buffer_gl0_inv
	v_fma_f64 v[41:42], v[2:3], v[10:11], v[41:42]
	v_fma_f64 v[8:9], v[35:36], v[10:11], v[8:9]
	ds_store_2addr_b64 v48, v[41:42], v[8:9] offset1:16
	s_waitcnt lgkmcnt(0)
	s_barrier
	buffer_gl0_inv
	s_and_saveexec_b32 s16, s2
	s_cbranch_execz .LBB158_34
; %bb.31:                               ;   in Loop: Header=BB158_24 Depth=1
	ds_load_2addr_b64 v[8:11], v50 offset1:32
	v_add_nc_u32_e32 v55, 0x800, v50
	s_mov_b32 s17, 0
	ds_load_2addr_b64 v[51:54], v55 offset0:64 offset1:96
	s_waitcnt lgkmcnt(1)
	v_add_f64 v[8:9], v[8:9], 0
	s_delay_alu instid0(VALU_DEP_1) | instskip(SKIP_3) | instid1(VALU_DEP_1)
	v_add_f64 v[41:42], v[8:9], v[10:11]
	ds_load_2addr_b64 v[8:11], v50 offset0:64 offset1:96
	s_waitcnt lgkmcnt(0)
	v_add_f64 v[8:9], v[41:42], v[8:9]
	v_add_f64 v[41:42], v[8:9], v[10:11]
	ds_load_2addr_b64 v[8:11], v50 offset0:128 offset1:160
	s_waitcnt lgkmcnt(0)
	v_add_f64 v[8:9], v[41:42], v[8:9]
	s_delay_alu instid0(VALU_DEP_1)
	v_add_f64 v[41:42], v[8:9], v[10:11]
	ds_load_2addr_b64 v[8:11], v50 offset0:192 offset1:224
	s_waitcnt lgkmcnt(0)
	v_add_f64 v[8:9], v[41:42], v[8:9]
	ds_load_2addr_b64 v[41:44], v55 offset1:32
	v_add_f64 v[8:9], v[8:9], v[10:11]
	s_waitcnt lgkmcnt(0)
	s_delay_alu instid0(VALU_DEP_1) | instskip(SKIP_4) | instid1(VALU_DEP_1)
	v_add_f64 v[8:9], v[8:9], v[41:42]
	v_add_co_u32 v41, vcc_lo, v25, v31
	v_add_co_ci_u32_e32 v42, vcc_lo, v26, v32, vcc_lo
	global_load_b64 v[10:11], v[41:42], off
	v_add_f64 v[8:9], v[8:9], v[43:44]
	v_add_f64 v[8:9], v[8:9], v[51:52]
	s_delay_alu instid0(VALU_DEP_1) | instskip(SKIP_3) | instid1(VALU_DEP_1)
	v_add_f64 v[8:9], v[8:9], v[53:54]
	ds_load_2addr_b64 v[51:54], v55 offset0:128 offset1:160
	s_waitcnt lgkmcnt(0)
	v_add_f64 v[8:9], v[8:9], v[51:52]
	v_add_f64 v[8:9], v[8:9], v[53:54]
	ds_load_2addr_b64 v[51:54], v55 offset0:192 offset1:224
	s_waitcnt lgkmcnt(0)
	v_add_f64 v[8:9], v[8:9], v[51:52]
	s_delay_alu instid0(VALU_DEP_1) | instskip(NEXT) | instid1(VALU_DEP_1)
	v_add_f64 v[8:9], v[8:9], v[53:54]
	v_mul_f64 v[43:44], v[12:13], v[8:9]
.LBB158_32:                             ;   Parent Loop BB158_24 Depth=1
                                        ; =>  This Inner Loop Header: Depth=2
	s_waitcnt vmcnt(0)
	s_delay_alu instid0(VALU_DEP_1)
	v_add_f64 v[8:9], v[10:11], v[43:44]
	global_atomic_cmpswap_b64 v[8:9], v[41:42], v[8:11], off glc
	s_waitcnt vmcnt(0)
	v_cmp_eq_u64_e32 vcc_lo, v[8:9], v[10:11]
	v_dual_mov_b32 v11, v9 :: v_dual_mov_b32 v10, v8
	s_or_b32 s17, vcc_lo, s17
	s_delay_alu instid0(SALU_CYCLE_1)
	s_and_not1_b32 exec_lo, exec_lo, s17
	s_cbranch_execnz .LBB158_32
; %bb.33:                               ;   in Loop: Header=BB158_24 Depth=1
	s_or_b32 exec_lo, exec_lo, s17
	v_add_co_u32 v25, vcc_lo, v25, s4
	v_add_co_ci_u32_e32 v26, vcc_lo, s5, v26, vcc_lo
.LBB158_34:                             ;   in Loop: Header=BB158_24 Depth=1
	s_or_b32 exec_lo, exec_lo, s16
	v_fma_f64 v[0:1], v[19:20], v[0:1], v[21:22]
	v_fma_f64 v[2:3], v[19:20], v[2:3], v[23:24]
	s_add_u32 s22, s22, 0x100
	s_addc_u32 s23, s23, 0
	s_add_i32 s11, s11, 1
	s_delay_alu instid0(SALU_CYCLE_1) | instskip(NEXT) | instid1(VALU_DEP_2)
	s_cmp_eq_u32 s11, s15
	v_fma_f64 v[21:22], v[37:38], v[33:34], v[0:1]
	s_delay_alu instid0(VALU_DEP_2)
	v_fma_f64 v[23:24], v[37:38], v[35:36], v[2:3]
	s_cbranch_scc1 .LBB158_36
; %bb.35:                               ;   in Loop: Header=BB158_24 Depth=1
	v_dual_mov_b32 v0, v4 :: v_dual_mov_b32 v1, v5
	v_dual_mov_b32 v19, v39 :: v_dual_mov_b32 v20, v40
	;; [unrolled: 1-line block ×3, first 2 shown]
	s_branch .LBB158_24
.LBB158_36:
	v_mov_b32_e32 v6, v46
.LBB158_37:
	s_waitcnt vmcnt(1)
	s_delay_alu instid0(VALU_DEP_1)
	v_lshlrev_b32_e32 v0, 3, v6
	v_lshlrev_b32_e32 v1, 3, v47
	ds_store_b64 v0, v[21:22] offset:4096
	ds_store_b64 v1, v[23:24] offset:4096
	s_waitcnt vmcnt(0) lgkmcnt(0)
	s_barrier
	buffer_gl0_inv
	s_and_b32 exec_lo, exec_lo, s2
	s_cbranch_execz .LBB158_41
; %bb.38:
	v_cmp_gt_i32_e32 vcc_lo, s20, v45
	s_cmp_lt_u32 s13, s21
	s_cselect_b32 s0, -1, 0
	s_delay_alu instid0(SALU_CYCLE_1) | instskip(NEXT) | instid1(SALU_CYCLE_1)
	s_or_b32 s0, vcc_lo, s0
	s_and_b32 exec_lo, exec_lo, s0
	s_cbranch_execz .LBB158_41
; %bb.39:
	v_lshlrev_b32_e32 v11, 4, v45
	v_add_nc_u32_e32 v2, 1, v45
	v_add_nc_u32_e32 v3, 2, v45
	;; [unrolled: 1-line block ×3, first 2 shown]
	s_mul_i32 s0, s3, s7
	v_or_b32_e32 v10, v14, v11
	v_and_or_b32 v2, v2, 15, v11
	v_and_or_b32 v3, v3, 15, v11
	;; [unrolled: 1-line block ×3, first 2 shown]
	s_mul_hi_u32 s1, s3, s6
	v_lshlrev_b32_e32 v0, 3, v10
	v_lshlrev_b32_e32 v2, 3, v2
	;; [unrolled: 1-line block ×4, first 2 shown]
	s_add_i32 s0, s1, s0
	ds_load_b64 v[0:1], v0 offset:4096
	ds_load_b64 v[2:3], v2 offset:4096
	;; [unrolled: 1-line block ×4, first 2 shown]
	s_mul_i32 s1, s12, s6
	s_delay_alu instid0(SALU_CYCLE_1) | instskip(SKIP_1) | instid1(SALU_CYCLE_1)
	s_add_i32 s1, s0, s1
	s_mul_i32 s0, s3, s6
	s_lshl_b64 s[0:1], s[0:1], 3
	s_delay_alu instid0(SALU_CYCLE_1) | instskip(SKIP_4) | instid1(VALU_DEP_1)
	s_add_u32 s0, s14, s0
	s_addc_u32 s1, s18, s1
	s_waitcnt lgkmcnt(3)
	v_add_f64 v[0:1], v[0:1], 0
	s_waitcnt lgkmcnt(2)
	v_add_f64 v[0:1], v[0:1], v[2:3]
	v_add_nc_u32_e32 v2, 4, v45
	s_delay_alu instid0(VALU_DEP_1) | instskip(NEXT) | instid1(VALU_DEP_1)
	v_and_or_b32 v2, v2, 15, v11
	v_lshlrev_b32_e32 v2, 3, v2
	ds_load_b64 v[2:3], v2 offset:4096
	s_waitcnt lgkmcnt(2)
	v_add_f64 v[0:1], v[0:1], v[4:5]
	v_add_nc_u32_e32 v4, 5, v45
	v_add_nc_u32_e32 v5, 6, v45
	s_delay_alu instid0(VALU_DEP_2) | instskip(NEXT) | instid1(VALU_DEP_2)
	v_and_or_b32 v4, v4, 15, v11
	v_and_or_b32 v5, v5, 15, v11
	s_delay_alu instid0(VALU_DEP_2) | instskip(SKIP_4) | instid1(VALU_DEP_2)
	v_lshlrev_b32_e32 v4, 3, v4
	s_waitcnt lgkmcnt(1)
	v_add_f64 v[0:1], v[0:1], v[6:7]
	v_add_nc_u32_e32 v6, 7, v45
	v_lshlrev_b32_e32 v7, 3, v5
	v_and_or_b32 v6, v6, 15, v11
	s_delay_alu instid0(VALU_DEP_1)
	v_lshlrev_b32_e32 v8, 3, v6
	ds_load_b64 v[4:5], v4 offset:4096
	ds_load_b64 v[6:7], v7 offset:4096
	;; [unrolled: 1-line block ×3, first 2 shown]
	s_waitcnt lgkmcnt(3)
	v_add_f64 v[0:1], v[0:1], v[2:3]
	v_xor_b32_e32 v2, 8, v10
	s_delay_alu instid0(VALU_DEP_1)
	v_lshlrev_b32_e32 v2, 3, v2
	ds_load_b64 v[2:3], v2 offset:4096
	s_waitcnt lgkmcnt(3)
	v_add_f64 v[0:1], v[0:1], v[4:5]
	v_mad_u64_u32 v[4:5], null, v45, s6, 0
	s_waitcnt lgkmcnt(2)
	s_delay_alu instid0(VALU_DEP_2) | instskip(SKIP_2) | instid1(VALU_DEP_2)
	v_add_f64 v[0:1], v[0:1], v[6:7]
	v_add_nc_u32_e32 v6, 9, v45
	v_add_nc_u32_e32 v7, 10, v45
	v_and_or_b32 v6, v6, 15, v11
	s_delay_alu instid0(VALU_DEP_2) | instskip(NEXT) | instid1(VALU_DEP_1)
	v_and_or_b32 v7, v7, 15, v11
	v_lshlrev_b32_e32 v10, 3, v7
	s_waitcnt lgkmcnt(1)
	v_add_f64 v[0:1], v[0:1], v[8:9]
	v_lshlrev_b32_e32 v9, 3, v6
	v_mad_u64_u32 v[6:7], null, v45, s7, v[5:6]
	v_add_nc_u32_e32 v8, 11, v45
	s_delay_alu instid0(VALU_DEP_1) | instskip(NEXT) | instid1(VALU_DEP_3)
	v_and_or_b32 v8, v8, 15, v11
	v_dual_mov_b32 v5, v6 :: v_dual_add_nc_u32 v6, 12, v45
	s_delay_alu instid0(VALU_DEP_2) | instskip(SKIP_4) | instid1(VALU_DEP_1)
	v_lshlrev_b32_e32 v14, 3, v8
	ds_load_b64 v[7:8], v9 offset:4096
	ds_load_b64 v[9:10], v10 offset:4096
	;; [unrolled: 1-line block ×3, first 2 shown]
	v_and_or_b32 v6, v6, 15, v11
	v_lshlrev_b32_e32 v6, 3, v6
	s_waitcnt lgkmcnt(3)
	v_add_f64 v[0:1], v[0:1], v[2:3]
	v_lshlrev_b64 v[2:3], 3, v[4:5]
	s_delay_alu instid0(VALU_DEP_1) | instskip(NEXT) | instid1(VALU_DEP_2)
	v_add_co_u32 v4, vcc_lo, s0, v2
	v_add_co_ci_u32_e32 v5, vcc_lo, s1, v3, vcc_lo
	s_mov_b32 s0, 0
	global_load_b64 v[2:3], v[4:5], off
	s_waitcnt lgkmcnt(2)
	v_add_f64 v[0:1], v[0:1], v[7:8]
	ds_load_b64 v[6:7], v6 offset:4096
	v_add_nc_u32_e32 v8, 13, v45
	s_delay_alu instid0(VALU_DEP_1) | instskip(NEXT) | instid1(VALU_DEP_1)
	v_and_or_b32 v8, v8, 15, v11
	v_lshlrev_b32_e32 v8, 3, v8
	s_waitcnt lgkmcnt(2)
	v_add_f64 v[0:1], v[0:1], v[9:10]
	v_add_nc_u32_e32 v9, 14, v45
	v_add_nc_u32_e32 v10, -1, v45
	s_delay_alu instid0(VALU_DEP_2) | instskip(NEXT) | instid1(VALU_DEP_2)
	v_and_or_b32 v9, v9, 15, v11
	v_and_or_b32 v10, v10, 15, v11
	s_delay_alu instid0(VALU_DEP_2) | instskip(SKIP_2) | instid1(VALU_DEP_3)
	v_lshlrev_b32_e32 v11, 3, v9
	s_waitcnt lgkmcnt(1)
	v_add_f64 v[0:1], v[0:1], v[14:15]
	v_lshlrev_b32_e32 v14, 3, v10
	ds_load_b64 v[8:9], v8 offset:4096
	ds_load_b64 v[10:11], v11 offset:4096
	;; [unrolled: 1-line block ×3, first 2 shown]
	s_waitcnt lgkmcnt(3)
	v_add_f64 v[0:1], v[0:1], v[6:7]
	s_waitcnt lgkmcnt(2)
	s_delay_alu instid0(VALU_DEP_1) | instskip(SKIP_1) | instid1(VALU_DEP_1)
	v_add_f64 v[0:1], v[0:1], v[8:9]
	s_waitcnt lgkmcnt(1)
	v_add_f64 v[0:1], v[0:1], v[10:11]
	s_waitcnt lgkmcnt(0)
	s_delay_alu instid0(VALU_DEP_1) | instskip(NEXT) | instid1(VALU_DEP_1)
	v_add_f64 v[0:1], v[0:1], v[14:15]
	v_mul_f64 v[6:7], v[12:13], v[0:1]
.LBB158_40:                             ; =>This Inner Loop Header: Depth=1
	s_waitcnt vmcnt(0)
	s_delay_alu instid0(VALU_DEP_1)
	v_add_f64 v[0:1], v[2:3], v[6:7]
	global_atomic_cmpswap_b64 v[0:1], v[4:5], v[0:3], off glc
	s_waitcnt vmcnt(0)
	v_cmp_eq_u64_e32 vcc_lo, v[0:1], v[2:3]
	v_dual_mov_b32 v3, v1 :: v_dual_mov_b32 v2, v0
	s_or_b32 s0, vcc_lo, s0
	s_delay_alu instid0(SALU_CYCLE_1)
	s_and_not1_b32 exec_lo, exec_lo, s0
	s_cbranch_execnz .LBB158_40
.LBB158_41:
	s_endpgm
	.section	.rodata,"a",@progbits
	.p2align	6, 0x0
	.amdhsa_kernel _ZL62rocblas_symv_kernel_upper_double_buffered_non_diagonal_genericILi32ELi8ELi2ELi0E24rocblas_internal_val_ptrIdEPKPKdPKPdEvbiT3_lT4_lllSA_lllT5_lllii
		.amdhsa_group_segment_fixed_size 8448
		.amdhsa_private_segment_fixed_size 0
		.amdhsa_kernarg_size 384
		.amdhsa_user_sgpr_count 13
		.amdhsa_user_sgpr_dispatch_ptr 0
		.amdhsa_user_sgpr_queue_ptr 0
		.amdhsa_user_sgpr_kernarg_segment_ptr 1
		.amdhsa_user_sgpr_dispatch_id 0
		.amdhsa_user_sgpr_private_segment_size 0
		.amdhsa_wavefront_size32 1
		.amdhsa_uses_dynamic_stack 0
		.amdhsa_enable_private_segment 0
		.amdhsa_system_sgpr_workgroup_id_x 1
		.amdhsa_system_sgpr_workgroup_id_y 1
		.amdhsa_system_sgpr_workgroup_id_z 1
		.amdhsa_system_sgpr_workgroup_info 0
		.amdhsa_system_vgpr_workitem_id 1
		.amdhsa_next_free_vgpr 56
		.amdhsa_next_free_sgpr 28
		.amdhsa_reserve_vcc 1
		.amdhsa_float_round_mode_32 0
		.amdhsa_float_round_mode_16_64 0
		.amdhsa_float_denorm_mode_32 3
		.amdhsa_float_denorm_mode_16_64 3
		.amdhsa_dx10_clamp 1
		.amdhsa_ieee_mode 1
		.amdhsa_fp16_overflow 0
		.amdhsa_workgroup_processor_mode 1
		.amdhsa_memory_ordered 1
		.amdhsa_forward_progress 0
		.amdhsa_shared_vgpr_count 0
		.amdhsa_exception_fp_ieee_invalid_op 0
		.amdhsa_exception_fp_denorm_src 0
		.amdhsa_exception_fp_ieee_div_zero 0
		.amdhsa_exception_fp_ieee_overflow 0
		.amdhsa_exception_fp_ieee_underflow 0
		.amdhsa_exception_fp_ieee_inexact 0
		.amdhsa_exception_int_div_zero 0
	.end_amdhsa_kernel
	.section	.text._ZL62rocblas_symv_kernel_upper_double_buffered_non_diagonal_genericILi32ELi8ELi2ELi0E24rocblas_internal_val_ptrIdEPKPKdPKPdEvbiT3_lT4_lllSA_lllT5_lllii,"axG",@progbits,_ZL62rocblas_symv_kernel_upper_double_buffered_non_diagonal_genericILi32ELi8ELi2ELi0E24rocblas_internal_val_ptrIdEPKPKdPKPdEvbiT3_lT4_lllSA_lllT5_lllii,comdat
.Lfunc_end158:
	.size	_ZL62rocblas_symv_kernel_upper_double_buffered_non_diagonal_genericILi32ELi8ELi2ELi0E24rocblas_internal_val_ptrIdEPKPKdPKPdEvbiT3_lT4_lllSA_lllT5_lllii, .Lfunc_end158-_ZL62rocblas_symv_kernel_upper_double_buffered_non_diagonal_genericILi32ELi8ELi2ELi0E24rocblas_internal_val_ptrIdEPKPKdPKPdEvbiT3_lT4_lllSA_lllT5_lllii
                                        ; -- End function
	.section	.AMDGPU.csdata,"",@progbits
; Kernel info:
; codeLenInByte = 3132
; NumSgprs: 30
; NumVgprs: 56
; ScratchSize: 0
; MemoryBound: 1
; FloatMode: 240
; IeeeMode: 1
; LDSByteSize: 8448 bytes/workgroup (compile time only)
; SGPRBlocks: 3
; VGPRBlocks: 6
; NumSGPRsForWavesPerEU: 30
; NumVGPRsForWavesPerEU: 56
; Occupancy: 16
; WaveLimiterHint : 1
; COMPUTE_PGM_RSRC2:SCRATCH_EN: 0
; COMPUTE_PGM_RSRC2:USER_SGPR: 13
; COMPUTE_PGM_RSRC2:TRAP_HANDLER: 0
; COMPUTE_PGM_RSRC2:TGID_X_EN: 1
; COMPUTE_PGM_RSRC2:TGID_Y_EN: 1
; COMPUTE_PGM_RSRC2:TGID_Z_EN: 1
; COMPUTE_PGM_RSRC2:TIDIG_COMP_CNT: 1
	.section	.text._ZL62rocblas_symv_kernel_upper_double_buffered_non_diagonal_genericILi32ELi8ELi2ELi1E24rocblas_internal_val_ptrIdEPKPKdPKPdEvbiT3_lT4_lllSA_lllT5_lllii,"axG",@progbits,_ZL62rocblas_symv_kernel_upper_double_buffered_non_diagonal_genericILi32ELi8ELi2ELi1E24rocblas_internal_val_ptrIdEPKPKdPKPdEvbiT3_lT4_lllSA_lllT5_lllii,comdat
	.globl	_ZL62rocblas_symv_kernel_upper_double_buffered_non_diagonal_genericILi32ELi8ELi2ELi1E24rocblas_internal_val_ptrIdEPKPKdPKPdEvbiT3_lT4_lllSA_lllT5_lllii ; -- Begin function _ZL62rocblas_symv_kernel_upper_double_buffered_non_diagonal_genericILi32ELi8ELi2ELi1E24rocblas_internal_val_ptrIdEPKPKdPKPdEvbiT3_lT4_lllSA_lllT5_lllii
	.p2align	8
	.type	_ZL62rocblas_symv_kernel_upper_double_buffered_non_diagonal_genericILi32ELi8ELi2ELi1E24rocblas_internal_val_ptrIdEPKPKdPKPdEvbiT3_lT4_lllSA_lllT5_lllii,@function
_ZL62rocblas_symv_kernel_upper_double_buffered_non_diagonal_genericILi32ELi8ELi2ELi1E24rocblas_internal_val_ptrIdEPKPKdPKPdEvbiT3_lT4_lllSA_lllT5_lllii: ; @_ZL62rocblas_symv_kernel_upper_double_buffered_non_diagonal_genericILi32ELi8ELi2ELi1E24rocblas_internal_val_ptrIdEPKPKdPKPdEvbiT3_lT4_lllSA_lllT5_lllii
; %bb.0:
	s_clause 0x2
	s_load_b32 s2, s[0:1], 0x0
	s_load_b256 s[4:11], s[0:1], 0x8
	s_load_b64 s[16:17], s[0:1], 0x28
	s_mov_b32 s18, s15
	s_waitcnt lgkmcnt(0)
	s_bitcmp1_b32 s2, 0
	v_dual_mov_b32 v13, s5 :: v_dual_mov_b32 v12, s4
	s_cselect_b32 s2, -1, 0
	s_delay_alu instid0(SALU_CYCLE_1)
	s_and_b32 vcc_lo, exec_lo, s2
	s_cbranch_vccnz .LBB159_2
; %bb.1:
	s_mul_i32 s2, s18, s7
	s_mul_hi_u32 s3, s18, s6
	s_delay_alu instid0(SALU_CYCLE_1) | instskip(SKIP_1) | instid1(SALU_CYCLE_1)
	s_add_i32 s3, s3, s2
	s_mul_i32 s2, s18, s6
	s_lshl_b64 s[2:3], s[2:3], 3
	s_delay_alu instid0(SALU_CYCLE_1) | instskip(SKIP_1) | instid1(SALU_CYCLE_1)
	s_add_u32 s2, s4, s2
	s_addc_u32 s3, s5, s3
	v_dual_mov_b32 v1, s2 :: v_dual_mov_b32 v2, s3
	flat_load_b64 v[12:13], v[1:2]
.LBB159_2:
	s_mov_b32 s2, exec_lo
	s_waitcnt vmcnt(0) lgkmcnt(0)
	v_cmpx_neq_f64_e32 0, v[12:13]
	s_cbranch_execz .LBB159_65
; %bb.3:
	s_load_b32 s12, s[0:1], 0x84
	s_add_u32 s2, s0, 0x80
	s_addc_u32 s3, s1, 0
	s_cmp_eq_u32 s13, 0
	s_mov_b32 s19, 0
	s_waitcnt lgkmcnt(0)
	v_cvt_f32_u32_e32 v1, s12
	s_delay_alu instid0(VALU_DEP_1) | instskip(SKIP_2) | instid1(VALU_DEP_1)
	v_rcp_iflag_f32_e32 v1, v1
	s_waitcnt_depctr 0xfff
	v_mul_f32_e32 v1, 0x4f7ffffe, v1
	v_cvt_u32_f32_e32 v1, v1
	s_delay_alu instid0(VALU_DEP_1)
	v_readfirstlane_b32 s15, v1
	s_cbranch_scc1 .LBB159_65
; %bb.4:
	s_clause 0x1
	s_load_b128 s[4:7], s[0:1], 0x38
	s_load_b64 s[20:21], s[0:1], 0x58
	s_sub_i32 s22, 0, s12
	s_delay_alu instid0(SALU_CYCLE_1) | instskip(NEXT) | instid1(SALU_CYCLE_1)
	s_mul_i32 s22, s22, s15
	s_mul_hi_u32 s24, s15, s22
	s_lshl_b64 s[22:23], s[18:19], 3
	s_add_i32 s15, s15, s24
	s_add_u32 s18, s8, s22
	s_mul_hi_u32 s8, s13, s15
	s_addc_u32 s19, s9, s23
	s_mul_i32 s9, s8, s12
	s_waitcnt lgkmcnt(0)
	s_add_u32 s4, s4, s22
	s_addc_u32 s5, s5, s23
	s_add_u32 s20, s20, s22
	s_addc_u32 s21, s21, s23
	s_sub_i32 s9, s13, s9
	s_add_i32 s15, s8, 1
	s_sub_i32 s22, s9, s12
	s_cmp_ge_u32 s9, s12
	s_cselect_b32 s8, s15, s8
	s_cselect_b32 s9, s22, s9
	s_add_i32 s15, s8, 1
	s_cmp_ge_u32 s9, s12
	s_cselect_b32 s23, s15, s8
	s_add_i32 s8, s12, -1
	s_mov_b32 s22, s23
	s_cmp_lg_u32 s14, s8
	s_cbranch_scc1 .LBB159_6
; %bb.5:
	s_mul_i32 s8, s23, s12
	s_delay_alu instid0(SALU_CYCLE_1) | instskip(NEXT) | instid1(SALU_CYCLE_1)
	s_sub_i32 s8, s13, s8
	s_add_i32 s22, s8, s23
.LBB159_6:
	s_delay_alu instid0(SALU_CYCLE_1)
	s_cmp_eq_u32 s22, 0
	s_cbranch_scc1 .LBB159_65
; %bb.7:
	s_load_b64 s[26:27], s[4:5], 0x0
	s_load_b64 s[8:9], s[0:1], 0x48
	s_load_b32 s24, s[2:3], 0x0
	s_lshl_b64 s[2:3], s[6:7], 3
	s_load_b64 s[4:5], s[18:19], 0x0
	s_load_b64 s[18:19], s[20:21], 0x0
	v_and_b32_e32 v43, 0x3ff, v0
	v_bfe_u32 v1, v0, 10, 10
	s_delay_alu instid0(VALU_DEP_1) | instskip(SKIP_4) | instid1(SALU_CYCLE_1)
	v_lshl_add_u32 v0, v1, 5, v43
	s_waitcnt lgkmcnt(0)
	s_add_u32 s25, s26, s2
	s_addc_u32 s26, s27, s3
	s_lshl_b32 s12, s13, 5
	s_mul_i32 s2, s12, s9
	s_mul_hi_u32 s3, s12, s8
	s_ashr_i32 s15, s12, 31
	s_add_i32 s3, s3, s2
	s_mul_i32 s6, s15, s8
	s_mul_i32 s2, s12, s8
	s_add_i32 s3, s3, s6
	s_delay_alu instid0(SALU_CYCLE_1) | instskip(NEXT) | instid1(SALU_CYCLE_1)
	s_lshl_b64 s[2:3], s[2:3], 3
	s_add_u32 s6, s25, s2
	s_addc_u32 s7, s26, s3
	s_add_i32 s20, s24, -1
	v_cmp_eq_u32_e64 s2, 0, v1
	s_cmp_lg_u32 s13, s20
	s_mov_b32 s24, -1
	s_cselect_b32 s3, -1, 0
	s_delay_alu instid0(SALU_CYCLE_1)
	s_and_b32 vcc_lo, exec_lo, s3
	s_cbranch_vccz .LBB159_11
; %bb.8:
	s_and_saveexec_b32 s21, s2
	s_cbranch_execz .LBB159_10
; %bb.9:
	v_mad_u64_u32 v[1:2], null, v43, s8, 0
	s_delay_alu instid0(VALU_DEP_1) | instskip(NEXT) | instid1(VALU_DEP_1)
	v_mad_u64_u32 v[3:4], null, v43, s9, v[2:3]
	v_dual_mov_b32 v2, v3 :: v_dual_lshlrev_b32 v3, 3, v43
	s_delay_alu instid0(VALU_DEP_1) | instskip(NEXT) | instid1(VALU_DEP_1)
	v_lshlrev_b64 v[1:2], 3, v[1:2]
	v_add_co_u32 v1, vcc_lo, s6, v1
	s_delay_alu instid0(VALU_DEP_2)
	v_add_co_ci_u32_e32 v2, vcc_lo, s7, v2, vcc_lo
	global_load_b64 v[1:2], v[1:2], off
	s_waitcnt vmcnt(0)
	ds_store_b64 v3, v[1:2] offset:8192
.LBB159_10:
	s_or_b32 exec_lo, exec_lo, s21
	s_mov_b32 s24, 0
.LBB159_11:
	s_load_b32 s21, s[0:1], 0x78
	v_and_b32_e32 v14, 15, v43
	v_lshrrev_b32_e32 v4, 4, v0
	s_and_not1_b32 vcc_lo, exec_lo, s24
	s_cbranch_vccnz .LBB159_17
; %bb.12:
	s_and_saveexec_b32 s24, s2
	s_cbranch_execz .LBB159_16
; %bb.13:
	v_mov_b32_e32 v0, 0
	v_mov_b32_e32 v1, 0
	s_mov_b32 s27, exec_lo
	s_waitcnt lgkmcnt(0)
	v_cmpx_gt_i32_e64 s21, v43
	s_cbranch_execz .LBB159_15
; %bb.14:
	v_mad_u64_u32 v[0:1], null, v43, s8, 0
	s_delay_alu instid0(VALU_DEP_1) | instskip(NEXT) | instid1(VALU_DEP_1)
	v_mad_u64_u32 v[2:3], null, v43, s9, v[1:2]
	v_mov_b32_e32 v1, v2
	s_delay_alu instid0(VALU_DEP_1) | instskip(NEXT) | instid1(VALU_DEP_1)
	v_lshlrev_b64 v[0:1], 3, v[0:1]
	v_add_co_u32 v0, vcc_lo, s6, v0
	s_delay_alu instid0(VALU_DEP_2)
	v_add_co_ci_u32_e32 v1, vcc_lo, s7, v1, vcc_lo
	global_load_b64 v[0:1], v[0:1], off
.LBB159_15:
	s_or_b32 exec_lo, exec_lo, s27
	v_lshlrev_b32_e32 v2, 3, v43
	s_waitcnt vmcnt(0)
	ds_store_b64 v2, v[0:1] offset:8192
.LBB159_16:
	s_or_b32 exec_lo, exec_lo, s24
	s_mov_b32 s6, 0
	s_delay_alu instid0(SALU_CYCLE_1) | instskip(SKIP_1) | instid1(VALU_DEP_1)
	s_mov_b32 s7, s6
	v_lshlrev_b32_e32 v0, 3, v14
	v_lshl_or_b32 v2, v4, 8, v0
	v_dual_mov_b32 v0, s6 :: v_dual_mov_b32 v1, s7
	s_delay_alu instid0(VALU_DEP_2)
	v_add_nc_u32_e32 v3, 0x1000, v2
	ds_store_2addr_b64 v2, v[0:1], v[0:1] offset1:16
	ds_store_2addr_b64 v3, v[0:1], v[0:1] offset1:16
.LBB159_17:
	s_delay_alu instid0(VALU_DEP_1)
	v_lshlrev_b32_e32 v5, 1, v4
	v_mov_b32_e32 v15, 0
	s_waitcnt lgkmcnt(0)
	s_lshr_b32 s6, s21, 31
	s_mul_i32 s14, s14, s23
	s_add_i32 s24, s21, s6
	s_lshl_b64 s[6:7], s[10:11], 3
	v_mad_u64_u32 v[0:1], null, v5, s16, v[14:15]
	s_ashr_i32 s27, s24, 1
	s_add_u32 s6, s4, s6
	s_mul_i32 s4, s12, s17
	s_mul_hi_u32 s10, s12, s16
	s_addc_u32 s7, s5, s7
	s_add_i32 s4, s10, s4
	s_delay_alu instid0(VALU_DEP_1) | instskip(SKIP_4) | instid1(SALU_CYCLE_1)
	v_mad_u64_u32 v[2:3], null, v5, s17, v[1:2]
	s_mul_i32 s5, s15, s16
	v_cndmask_b32_e64 v44, 0, 1, s3
	s_add_i32 s5, s4, s5
	s_mul_i32 s4, s12, s16
	s_lshl_b64 s[4:5], s[4:5], 3
	s_delay_alu instid0(VALU_DEP_2)
	v_mov_b32_e32 v1, v2
	s_add_u32 s6, s6, s4
	s_addc_u32 s7, s7, s5
	s_lshl_b32 s10, s14, 5
	s_barrier
	s_ashr_i32 s11, s10, 31
	v_lshlrev_b64 v[15:16], 3, v[0:1]
	s_lshl_b64 s[4:5], s[10:11], 3
	buffer_gl0_inv
	s_add_u32 s23, s6, s4
	s_addc_u32 s24, s7, s5
	s_and_not1_b32 vcc_lo, exec_lo, s3
	s_cbranch_vccnz .LBB159_19
; %bb.18:
	v_add_co_u32 v0, vcc_lo, s23, v15
	v_add_co_ci_u32_e32 v1, vcc_lo, s24, v16, vcc_lo
	s_lshl_b64 s[4:5], s[16:17], 3
	s_delay_alu instid0(VALU_DEP_2) | instid1(SALU_CYCLE_1)
	v_add_co_u32 v2, vcc_lo, v0, s4
	s_delay_alu instid0(VALU_DEP_2)
	v_add_co_ci_u32_e32 v3, vcc_lo, s5, v1, vcc_lo
	s_clause 0x1
	global_load_b64 v[0:1], v[0:1], off
	global_load_b64 v[2:3], v[2:3], off
	v_cmp_le_i32_e64 s3, s27, v4
	s_cbranch_execz .LBB159_20
	s_branch .LBB159_27
.LBB159_19:
                                        ; implicit-def: $vgpr0_vgpr1_vgpr2_vgpr3
	v_cmp_le_i32_e64 s3, s27, v4
.LBB159_20:
                                        ; implicit-def: $vgpr0_vgpr1_vgpr2_vgpr3
	s_delay_alu instid0(VALU_DEP_1) | instskip(NEXT) | instid1(SALU_CYCLE_1)
	s_and_saveexec_b32 s4, s3
	s_xor_b32 s3, exec_lo, s4
	s_cbranch_execz .LBB159_24
; %bb.21:
	s_mov_b32 s4, 0
	s_delay_alu instid0(SALU_CYCLE_1)
	s_mov_b32 s5, s4
	s_mov_b32 s6, s4
	;; [unrolled: 1-line block ×3, first 2 shown]
	s_waitcnt vmcnt(0)
	v_dual_mov_b32 v0, s4 :: v_dual_mov_b32 v1, s5
	v_dual_mov_b32 v2, s6 :: v_dual_mov_b32 v3, s7
	s_mov_b32 s4, exec_lo
	v_cmpx_eq_u32_e64 s27, v4
	s_cbranch_execz .LBB159_23
; %bb.22:
	v_add_co_u32 v0, vcc_lo, s23, v15
	v_add_co_ci_u32_e32 v1, vcc_lo, s24, v16, vcc_lo
	v_mov_b32_e32 v2, 0
	global_load_b64 v[0:1], v[0:1], off
	v_mov_b32_e32 v3, v2
.LBB159_23:
	s_or_b32 exec_lo, exec_lo, s4
.LBB159_24:
	s_and_not1_saveexec_b32 s3, s3
	s_cbranch_execz .LBB159_26
; %bb.25:
	s_waitcnt vmcnt(0)
	v_add_co_u32 v0, vcc_lo, s23, v15
	v_add_co_ci_u32_e32 v1, vcc_lo, s24, v16, vcc_lo
	s_lshl_b64 s[4:5], s[16:17], 3
	s_delay_alu instid0(VALU_DEP_2) | instid1(SALU_CYCLE_1)
	v_add_co_u32 v2, vcc_lo, v0, s4
	s_delay_alu instid0(VALU_DEP_2)
	v_add_co_ci_u32_e32 v3, vcc_lo, s5, v1, vcc_lo
	s_clause 0x1
	global_load_b64 v[0:1], v[0:1], off
	global_load_b64 v[2:3], v[2:3], off
.LBB159_26:
	s_or_b32 exec_lo, exec_lo, s3
.LBB159_27:
	s_load_b128 s[4:7], s[0:1], 0x60
	v_lshl_or_b32 v45, v4, 5, v14
	s_waitcnt lgkmcnt(0)
	s_lshl_b64 s[0:1], s[4:5], 3
	s_mov_b32 s4, 0
	s_add_u32 s3, s18, s0
	s_addc_u32 s14, s19, s1
	s_cmp_gt_i32 s22, 0
	s_cbranch_scc1 .LBB159_29
; %bb.28:
	v_lshl_or_b32 v6, v4, 5, v14
	s_mov_b64 s[0:1], 0
	s_delay_alu instid0(VALU_DEP_1)
	v_or_b32_e32 v46, 16, v6
	s_branch .LBB159_30
.LBB159_29:
	s_mov_b32 s4, -1
                                        ; implicit-def: $sgpr0_sgpr1
                                        ; implicit-def: $vgpr6
                                        ; implicit-def: $vgpr46
.LBB159_30:
	v_dual_mov_b32 v24, s1 :: v_dual_mov_b32 v23, s0
	v_dual_mov_b32 v22, s1 :: v_dual_mov_b32 v21, s0
	s_and_not1_b32 vcc_lo, exec_lo, s4
	s_cbranch_vccnz .LBB159_61
; %bb.31:
	v_mad_u64_u32 v[6:7], null, v14, s8, 0
	s_mul_i32 s0, s10, s9
	s_mul_hi_u32 s1, s10, s8
	s_mul_i32 s4, s11, s8
	s_add_i32 s1, s1, s0
	s_mul_i32 s0, s10, s8
	s_add_i32 s1, s1, s4
	s_delay_alu instid0(VALU_DEP_1)
	v_mad_u64_u32 v[8:9], null, v14, s9, v[7:8]
	s_lshl_b64 s[0:1], s[0:1], 3
	v_or_b32_e32 v21, 16, v14
	s_add_u32 s18, s25, s0
	s_addc_u32 s19, s26, s1
	s_mul_i32 s0, s10, s7
	s_mul_hi_u32 s1, s10, s6
	s_delay_alu instid0(VALU_DEP_2) | instskip(SKIP_3) | instid1(VALU_DEP_2)
	v_mov_b32_e32 v7, v8
	v_mad_u64_u32 v[8:9], null, v43, s6, 0
	s_add_i32 s0, s1, s0
	s_mul_i32 s1, s11, s6
	v_lshlrev_b64 v[17:18], 3, v[6:7]
	s_add_i32 s1, s0, s1
	s_mul_i32 s0, s10, s6
	v_lshl_add_u32 v48, v5, 3, 0x2000
	s_lshl_b64 s[0:1], s[0:1], 3
	v_or_b32_e32 v46, 16, v45
	v_add_co_u32 v6, vcc_lo, s18, v17
	v_add_co_ci_u32_e32 v7, vcc_lo, s19, v18, vcc_lo
	s_add_u32 s10, s3, s0
	s_addc_u32 s11, s14, s1
	v_cmp_le_i32_e64 s0, s27, v4
	global_load_b64 v[19:20], v[6:7], off
	v_mad_u64_u32 v[6:7], null, v21, s8, 0
	v_cmp_eq_u32_e64 s1, s27, v4
	s_lshl_b64 s[4:5], s[8:9], 8
	s_add_i32 s25, s22, -1
	s_mov_b32 s26, 0
	v_dual_mov_b32 v26, s11 :: v_dual_mov_b32 v25, s10
	s_delay_alu instid0(VALU_DEP_3) | instskip(SKIP_3) | instid1(VALU_DEP_1)
	v_mad_u64_u32 v[10:11], null, v21, s9, v[7:8]
	v_mov_b32_e32 v7, v9
	s_lshl_b64 s[8:9], s[6:7], 8
	s_lshl_b64 s[10:11], s[16:17], 3
	v_mad_u64_u32 v[21:22], null, v43, s7, v[7:8]
	s_delay_alu instid0(VALU_DEP_1) | instskip(SKIP_2) | instid1(VALU_DEP_2)
	v_mov_b32_e32 v9, v21
	v_mov_b32_e32 v21, 0
	v_dual_mov_b32 v22, 0 :: v_dual_mov_b32 v7, v10
	v_dual_mov_b32 v4, v21 :: v_dual_lshlrev_b32 v47, 3, v45
	v_lshlrev_b32_e32 v49, 3, v43
	v_lshlrev_b64 v[29:30], 3, v[8:9]
	s_delay_alu instid0(VALU_DEP_4)
	v_lshlrev_b64 v[27:28], 3, v[6:7]
	v_mov_b32_e32 v6, v21
	v_dual_mov_b32 v24, v22 :: v_dual_mov_b32 v23, v21
	v_mov_b32_e32 v7, v22
	v_mov_b32_e32 v5, v22
.LBB159_32:                             ; =>This Loop Header: Depth=1
                                        ;     Child Loop BB159_56 Depth 2
	v_add_co_u32 v8, vcc_lo, s18, v27
	v_add_co_ci_u32_e32 v9, vcc_lo, s19, v28, vcc_lo
	v_cmp_ne_u32_e32 vcc_lo, 1, v44
	global_load_b64 v[31:32], v[8:9], off
	s_cbranch_vccnz .LBB159_34
; %bb.33:                               ;   in Loop: Header=BB159_32 Depth=1
	v_add_co_u32 v8, vcc_lo, s23, v15
	v_add_co_ci_u32_e32 v9, vcc_lo, s24, v16, vcc_lo
	s_delay_alu instid0(VALU_DEP_2) | instskip(NEXT) | instid1(VALU_DEP_2)
	v_add_co_u32 v10, vcc_lo, v8, s10
	v_add_co_ci_u32_e32 v11, vcc_lo, s11, v9, vcc_lo
	s_clause 0x1
	global_load_b64 v[33:34], v[8:9], off offset:128
	global_load_b64 v[35:36], v[10:11], off offset:128
	s_cbranch_execz .LBB159_35
	s_branch .LBB159_42
.LBB159_34:                             ;   in Loop: Header=BB159_32 Depth=1
                                        ; implicit-def: $vgpr35_vgpr36
                                        ; implicit-def: $vgpr33_vgpr34
.LBB159_35:                             ;   in Loop: Header=BB159_32 Depth=1
	s_and_saveexec_b32 s16, s0
	s_delay_alu instid0(SALU_CYCLE_1)
	s_xor_b32 s16, exec_lo, s16
	s_cbranch_execz .LBB159_39
; %bb.36:                               ;   in Loop: Header=BB159_32 Depth=1
	s_and_saveexec_b32 s17, s1
	s_cbranch_execz .LBB159_38
; %bb.37:                               ;   in Loop: Header=BB159_32 Depth=1
	v_add_co_u32 v6, vcc_lo, s23, v15
	v_add_co_ci_u32_e32 v7, vcc_lo, s24, v16, vcc_lo
	global_load_b64 v[6:7], v[6:7], off offset:128
.LBB159_38:                             ;   in Loop: Header=BB159_32 Depth=1
	s_or_b32 exec_lo, exec_lo, s17
.LBB159_39:                             ;   in Loop: Header=BB159_32 Depth=1
	s_and_not1_saveexec_b32 s16, s16
; %bb.40:                               ;   in Loop: Header=BB159_32 Depth=1
	v_add_co_u32 v4, vcc_lo, s23, v15
	v_add_co_ci_u32_e32 v5, vcc_lo, s24, v16, vcc_lo
	s_delay_alu instid0(VALU_DEP_2) | instskip(NEXT) | instid1(VALU_DEP_2)
	v_add_co_u32 v8, vcc_lo, v4, s10
	v_add_co_ci_u32_e32 v9, vcc_lo, s11, v5, vcc_lo
	s_clause 0x1
	global_load_b64 v[6:7], v[4:5], off offset:128
	global_load_b64 v[4:5], v[8:9], off offset:128
; %bb.41:                               ;   in Loop: Header=BB159_32 Depth=1
	s_or_b32 exec_lo, exec_lo, s16
	s_waitcnt vmcnt(0)
	v_dual_mov_b32 v34, v7 :: v_dual_mov_b32 v33, v6
	v_dual_mov_b32 v36, v5 :: v_dual_mov_b32 v35, v4
.LBB159_42:                             ;   in Loop: Header=BB159_32 Depth=1
	ds_load_b128 v[8:11], v48
	s_waitcnt vmcnt(2)
	v_dual_mov_b32 v7, v3 :: v_dual_mov_b32 v6, v2
	s_waitcnt vmcnt(1)
	v_dual_mov_b32 v38, v20 :: v_dual_mov_b32 v37, v19
	v_dual_mov_b32 v5, v1 :: v_dual_mov_b32 v4, v0
	s_add_u32 s18, s18, s4
	s_addc_u32 s19, s19, s5
	s_cmp_eq_u32 s26, s25
	s_cbranch_scc1 .LBB159_54
; %bb.43:                               ;   in Loop: Header=BB159_32 Depth=1
	v_cmp_ne_u32_e32 vcc_lo, 1, v44
	s_cbranch_vccnz .LBB159_45
; %bb.44:                               ;   in Loop: Header=BB159_32 Depth=1
	v_add_co_u32 v4, vcc_lo, s23, v15
	v_add_co_ci_u32_e32 v5, vcc_lo, s24, v16, vcc_lo
	s_delay_alu instid0(VALU_DEP_2) | instskip(NEXT) | instid1(VALU_DEP_2)
	v_add_co_u32 v6, vcc_lo, v4, s10
	v_add_co_ci_u32_e32 v7, vcc_lo, s11, v5, vcc_lo
	s_clause 0x1
	global_load_b64 v[4:5], v[4:5], off offset:256
	global_load_b64 v[6:7], v[6:7], off offset:256
	s_cbranch_execz .LBB159_46
	s_branch .LBB159_53
.LBB159_45:                             ;   in Loop: Header=BB159_32 Depth=1
                                        ; implicit-def: $vgpr4_vgpr5_vgpr6_vgpr7
.LBB159_46:                             ;   in Loop: Header=BB159_32 Depth=1
                                        ; implicit-def: $vgpr4_vgpr5_vgpr6_vgpr7
	s_and_saveexec_b32 s16, s0
	s_delay_alu instid0(SALU_CYCLE_1)
	s_xor_b32 s16, exec_lo, s16
	s_cbranch_execz .LBB159_50
; %bb.47:                               ;   in Loop: Header=BB159_32 Depth=1
	s_waitcnt vmcnt(0)
	v_dual_mov_b32 v7, v3 :: v_dual_mov_b32 v6, v2
	v_dual_mov_b32 v5, v1 :: v_dual_mov_b32 v4, v0
	s_and_saveexec_b32 s17, s1
	s_cbranch_execz .LBB159_49
; %bb.48:                               ;   in Loop: Header=BB159_32 Depth=1
	v_add_co_u32 v4, vcc_lo, s23, v15
	v_add_co_ci_u32_e32 v5, vcc_lo, s24, v16, vcc_lo
	global_load_b64 v[37:38], v[4:5], off offset:256
	v_dual_mov_b32 v7, v3 :: v_dual_mov_b32 v6, v2
	v_dual_mov_b32 v5, v1 :: v_dual_mov_b32 v4, v0
	s_waitcnt vmcnt(0)
	v_dual_mov_b32 v4, v37 :: v_dual_mov_b32 v5, v38
.LBB159_49:                             ;   in Loop: Header=BB159_32 Depth=1
	s_or_b32 exec_lo, exec_lo, s17
.LBB159_50:                             ;   in Loop: Header=BB159_32 Depth=1
	s_and_not1_saveexec_b32 s16, s16
	s_cbranch_execz .LBB159_52
; %bb.51:                               ;   in Loop: Header=BB159_32 Depth=1
	s_waitcnt vmcnt(1)
	v_add_co_u32 v4, vcc_lo, s23, v15
	v_add_co_ci_u32_e32 v5, vcc_lo, s24, v16, vcc_lo
	s_waitcnt vmcnt(0)
	s_delay_alu instid0(VALU_DEP_2) | instskip(NEXT) | instid1(VALU_DEP_2)
	v_add_co_u32 v6, vcc_lo, v4, s10
	v_add_co_ci_u32_e32 v7, vcc_lo, s11, v5, vcc_lo
	s_clause 0x1
	global_load_b64 v[4:5], v[4:5], off offset:256
	global_load_b64 v[6:7], v[6:7], off offset:256
.LBB159_52:                             ;   in Loop: Header=BB159_32 Depth=1
	s_or_b32 exec_lo, exec_lo, s16
.LBB159_53:                             ;   in Loop: Header=BB159_32 Depth=1
	v_add_co_u32 v37, vcc_lo, s18, v17
	v_add_co_ci_u32_e32 v38, vcc_lo, s19, v18, vcc_lo
	global_load_b64 v[37:38], v[37:38], off
.LBB159_54:                             ;   in Loop: Header=BB159_32 Depth=1
	s_waitcnt lgkmcnt(0)
	v_fma_f64 v[39:40], v[0:1], v[8:9], 0
	v_fma_f64 v[8:9], v[33:34], v[8:9], 0
	s_waitcnt vmcnt(0)
	s_barrier
	buffer_gl0_inv
	v_fma_f64 v[39:40], v[2:3], v[10:11], v[39:40]
	v_fma_f64 v[8:9], v[35:36], v[10:11], v[8:9]
	ds_store_2addr_b64 v47, v[39:40], v[8:9] offset1:16
	s_waitcnt lgkmcnt(0)
	s_barrier
	buffer_gl0_inv
	s_and_saveexec_b32 s16, s2
	s_cbranch_execz .LBB159_58
; %bb.55:                               ;   in Loop: Header=BB159_32 Depth=1
	ds_load_2addr_b64 v[8:11], v49 offset1:32
	v_add_nc_u32_e32 v54, 0x800, v49
	s_mov_b32 s17, 0
	ds_load_2addr_b64 v[50:53], v54 offset0:64 offset1:96
	s_waitcnt lgkmcnt(1)
	v_add_f64 v[8:9], v[8:9], 0
	s_delay_alu instid0(VALU_DEP_1) | instskip(SKIP_3) | instid1(VALU_DEP_1)
	v_add_f64 v[39:40], v[8:9], v[10:11]
	ds_load_2addr_b64 v[8:11], v49 offset0:64 offset1:96
	s_waitcnt lgkmcnt(0)
	v_add_f64 v[8:9], v[39:40], v[8:9]
	v_add_f64 v[39:40], v[8:9], v[10:11]
	ds_load_2addr_b64 v[8:11], v49 offset0:128 offset1:160
	s_waitcnt lgkmcnt(0)
	v_add_f64 v[8:9], v[39:40], v[8:9]
	s_delay_alu instid0(VALU_DEP_1)
	v_add_f64 v[39:40], v[8:9], v[10:11]
	ds_load_2addr_b64 v[8:11], v49 offset0:192 offset1:224
	s_waitcnt lgkmcnt(0)
	v_add_f64 v[8:9], v[39:40], v[8:9]
	ds_load_2addr_b64 v[39:42], v54 offset1:32
	v_add_f64 v[8:9], v[8:9], v[10:11]
	s_waitcnt lgkmcnt(0)
	s_delay_alu instid0(VALU_DEP_1) | instskip(SKIP_4) | instid1(VALU_DEP_1)
	v_add_f64 v[8:9], v[8:9], v[39:40]
	v_add_co_u32 v39, vcc_lo, v25, v29
	v_add_co_ci_u32_e32 v40, vcc_lo, v26, v30, vcc_lo
	global_load_b64 v[10:11], v[39:40], off
	v_add_f64 v[8:9], v[8:9], v[41:42]
	v_add_f64 v[8:9], v[8:9], v[50:51]
	s_delay_alu instid0(VALU_DEP_1) | instskip(SKIP_3) | instid1(VALU_DEP_1)
	v_add_f64 v[8:9], v[8:9], v[52:53]
	ds_load_2addr_b64 v[50:53], v54 offset0:128 offset1:160
	s_waitcnt lgkmcnt(0)
	v_add_f64 v[8:9], v[8:9], v[50:51]
	v_add_f64 v[8:9], v[8:9], v[52:53]
	ds_load_2addr_b64 v[50:53], v54 offset0:192 offset1:224
	s_waitcnt lgkmcnt(0)
	v_add_f64 v[8:9], v[8:9], v[50:51]
	s_delay_alu instid0(VALU_DEP_1) | instskip(NEXT) | instid1(VALU_DEP_1)
	v_add_f64 v[8:9], v[8:9], v[52:53]
	v_mul_f64 v[41:42], v[12:13], v[8:9]
.LBB159_56:                             ;   Parent Loop BB159_32 Depth=1
                                        ; =>  This Inner Loop Header: Depth=2
	s_waitcnt vmcnt(0)
	s_delay_alu instid0(VALU_DEP_1)
	v_add_f64 v[8:9], v[10:11], v[41:42]
	global_atomic_cmpswap_b64 v[8:9], v[39:40], v[8:11], off glc
	s_waitcnt vmcnt(0)
	v_cmp_eq_u64_e32 vcc_lo, v[8:9], v[10:11]
	v_dual_mov_b32 v11, v9 :: v_dual_mov_b32 v10, v8
	s_or_b32 s17, vcc_lo, s17
	s_delay_alu instid0(SALU_CYCLE_1)
	s_and_not1_b32 exec_lo, exec_lo, s17
	s_cbranch_execnz .LBB159_56
; %bb.57:                               ;   in Loop: Header=BB159_32 Depth=1
	s_or_b32 exec_lo, exec_lo, s17
	v_add_co_u32 v25, vcc_lo, v25, s8
	v_add_co_ci_u32_e32 v26, vcc_lo, s9, v26, vcc_lo
.LBB159_58:                             ;   in Loop: Header=BB159_32 Depth=1
	s_or_b32 exec_lo, exec_lo, s16
	v_fma_f64 v[0:1], v[19:20], v[0:1], v[21:22]
	v_fma_f64 v[2:3], v[19:20], v[2:3], v[23:24]
	s_add_u32 s23, s23, 0x100
	s_addc_u32 s24, s24, 0
	s_add_i32 s26, s26, 1
	s_delay_alu instid0(SALU_CYCLE_1) | instskip(NEXT) | instid1(VALU_DEP_2)
	s_cmp_eq_u32 s26, s22
	v_fma_f64 v[21:22], v[31:32], v[33:34], v[0:1]
	s_delay_alu instid0(VALU_DEP_2)
	v_fma_f64 v[23:24], v[31:32], v[35:36], v[2:3]
	s_cbranch_scc1 .LBB159_60
; %bb.59:                               ;   in Loop: Header=BB159_32 Depth=1
	v_dual_mov_b32 v0, v4 :: v_dual_mov_b32 v1, v5
	v_dual_mov_b32 v19, v37 :: v_dual_mov_b32 v20, v38
	v_dual_mov_b32 v2, v6 :: v_dual_mov_b32 v3, v7
	v_dual_mov_b32 v6, v33 :: v_dual_mov_b32 v7, v34
	v_dual_mov_b32 v4, v35 :: v_dual_mov_b32 v5, v36
	s_branch .LBB159_32
.LBB159_60:
	v_mov_b32_e32 v6, v45
.LBB159_61:
	s_waitcnt vmcnt(0)
	s_delay_alu instid0(VALU_DEP_1)
	v_lshlrev_b32_e32 v0, 3, v6
	v_lshlrev_b32_e32 v1, 3, v46
	ds_store_b64 v0, v[21:22] offset:4096
	ds_store_b64 v1, v[23:24] offset:4096
	s_waitcnt lgkmcnt(0)
	s_barrier
	buffer_gl0_inv
	s_and_b32 exec_lo, exec_lo, s2
	s_cbranch_execz .LBB159_65
; %bb.62:
	v_cmp_gt_i32_e32 vcc_lo, s21, v43
	s_cmp_lt_u32 s13, s20
	s_cselect_b32 s0, -1, 0
	s_delay_alu instid0(SALU_CYCLE_1) | instskip(NEXT) | instid1(SALU_CYCLE_1)
	s_or_b32 s0, vcc_lo, s0
	s_and_b32 exec_lo, exec_lo, s0
	s_cbranch_execz .LBB159_65
; %bb.63:
	v_lshlrev_b32_e32 v11, 4, v43
	v_add_nc_u32_e32 v2, 1, v43
	v_add_nc_u32_e32 v3, 2, v43
	;; [unrolled: 1-line block ×3, first 2 shown]
	s_mul_i32 s0, s12, s7
	v_or_b32_e32 v10, v14, v11
	v_and_or_b32 v2, v2, 15, v11
	v_and_or_b32 v3, v3, 15, v11
	;; [unrolled: 1-line block ×3, first 2 shown]
	s_mul_hi_u32 s1, s12, s6
	v_lshlrev_b32_e32 v0, 3, v10
	v_lshlrev_b32_e32 v2, 3, v2
	;; [unrolled: 1-line block ×4, first 2 shown]
	s_add_i32 s0, s1, s0
	ds_load_b64 v[0:1], v0 offset:4096
	ds_load_b64 v[2:3], v2 offset:4096
	;; [unrolled: 1-line block ×4, first 2 shown]
	s_mul_i32 s1, s15, s6
	s_delay_alu instid0(SALU_CYCLE_1) | instskip(SKIP_1) | instid1(SALU_CYCLE_1)
	s_add_i32 s1, s0, s1
	s_mul_i32 s0, s12, s6
	s_lshl_b64 s[0:1], s[0:1], 3
	s_delay_alu instid0(SALU_CYCLE_1) | instskip(SKIP_4) | instid1(VALU_DEP_1)
	s_add_u32 s0, s3, s0
	s_addc_u32 s1, s14, s1
	s_waitcnt lgkmcnt(3)
	v_add_f64 v[0:1], v[0:1], 0
	s_waitcnt lgkmcnt(2)
	v_add_f64 v[0:1], v[0:1], v[2:3]
	v_add_nc_u32_e32 v2, 4, v43
	s_delay_alu instid0(VALU_DEP_1) | instskip(NEXT) | instid1(VALU_DEP_1)
	v_and_or_b32 v2, v2, 15, v11
	v_lshlrev_b32_e32 v2, 3, v2
	ds_load_b64 v[2:3], v2 offset:4096
	s_waitcnt lgkmcnt(2)
	v_add_f64 v[0:1], v[0:1], v[4:5]
	v_add_nc_u32_e32 v4, 5, v43
	v_add_nc_u32_e32 v5, 6, v43
	s_delay_alu instid0(VALU_DEP_2) | instskip(NEXT) | instid1(VALU_DEP_2)
	v_and_or_b32 v4, v4, 15, v11
	v_and_or_b32 v5, v5, 15, v11
	s_delay_alu instid0(VALU_DEP_2) | instskip(SKIP_4) | instid1(VALU_DEP_2)
	v_lshlrev_b32_e32 v4, 3, v4
	s_waitcnt lgkmcnt(1)
	v_add_f64 v[0:1], v[0:1], v[6:7]
	v_add_nc_u32_e32 v6, 7, v43
	v_lshlrev_b32_e32 v7, 3, v5
	v_and_or_b32 v6, v6, 15, v11
	s_delay_alu instid0(VALU_DEP_1)
	v_lshlrev_b32_e32 v8, 3, v6
	ds_load_b64 v[4:5], v4 offset:4096
	ds_load_b64 v[6:7], v7 offset:4096
	;; [unrolled: 1-line block ×3, first 2 shown]
	s_waitcnt lgkmcnt(3)
	v_add_f64 v[0:1], v[0:1], v[2:3]
	v_xor_b32_e32 v2, 8, v10
	s_delay_alu instid0(VALU_DEP_1)
	v_lshlrev_b32_e32 v2, 3, v2
	ds_load_b64 v[2:3], v2 offset:4096
	s_waitcnt lgkmcnt(3)
	v_add_f64 v[0:1], v[0:1], v[4:5]
	v_mad_u64_u32 v[4:5], null, v43, s6, 0
	s_waitcnt lgkmcnt(2)
	s_delay_alu instid0(VALU_DEP_2) | instskip(SKIP_2) | instid1(VALU_DEP_2)
	v_add_f64 v[0:1], v[0:1], v[6:7]
	v_add_nc_u32_e32 v6, 9, v43
	v_add_nc_u32_e32 v7, 10, v43
	v_and_or_b32 v6, v6, 15, v11
	s_delay_alu instid0(VALU_DEP_2) | instskip(NEXT) | instid1(VALU_DEP_1)
	v_and_or_b32 v7, v7, 15, v11
	v_lshlrev_b32_e32 v10, 3, v7
	s_waitcnt lgkmcnt(1)
	v_add_f64 v[0:1], v[0:1], v[8:9]
	v_lshlrev_b32_e32 v9, 3, v6
	v_mad_u64_u32 v[6:7], null, v43, s7, v[5:6]
	v_add_nc_u32_e32 v8, 11, v43
	s_delay_alu instid0(VALU_DEP_1) | instskip(NEXT) | instid1(VALU_DEP_3)
	v_and_or_b32 v8, v8, 15, v11
	v_dual_mov_b32 v5, v6 :: v_dual_add_nc_u32 v6, 12, v43
	s_delay_alu instid0(VALU_DEP_2) | instskip(SKIP_4) | instid1(VALU_DEP_1)
	v_lshlrev_b32_e32 v14, 3, v8
	ds_load_b64 v[7:8], v9 offset:4096
	ds_load_b64 v[9:10], v10 offset:4096
	;; [unrolled: 1-line block ×3, first 2 shown]
	v_and_or_b32 v6, v6, 15, v11
	v_lshlrev_b32_e32 v6, 3, v6
	s_waitcnt lgkmcnt(3)
	v_add_f64 v[0:1], v[0:1], v[2:3]
	v_lshlrev_b64 v[2:3], 3, v[4:5]
	s_delay_alu instid0(VALU_DEP_1) | instskip(NEXT) | instid1(VALU_DEP_2)
	v_add_co_u32 v4, vcc_lo, s0, v2
	v_add_co_ci_u32_e32 v5, vcc_lo, s1, v3, vcc_lo
	s_mov_b32 s0, 0
	global_load_b64 v[2:3], v[4:5], off
	s_waitcnt lgkmcnt(2)
	v_add_f64 v[0:1], v[0:1], v[7:8]
	ds_load_b64 v[6:7], v6 offset:4096
	v_add_nc_u32_e32 v8, 13, v43
	s_delay_alu instid0(VALU_DEP_1) | instskip(NEXT) | instid1(VALU_DEP_1)
	v_and_or_b32 v8, v8, 15, v11
	v_lshlrev_b32_e32 v8, 3, v8
	s_waitcnt lgkmcnt(2)
	v_add_f64 v[0:1], v[0:1], v[9:10]
	v_add_nc_u32_e32 v9, 14, v43
	v_add_nc_u32_e32 v10, -1, v43
	s_delay_alu instid0(VALU_DEP_2) | instskip(NEXT) | instid1(VALU_DEP_2)
	v_and_or_b32 v9, v9, 15, v11
	v_and_or_b32 v10, v10, 15, v11
	s_delay_alu instid0(VALU_DEP_2) | instskip(SKIP_2) | instid1(VALU_DEP_3)
	v_lshlrev_b32_e32 v11, 3, v9
	s_waitcnt lgkmcnt(1)
	v_add_f64 v[0:1], v[0:1], v[14:15]
	v_lshlrev_b32_e32 v14, 3, v10
	ds_load_b64 v[8:9], v8 offset:4096
	ds_load_b64 v[10:11], v11 offset:4096
	;; [unrolled: 1-line block ×3, first 2 shown]
	s_waitcnt lgkmcnt(3)
	v_add_f64 v[0:1], v[0:1], v[6:7]
	s_waitcnt lgkmcnt(2)
	s_delay_alu instid0(VALU_DEP_1) | instskip(SKIP_1) | instid1(VALU_DEP_1)
	v_add_f64 v[0:1], v[0:1], v[8:9]
	s_waitcnt lgkmcnt(1)
	v_add_f64 v[0:1], v[0:1], v[10:11]
	s_waitcnt lgkmcnt(0)
	s_delay_alu instid0(VALU_DEP_1) | instskip(NEXT) | instid1(VALU_DEP_1)
	v_add_f64 v[0:1], v[0:1], v[14:15]
	v_mul_f64 v[6:7], v[12:13], v[0:1]
.LBB159_64:                             ; =>This Inner Loop Header: Depth=1
	s_waitcnt vmcnt(0)
	s_delay_alu instid0(VALU_DEP_1)
	v_add_f64 v[0:1], v[2:3], v[6:7]
	global_atomic_cmpswap_b64 v[0:1], v[4:5], v[0:3], off glc
	s_waitcnt vmcnt(0)
	v_cmp_eq_u64_e32 vcc_lo, v[0:1], v[2:3]
	v_dual_mov_b32 v3, v1 :: v_dual_mov_b32 v2, v0
	s_or_b32 s0, vcc_lo, s0
	s_delay_alu instid0(SALU_CYCLE_1)
	s_and_not1_b32 exec_lo, exec_lo, s0
	s_cbranch_execnz .LBB159_64
.LBB159_65:
	s_endpgm
	.section	.rodata,"a",@progbits
	.p2align	6, 0x0
	.amdhsa_kernel _ZL62rocblas_symv_kernel_upper_double_buffered_non_diagonal_genericILi32ELi8ELi2ELi1E24rocblas_internal_val_ptrIdEPKPKdPKPdEvbiT3_lT4_lllSA_lllT5_lllii
		.amdhsa_group_segment_fixed_size 8448
		.amdhsa_private_segment_fixed_size 0
		.amdhsa_kernarg_size 384
		.amdhsa_user_sgpr_count 13
		.amdhsa_user_sgpr_dispatch_ptr 0
		.amdhsa_user_sgpr_queue_ptr 0
		.amdhsa_user_sgpr_kernarg_segment_ptr 1
		.amdhsa_user_sgpr_dispatch_id 0
		.amdhsa_user_sgpr_private_segment_size 0
		.amdhsa_wavefront_size32 1
		.amdhsa_uses_dynamic_stack 0
		.amdhsa_enable_private_segment 0
		.amdhsa_system_sgpr_workgroup_id_x 1
		.amdhsa_system_sgpr_workgroup_id_y 1
		.amdhsa_system_sgpr_workgroup_id_z 1
		.amdhsa_system_sgpr_workgroup_info 0
		.amdhsa_system_vgpr_workitem_id 1
		.amdhsa_next_free_vgpr 55
		.amdhsa_next_free_sgpr 28
		.amdhsa_reserve_vcc 1
		.amdhsa_float_round_mode_32 0
		.amdhsa_float_round_mode_16_64 0
		.amdhsa_float_denorm_mode_32 3
		.amdhsa_float_denorm_mode_16_64 3
		.amdhsa_dx10_clamp 1
		.amdhsa_ieee_mode 1
		.amdhsa_fp16_overflow 0
		.amdhsa_workgroup_processor_mode 1
		.amdhsa_memory_ordered 1
		.amdhsa_forward_progress 0
		.amdhsa_shared_vgpr_count 0
		.amdhsa_exception_fp_ieee_invalid_op 0
		.amdhsa_exception_fp_denorm_src 0
		.amdhsa_exception_fp_ieee_div_zero 0
		.amdhsa_exception_fp_ieee_overflow 0
		.amdhsa_exception_fp_ieee_underflow 0
		.amdhsa_exception_fp_ieee_inexact 0
		.amdhsa_exception_int_div_zero 0
	.end_amdhsa_kernel
	.section	.text._ZL62rocblas_symv_kernel_upper_double_buffered_non_diagonal_genericILi32ELi8ELi2ELi1E24rocblas_internal_val_ptrIdEPKPKdPKPdEvbiT3_lT4_lllSA_lllT5_lllii,"axG",@progbits,_ZL62rocblas_symv_kernel_upper_double_buffered_non_diagonal_genericILi32ELi8ELi2ELi1E24rocblas_internal_val_ptrIdEPKPKdPKPdEvbiT3_lT4_lllSA_lllT5_lllii,comdat
.Lfunc_end159:
	.size	_ZL62rocblas_symv_kernel_upper_double_buffered_non_diagonal_genericILi32ELi8ELi2ELi1E24rocblas_internal_val_ptrIdEPKPKdPKPdEvbiT3_lT4_lllSA_lllT5_lllii, .Lfunc_end159-_ZL62rocblas_symv_kernel_upper_double_buffered_non_diagonal_genericILi32ELi8ELi2ELi1E24rocblas_internal_val_ptrIdEPKPKdPKPdEvbiT3_lT4_lllSA_lllT5_lllii
                                        ; -- End function
	.section	.AMDGPU.csdata,"",@progbits
; Kernel info:
; codeLenInByte = 3584
; NumSgprs: 30
; NumVgprs: 55
; ScratchSize: 0
; MemoryBound: 1
; FloatMode: 240
; IeeeMode: 1
; LDSByteSize: 8448 bytes/workgroup (compile time only)
; SGPRBlocks: 3
; VGPRBlocks: 6
; NumSGPRsForWavesPerEU: 30
; NumVGPRsForWavesPerEU: 55
; Occupancy: 16
; WaveLimiterHint : 1
; COMPUTE_PGM_RSRC2:SCRATCH_EN: 0
; COMPUTE_PGM_RSRC2:USER_SGPR: 13
; COMPUTE_PGM_RSRC2:TRAP_HANDLER: 0
; COMPUTE_PGM_RSRC2:TGID_X_EN: 1
; COMPUTE_PGM_RSRC2:TGID_Y_EN: 1
; COMPUTE_PGM_RSRC2:TGID_Z_EN: 1
; COMPUTE_PGM_RSRC2:TIDIG_COMP_CNT: 1
	.section	.text._ZL26rocblas_hemvn_kernel_upperILb0ELi64ELi4ELi33ELi32ELi16ElPKdPKS1_PdEviT6_lT7_lT5_lS6_lS7_lS5_lT8_i,"axG",@progbits,_ZL26rocblas_hemvn_kernel_upperILb0ELi64ELi4ELi33ELi32ELi16ElPKdPKS1_PdEviT6_lT7_lT5_lS6_lS7_lS5_lT8_i,comdat
	.globl	_ZL26rocblas_hemvn_kernel_upperILb0ELi64ELi4ELi33ELi32ELi16ElPKdPKS1_PdEviT6_lT7_lT5_lS6_lS7_lS5_lT8_i ; -- Begin function _ZL26rocblas_hemvn_kernel_upperILb0ELi64ELi4ELi33ELi32ELi16ElPKdPKS1_PdEviT6_lT7_lT5_lS6_lS7_lS5_lT8_i
	.p2align	8
	.type	_ZL26rocblas_hemvn_kernel_upperILb0ELi64ELi4ELi33ELi32ELi16ElPKdPKS1_PdEviT6_lT7_lT5_lS6_lS7_lS5_lT8_i,@function
_ZL26rocblas_hemvn_kernel_upperILb0ELi64ELi4ELi33ELi32ELi16ElPKdPKS1_PdEviT6_lT7_lT5_lS6_lS7_lS5_lT8_i: ; @_ZL26rocblas_hemvn_kernel_upperILb0ELi64ELi4ELi33ELi32ELi16ElPKdPKS1_PdEviT6_lT7_lT5_lS6_lS7_lS5_lT8_i
; %bb.0:
	s_load_b64 s[2:3], s[0:1], 0x84
	s_add_u32 s20, s0, 0x78
	s_addc_u32 s21, s1, 0
	s_waitcnt lgkmcnt(0)
	s_lshr_b32 s4, s2, 16
	s_and_b32 s2, s2, 0xffff
	s_and_b32 s3, s3, 0xffff
	s_mul_i32 s2, s4, s2
	s_delay_alu instid0(SALU_CYCLE_1) | instskip(NEXT) | instid1(SALU_CYCLE_1)
	s_mul_i32 s2, s2, s3
	s_cmpk_lg_i32 s2, 0x100
	s_cbranch_scc1 .LBB160_6
; %bb.1:
	s_clause 0x1
	s_load_b256 s[4:11], s[0:1], 0x8
	s_load_b128 s[24:27], s[0:1], 0x58
	s_mov_b32 s18, s15
	s_waitcnt lgkmcnt(0)
	s_mul_i32 s3, s15, s7
	s_mul_hi_u32 s7, s15, s6
	s_mul_i32 s2, s15, s6
	s_add_i32 s3, s7, s3
	s_mul_i32 s6, s15, s27
	s_lshl_b64 s[2:3], s[2:3], 3
	s_mul_hi_u32 s7, s15, s26
	s_add_u32 s2, s4, s2
	s_addc_u32 s3, s5, s3
	s_add_i32 s5, s7, s6
	s_mul_i32 s4, s15, s26
	s_delay_alu instid0(SALU_CYCLE_1) | instskip(NEXT) | instid1(SALU_CYCLE_1)
	s_lshl_b64 s[4:5], s[4:5], 3
	s_add_u32 s6, s24, s4
	s_addc_u32 s7, s25, s5
	s_load_b64 s[4:5], s[2:3], 0x0
	s_load_b64 s[2:3], s[6:7], 0x0
	s_waitcnt lgkmcnt(0)
	v_cmp_eq_f64_e64 s6, s[4:5], 0
	v_cmp_eq_f64_e64 s2, s[2:3], 1.0
	s_delay_alu instid0(VALU_DEP_1) | instskip(NEXT) | instid1(SALU_CYCLE_1)
	s_and_b32 s2, s6, s2
	s_and_b32 vcc_lo, exec_lo, s2
	s_mov_b64 s[2:3], 0
	s_cbranch_vccnz .LBB160_6
; %bb.2:
	v_cmp_neq_f64_e64 s15, s[4:5], 0
	s_load_b64 s[12:13], s[0:1], 0x28
	s_and_b32 vcc_lo, exec_lo, s6
	s_mov_b32 s19, 0
	s_cbranch_vccnz .LBB160_4
; %bb.3:
	s_lshl_b64 s[2:3], s[18:19], 3
	s_delay_alu instid0(SALU_CYCLE_1)
	s_add_u32 s2, s8, s2
	s_addc_u32 s3, s9, s3
	s_lshl_b64 s[4:5], s[10:11], 3
	s_load_b64 s[2:3], s[2:3], 0x0
	s_waitcnt lgkmcnt(0)
	s_add_u32 s2, s2, s4
	s_addc_u32 s3, s3, s5
.LBB160_4:
	s_clause 0x1
	s_load_b128 s[4:7], s[0:1], 0x38
	s_load_b64 s[8:9], s[0:1], 0x48
	s_delay_alu instid0(VALU_DEP_1)
	v_cndmask_b32_e64 v1, 0, 1, s15
	s_and_not1_b32 vcc_lo, exec_lo, s15
	s_cbranch_vccnz .LBB160_7
; %bb.5:
	s_lshl_b64 s[10:11], s[18:19], 3
	s_waitcnt lgkmcnt(0)
	s_add_u32 s4, s4, s10
	s_addc_u32 s5, s5, s11
	s_lshl_b64 s[6:7], s[6:7], 3
	s_load_b64 s[4:5], s[4:5], 0x0
	s_waitcnt lgkmcnt(0)
	s_add_u32 s4, s4, s6
	s_addc_u32 s5, s5, s7
	v_cmp_ne_u32_e32 vcc_lo, 1, v1
	s_cbranch_vccz .LBB160_8
.LBB160_6:
	s_endpgm
.LBB160_7:
	s_waitcnt lgkmcnt(0)
	s_mov_b64 s[4:5], 0
	v_cmp_ne_u32_e32 vcc_lo, 1, v1
	s_cbranch_vccnz .LBB160_6
.LBB160_8:
	v_and_b32_e32 v92, 0x3ff, v0
	s_lshl_b32 s16, s14, 6
	s_load_b32 s24, s[0:1], 0x0
	s_load_b32 s7, s[20:21], 0x0
	s_load_b64 s[20:21], s[0:1], 0x68
	v_add_nc_u32_e32 v24, s16, v92
	v_bfe_u32 v93, v0, 10, 10
	s_delay_alu instid0(VALU_DEP_2) | instskip(SKIP_2) | instid1(VALU_DEP_3)
	v_ashrrev_i32_e32 v25, 31, v24
	v_mul_lo_u32 v3, v24, s9
	v_mad_u64_u32 v[1:2], null, v24, s8, 0
	v_mul_lo_u32 v4, v25, s8
	s_waitcnt lgkmcnt(0)
	s_ashr_i32 s25, s24, 31
	s_delay_alu instid0(VALU_DEP_1) | instskip(SKIP_3) | instid1(SALU_CYCLE_1)
	v_add3_u32 v2, v2, v3, v4
	s_lshr_b32 s0, s25, 26
	s_add_i32 s1, s7, -1
	s_add_i32 s0, s24, s0
	s_and_not1_b32 s0, s0, 63
	v_lshlrev_b64 v[1:2], 3, v[1:2]
	s_sub_i32 s15, s24, s0
	v_cmp_eq_u32_e64 s0, 0, v93
	s_cmp_eq_u32 s14, s1
	s_cselect_b32 s10, s15, 0
	s_delay_alu instid0(VALU_DEP_2)
	v_add_co_u32 v14, vcc_lo, s4, v1
	v_add_co_ci_u32_e32 v15, vcc_lo, s5, v2, vcc_lo
	s_and_saveexec_b32 s1, s0
	s_cbranch_execz .LBB160_12
; %bb.9:
	v_cmp_gt_i32_e32 vcc_lo, s10, v92
	s_cmp_eq_u32 s10, 0
	v_mov_b32_e32 v0, 0
	v_mov_b32_e32 v1, 0
	s_cselect_b32 s4, -1, 0
	s_delay_alu instid0(SALU_CYCLE_1) | instskip(NEXT) | instid1(SALU_CYCLE_1)
	s_or_b32 s5, s4, vcc_lo
	s_and_saveexec_b32 s4, s5
	s_cbranch_execz .LBB160_11
; %bb.10:
	flat_load_b64 v[0:1], v[14:15]
.LBB160_11:
	s_or_b32 exec_lo, exec_lo, s4
	v_lshlrev_b32_e32 v2, 3, v92
	s_waitcnt vmcnt(0) lgkmcnt(0)
	ds_store_b64 v2, v[0:1] offset:9088
.LBB160_12:
	s_or_b32 exec_lo, exec_lo, s1
	v_lshl_add_u32 v22, v93, 6, v92
	v_dual_mov_b32 v1, 0 :: v_dual_and_b32 v0, 31, v92
	s_ashr_i32 s17, s16, 31
	s_mul_i32 s1, s16, s13
	s_delay_alu instid0(VALU_DEP_2)
	v_lshrrev_b32_e32 v11, 5, v22
	s_lshl_b64 s[4:5], s[16:17], 3
	s_mul_hi_u32 s6, s16, s12
	s_add_u32 s4, s2, s4
	s_mul_i32 s11, s17, s12
	v_mad_u64_u32 v[2:3], null, v11, s12, v[0:1]
	s_addc_u32 s5, s3, s5
	s_add_i32 s1, s6, s1
	s_mul_i32 s2, s16, s12
	s_add_i32 s3, s1, s11
	v_cmp_gt_i32_e64 s1, s10, v0
	s_lshl_b64 s[2:3], s[2:3], 3
	s_delay_alu instid0(VALU_DEP_2) | instskip(SKIP_3) | instid1(VALU_DEP_1)
	v_dual_mov_b32 v1, v3 :: v_dual_lshlrev_b32 v18, 3, v0
	s_add_u32 s2, s2, s4
	s_addc_u32 s3, s3, s5
	s_cmp_eq_u32 s10, 0
	v_mad_u64_u32 v[3:4], null, v11, s13, v[1:2]
	s_cselect_b32 s19, -1, 0
	s_cmp_lg_u32 s10, 0
	s_cselect_b32 s26, -1, 0
	s_delay_alu instid0(SALU_CYCLE_1) | instskip(NEXT) | instid1(VALU_DEP_1)
	s_and_b32 vcc_lo, exec_lo, s26
	v_lshlrev_b64 v[12:13], 3, v[2:3]
	s_delay_alu instid0(VALU_DEP_1) | instskip(NEXT) | instid1(VALU_DEP_1)
	v_add_co_u32 v3, s2, s2, v12
	v_add_co_ci_u32_e64 v4, s2, s3, v13, s2
	s_cbranch_vccz .LBB160_22
; %bb.13:
	s_delay_alu instid0(VALU_DEP_2) | instskip(SKIP_1) | instid1(VALU_DEP_2)
	v_sub_co_u32 v1, vcc_lo, v3, v18
	s_ashr_i32 s11, s10, 31
	v_subrev_co_ci_u32_e32 v2, vcc_lo, 0, v4, vcc_lo
	s_lshl_b64 s[2:3], s[10:11], 3
	v_mov_b32_e32 v7, 0
	v_add_co_u32 v1, vcc_lo, v1, s2
	s_delay_alu instid0(VALU_DEP_3) | instskip(SKIP_1) | instid1(VALU_DEP_3)
	v_add_co_ci_u32_e32 v2, vcc_lo, s3, v2, vcc_lo
	v_mov_b32_e32 v8, 0
	v_add_co_u32 v1, vcc_lo, v1, -8
	s_delay_alu instid0(VALU_DEP_3) | instskip(NEXT) | instid1(VALU_DEP_3)
	v_add_co_ci_u32_e32 v2, vcc_lo, -1, v2, vcc_lo
	v_dual_mov_b32 v5, v7 :: v_dual_mov_b32 v6, v8
	s_delay_alu instid0(VALU_DEP_3) | instskip(NEXT) | instid1(VALU_DEP_3)
	v_cndmask_b32_e64 v1, v1, v3, s1
	v_cndmask_b32_e64 v2, v2, v4, s1
	s_mov_b32 s4, exec_lo
	v_cmpx_gt_i32_e64 s10, v11
	s_cbranch_execz .LBB160_15
; %bb.14:
	flat_load_b64 v[5:6], v[1:2]
.LBB160_15:
	s_or_b32 exec_lo, exec_lo, s4
	v_mul_u32_u24_e32 v9, 33, v11
	v_add_nc_u32_e32 v10, 8, v11
	s_mov_b32 s4, exec_lo
	s_delay_alu instid0(VALU_DEP_2)
	v_add_lshl_u32 v16, v9, v0, 3
	s_waitcnt vmcnt(0) lgkmcnt(0)
	ds_store_b64 v16, v[5:6]
	v_cmpx_gt_i32_e64 s10, v10
	s_cbranch_execz .LBB160_17
; %bb.16:
	s_lshl_b64 s[22:23], s[12:13], 6
	s_delay_alu instid0(SALU_CYCLE_1)
	v_add_co_u32 v5, vcc_lo, v1, s22
	v_add_co_ci_u32_e32 v6, vcc_lo, s23, v2, vcc_lo
	flat_load_b64 v[7:8], v[5:6]
.LBB160_17:
	s_or_b32 exec_lo, exec_lo, s4
	v_mov_b32_e32 v5, 0
	v_dual_mov_b32 v6, 0 :: v_dual_add_nc_u32 v9, 16, v11
	s_waitcnt vmcnt(0) lgkmcnt(0)
	ds_store_b64 v16, v[7:8] offset:2112
	v_cmp_gt_i32_e32 vcc_lo, s10, v9
	v_dual_mov_b32 v10, v6 :: v_dual_mov_b32 v9, v5
	s_and_saveexec_b32 s4, vcc_lo
	s_cbranch_execz .LBB160_19
; %bb.18:
	s_lshl_b64 s[22:23], s[12:13], 7
	s_delay_alu instid0(SALU_CYCLE_1)
	v_add_co_u32 v7, vcc_lo, v1, s22
	v_add_co_ci_u32_e32 v8, vcc_lo, s23, v2, vcc_lo
	flat_load_b64 v[9:10], v[7:8]
.LBB160_19:
	s_or_b32 exec_lo, exec_lo, s4
	v_add_nc_u32_e32 v7, 24, v11
	s_mov_b32 s4, exec_lo
	s_waitcnt vmcnt(0) lgkmcnt(0)
	ds_store_b64 v16, v[9:10] offset:4224
	v_cmpx_gt_i32_e64 s10, v7
	s_cbranch_execz .LBB160_21
; %bb.20:
	v_mad_u64_u32 v[5:6], null, 0xc0, s12, v[1:2]
	s_delay_alu instid0(VALU_DEP_1) | instskip(NEXT) | instid1(VALU_DEP_1)
	v_mad_u64_u32 v[7:8], null, 0xc0, s13, v[6:7]
	v_mov_b32_e32 v6, v7
	flat_load_b64 v[5:6], v[5:6]
.LBB160_21:
	s_or_b32 exec_lo, exec_lo, s4
	v_add_co_u32 v1, vcc_lo, v1, v18
	v_add_co_ci_u32_e32 v2, vcc_lo, 0, v2, vcc_lo
	s_waitcnt vmcnt(0) lgkmcnt(0)
	ds_store_b64 v16, v[5:6] offset:6336
	v_sub_co_u32 v1, vcc_lo, v1, s2
	v_subrev_co_ci_u32_e32 v2, vcc_lo, s3, v2, vcc_lo
	s_delay_alu instid0(VALU_DEP_2) | instskip(NEXT) | instid1(VALU_DEP_2)
	v_add_co_u32 v1, vcc_lo, v1, 8
	v_add_co_ci_u32_e32 v2, vcc_lo, 0, v2, vcc_lo
	s_delay_alu instid0(VALU_DEP_2) | instskip(NEXT) | instid1(VALU_DEP_2)
	v_cndmask_b32_e64 v1, v1, v3, s1
	v_cndmask_b32_e64 v2, v2, v4, s1
	v_mul_u32_u24_e32 v20, 33, v11
	s_branch .LBB160_24
.LBB160_22:
                                        ; implicit-def: $vgpr1_vgpr2
	v_mul_u32_u24_e32 v20, 33, v11
	s_cbranch_execz .LBB160_24
; %bb.23:
	flat_load_b64 v[1:2], v[3:4]
	s_lshl_b64 s[2:3], s[12:13], 6
	v_add_lshl_u32 v9, v20, v0, 3
	v_add_co_u32 v5, vcc_lo, v3, s2
	v_add_co_ci_u32_e32 v6, vcc_lo, s3, v4, vcc_lo
	s_waitcnt vmcnt(0) lgkmcnt(0)
	ds_store_b64 v9, v[1:2]
	flat_load_b64 v[1:2], v[5:6]
	v_add_co_u32 v5, vcc_lo, v5, s2
	v_add_co_ci_u32_e32 v6, vcc_lo, s3, v6, vcc_lo
	s_waitcnt vmcnt(0) lgkmcnt(0)
	ds_store_b64 v9, v[1:2] offset:2112
	flat_load_b64 v[1:2], v[5:6]
	v_mad_u64_u32 v[5:6], null, 0xc0, s12, v[3:4]
	s_delay_alu instid0(VALU_DEP_1) | instskip(NEXT) | instid1(VALU_DEP_1)
	v_mad_u64_u32 v[7:8], null, 0xc0, s13, v[6:7]
	v_mov_b32_e32 v6, v7
	s_waitcnt vmcnt(0) lgkmcnt(0)
	ds_store_b64 v9, v[1:2] offset:4224
	flat_load_b64 v[5:6], v[5:6]
	v_dual_mov_b32 v1, v3 :: v_dual_mov_b32 v2, v4
	s_waitcnt vmcnt(0) lgkmcnt(0)
	ds_store_b64 v9, v[5:6] offset:6336
.LBB160_24:
	v_lshlrev_b32_e32 v3, 2, v11
	v_mul_u32_u24_e32 v19, 33, v0
	v_mul_u32_u24_e32 v4, 0x84, v11
	s_waitcnt lgkmcnt(0)
	s_barrier
	v_cmp_gt_u32_e64 s2, v3, v0
	v_add_lshl_u32 v31, v3, v19, 3
	buffer_gl0_inv
	s_and_saveexec_b32 s1, s2
	s_cbranch_execz .LBB160_26
; %bb.25:
	v_add_lshl_u32 v5, v4, v0, 3
	ds_load_b64 v[5:6], v5
	s_waitcnt lgkmcnt(0)
	ds_store_b64 v31, v[5:6]
.LBB160_26:
	s_or_b32 exec_lo, exec_lo, s1
	v_cmp_ge_u32_e64 s3, v3, v0
	s_delay_alu instid0(VALU_DEP_1)
	s_and_saveexec_b32 s1, s3
	s_cbranch_execz .LBB160_28
; %bb.27:
	v_or_b32_e32 v5, 1, v3
	s_delay_alu instid0(VALU_DEP_1) | instskip(NEXT) | instid1(VALU_DEP_1)
	v_mul_u32_u24_e32 v5, 33, v5
	v_add_lshl_u32 v5, v5, v0, 3
	ds_load_b64 v[5:6], v5
	s_waitcnt lgkmcnt(0)
	ds_store_b64 v31, v[5:6] offset:8
.LBB160_28:
	s_or_b32 exec_lo, exec_lo, s1
	v_or_b32_e32 v5, 2, v3
	s_delay_alu instid0(VALU_DEP_1) | instskip(NEXT) | instid1(VALU_DEP_1)
	v_cmp_gt_u32_e64 s4, v5, v0
	s_and_saveexec_b32 s1, s4
	s_cbranch_execz .LBB160_30
; %bb.29:
	v_mul_u32_u24_e32 v5, 33, v5
	s_delay_alu instid0(VALU_DEP_1)
	v_add_lshl_u32 v5, v5, v0, 3
	ds_load_b64 v[5:6], v5
	s_waitcnt lgkmcnt(0)
	ds_store_b64 v31, v[5:6] offset:16
.LBB160_30:
	s_or_b32 exec_lo, exec_lo, s1
	v_or_b32_e32 v5, 3, v3
	s_delay_alu instid0(VALU_DEP_1) | instskip(SKIP_1) | instid1(VALU_DEP_2)
	v_mad_u32_u24 v6, v5, 33, v0
	v_cmp_gt_u32_e64 s5, v5, v0
	v_lshlrev_b32_e32 v21, 3, v6
	s_delay_alu instid0(VALU_DEP_2)
	s_and_saveexec_b32 s1, s5
	s_cbranch_execz .LBB160_32
; %bb.31:
	ds_load_b64 v[5:6], v21
	s_waitcnt lgkmcnt(0)
	ds_store_b64 v31, v[5:6] offset:24
.LBB160_32:
	s_or_b32 exec_lo, exec_lo, s1
	v_add_lshl_u32 v29, v4, v0, 3
	v_lshlrev_b32_e32 v32, 3, v3
	v_dual_mov_b32 v26, 0 :: v_dual_lshlrev_b32 v23, 3, v19
	s_waitcnt lgkmcnt(0)
	s_barrier
	buffer_gl0_inv
	v_mov_b32_e32 v27, 0
	ds_load_b64 v[7:8], v29
	ds_load_b128 v[3:6], v32 offset:9088
	v_add_nc_u32_e32 v30, 0xfffffdf0, v21
	v_add_lshl_u32 v28, v11, v19, 3
	v_cmp_gt_u32_e64 s1, 32, v22
	s_waitcnt lgkmcnt(0)
	v_fma_f64 v[3:4], v[7:8], v[3:4], 0
	ds_load_2addr_b64 v[7:10], v30 offset1:33
	s_waitcnt lgkmcnt(0)
	v_fma_f64 v[7:8], v[7:8], v[5:6], v[3:4]
	ds_load_b128 v[3:6], v32 offset:9104
	ds_load_b64 v[16:17], v21
	s_waitcnt lgkmcnt(0)
	s_barrier
	buffer_gl0_inv
	v_fma_f64 v[3:4], v[9:10], v[3:4], v[7:8]
	s_delay_alu instid0(VALU_DEP_1)
	v_fma_f64 v[3:4], v[16:17], v[5:6], v[3:4]
	ds_store_b64 v28, v[3:4]
	s_waitcnt lgkmcnt(0)
	s_barrier
	buffer_gl0_inv
	s_and_saveexec_b32 s6, s1
	s_cbranch_execz .LBB160_34
; %bb.33:
	ds_load_2addr_b64 v[3:6], v23 offset1:1
	ds_load_2addr_b64 v[7:10], v23 offset0:2 offset1:3
	s_waitcnt lgkmcnt(1)
	v_add_f64 v[3:4], v[3:4], v[5:6]
	s_waitcnt lgkmcnt(0)
	s_delay_alu instid0(VALU_DEP_1) | instskip(NEXT) | instid1(VALU_DEP_1)
	v_add_f64 v[3:4], v[3:4], v[7:8]
	v_add_f64 v[16:17], v[3:4], v[9:10]
	ds_load_2addr_b64 v[3:6], v23 offset0:4 offset1:5
	ds_load_2addr_b64 v[7:10], v23 offset0:6 offset1:7
	s_waitcnt lgkmcnt(1)
	v_add_f64 v[3:4], v[16:17], v[3:4]
	s_delay_alu instid0(VALU_DEP_1) | instskip(SKIP_1) | instid1(VALU_DEP_1)
	v_add_f64 v[3:4], v[3:4], v[5:6]
	s_waitcnt lgkmcnt(0)
	v_add_f64 v[3:4], v[3:4], v[7:8]
	s_delay_alu instid0(VALU_DEP_1)
	v_add_f64 v[26:27], v[3:4], v[9:10]
.LBB160_34:
	s_or_b32 exec_lo, exec_lo, s6
	s_lshl_b64 s[22:23], s[12:13], 8
	s_delay_alu instid0(SALU_CYCLE_1) | instskip(SKIP_2) | instid1(VALU_DEP_2)
	v_add_co_u32 v3, vcc_lo, v1, s22
	v_add_co_ci_u32_e32 v4, vcc_lo, s23, v2, vcc_lo
	s_barrier
	v_add_co_u32 v1, vcc_lo, 0x100, v3
	s_delay_alu instid0(VALU_DEP_2)
	v_add_co_ci_u32_e32 v2, vcc_lo, 0, v4, vcc_lo
	s_and_b32 vcc_lo, exec_lo, s26
	buffer_gl0_inv
	s_cbranch_vccz .LBB160_44
; %bb.35:
	v_or_b32_e32 v5, 32, v0
	s_ashr_i32 s11, s10, 31
	s_mov_b32 s27, exec_lo
	s_lshl_b64 s[22:23], s[10:11], 3
	s_sub_i32 s11, s10, 32
	v_dual_mov_b32 v9, 0 :: v_dual_lshlrev_b32 v6, 3, v5
	s_delay_alu instid0(VALU_DEP_1) | instskip(SKIP_1) | instid1(VALU_DEP_2)
	v_sub_co_u32 v6, vcc_lo, v1, v6
	v_subrev_co_ci_u32_e32 v7, vcc_lo, 0, v2, vcc_lo
	v_add_co_u32 v6, vcc_lo, v6, s22
	s_delay_alu instid0(VALU_DEP_2) | instskip(NEXT) | instid1(VALU_DEP_2)
	v_add_co_ci_u32_e32 v7, vcc_lo, s23, v7, vcc_lo
	v_add_co_u32 v8, vcc_lo, v6, -8
	s_delay_alu instid0(VALU_DEP_2) | instskip(SKIP_1) | instid1(VALU_DEP_3)
	v_add_co_ci_u32_e32 v6, vcc_lo, -1, v7, vcc_lo
	v_cmp_gt_i32_e32 vcc_lo, s10, v5
	v_dual_mov_b32 v10, 0 :: v_dual_cndmask_b32 v5, v8, v1
	s_delay_alu instid0(VALU_DEP_3) | instskip(NEXT) | instid1(VALU_DEP_2)
	v_dual_cndmask_b32 v6, v6, v2 :: v_dual_mov_b32 v7, v9
	v_mov_b32_e32 v8, v10
	v_cmpx_gt_i32_e64 s11, v11
	s_cbranch_execz .LBB160_37
; %bb.36:
	flat_load_b64 v[7:8], v[5:6]
.LBB160_37:
	s_or_b32 exec_lo, exec_lo, s27
	v_add_nc_u32_e32 v16, 8, v11
	v_add_lshl_u32 v33, v20, v0, 3
	s_mov_b32 s27, exec_lo
	s_waitcnt vmcnt(0) lgkmcnt(0)
	ds_store_b64 v33, v[7:8]
	v_cmpx_gt_i32_e64 s11, v16
	s_cbranch_execz .LBB160_39
; %bb.38:
	s_lshl_b64 s[28:29], s[12:13], 6
	s_delay_alu instid0(SALU_CYCLE_1) | instskip(NEXT) | instid1(VALU_DEP_1)
	v_add_co_u32 v7, s6, v5, s28
	v_add_co_ci_u32_e64 v8, s6, s29, v6, s6
	flat_load_b64 v[9:10], v[7:8]
.LBB160_39:
	s_or_b32 exec_lo, exec_lo, s27
	v_dual_mov_b32 v7, 0 :: v_dual_add_nc_u32 v16, 16, v11
	v_mov_b32_e32 v8, 0
	s_waitcnt vmcnt(0) lgkmcnt(0)
	ds_store_b64 v33, v[9:10] offset:2112
	v_cmp_gt_i32_e64 s6, s11, v16
	v_dual_mov_b32 v17, v8 :: v_dual_mov_b32 v16, v7
	s_delay_alu instid0(VALU_DEP_2)
	s_and_saveexec_b32 s27, s6
	s_cbranch_execz .LBB160_41
; %bb.40:
	s_lshl_b64 s[28:29], s[12:13], 7
	s_delay_alu instid0(SALU_CYCLE_1) | instskip(NEXT) | instid1(VALU_DEP_1)
	v_add_co_u32 v9, s6, v5, s28
	v_add_co_ci_u32_e64 v10, s6, s29, v6, s6
	flat_load_b64 v[16:17], v[9:10]
.LBB160_41:
	s_or_b32 exec_lo, exec_lo, s27
	v_add_nc_u32_e32 v9, 24, v11
	s_waitcnt vmcnt(0) lgkmcnt(0)
	ds_store_b64 v33, v[16:17] offset:4224
	v_cmp_gt_i32_e64 s6, s11, v9
	s_delay_alu instid0(VALU_DEP_1)
	s_and_saveexec_b32 s11, s6
	s_cbranch_execz .LBB160_43
; %bb.42:
	v_mad_u64_u32 v[7:8], null, 0xc0, s12, v[5:6]
	s_delay_alu instid0(VALU_DEP_1) | instskip(NEXT) | instid1(VALU_DEP_1)
	v_mad_u64_u32 v[9:10], null, 0xc0, s13, v[8:9]
	v_mov_b32_e32 v8, v9
	flat_load_b64 v[7:8], v[7:8]
.LBB160_43:
	s_or_b32 exec_lo, exec_lo, s11
	v_add_co_u32 v5, s6, v5, v18
	s_delay_alu instid0(VALU_DEP_1) | instskip(SKIP_3) | instid1(VALU_DEP_1)
	v_add_co_ci_u32_e64 v6, s6, 0, v6, s6
	s_waitcnt vmcnt(0) lgkmcnt(0)
	ds_store_b64 v33, v[7:8] offset:6336
	v_sub_co_u32 v5, s6, v5, s22
	v_subrev_co_ci_u32_e64 v6, s6, s23, v6, s6
	s_delay_alu instid0(VALU_DEP_2) | instskip(NEXT) | instid1(VALU_DEP_1)
	v_add_co_u32 v5, s6, 0x108, v5
	v_add_co_ci_u32_e64 v6, s6, 0, v6, s6
	s_delay_alu instid0(VALU_DEP_1)
	v_dual_cndmask_b32 v5, v5, v1 :: v_dual_cndmask_b32 v6, v6, v2
	s_branch .LBB160_46
.LBB160_44:
                                        ; implicit-def: $vgpr5_vgpr6
	s_cbranch_execz .LBB160_46
; %bb.45:
	flat_load_b64 v[5:6], v[3:4] offset:256
	s_lshl_b64 s[22:23], s[12:13], 6
	v_add_lshl_u32 v10, v20, v0, 3
	v_add_co_u32 v7, vcc_lo, v3, s22
	v_add_co_ci_u32_e32 v8, vcc_lo, s23, v4, vcc_lo
	s_waitcnt vmcnt(0) lgkmcnt(0)
	ds_store_b64 v10, v[5:6]
	flat_load_b64 v[5:6], v[7:8] offset:256
	v_add_co_u32 v7, vcc_lo, v7, s22
	v_add_co_ci_u32_e32 v8, vcc_lo, s23, v8, vcc_lo
	s_waitcnt vmcnt(0) lgkmcnt(0)
	ds_store_b64 v10, v[5:6] offset:2112
	flat_load_b64 v[5:6], v[7:8] offset:256
	v_mad_u64_u32 v[7:8], null, 0xc0, s12, v[3:4]
	s_delay_alu instid0(VALU_DEP_1)
	v_mov_b32_e32 v3, v8
	s_waitcnt vmcnt(0) lgkmcnt(0)
	ds_store_b64 v10, v[5:6] offset:4224
	v_mov_b32_e32 v6, v2
	v_mad_u64_u32 v[8:9], null, 0xc0, s13, v[3:4]
	v_mov_b32_e32 v5, v1
	flat_load_b64 v[3:4], v[7:8] offset:256
	s_waitcnt vmcnt(0) lgkmcnt(0)
	ds_store_b64 v10, v[3:4] offset:6336
.LBB160_46:
	s_waitcnt lgkmcnt(0)
	s_barrier
	buffer_gl0_inv
	s_and_saveexec_b32 s6, s2
	s_cbranch_execnz .LBB160_63
; %bb.47:
	s_or_b32 exec_lo, exec_lo, s6
	s_and_saveexec_b32 s2, s3
	s_cbranch_execnz .LBB160_64
.LBB160_48:
	s_or_b32 exec_lo, exec_lo, s2
	s_and_saveexec_b32 s2, s4
	s_cbranch_execnz .LBB160_65
.LBB160_49:
	s_or_b32 exec_lo, exec_lo, s2
	v_add_nc_u32_e32 v32, 0x2380, v32
	s_and_saveexec_b32 s2, s5
	s_cbranch_execz .LBB160_51
.LBB160_50:
	ds_load_b64 v[1:2], v21
	s_waitcnt lgkmcnt(0)
	ds_store_b64 v31, v[1:2] offset:24
.LBB160_51:
	s_or_b32 exec_lo, exec_lo, s2
	s_waitcnt lgkmcnt(0)
	s_barrier
	buffer_gl0_inv
	ds_load_b64 v[7:8], v29
	ds_load_b128 v[1:4], v32 offset:256
	v_cmp_eq_u32_e64 s2, 1, v11
	s_waitcnt lgkmcnt(0)
	v_fma_f64 v[1:2], v[7:8], v[1:2], 0
	ds_load_2addr_b64 v[7:10], v30 offset1:33
	s_waitcnt lgkmcnt(0)
	v_fma_f64 v[7:8], v[7:8], v[3:4], v[1:2]
	ds_load_b128 v[1:4], v32 offset:272
	ds_load_b64 v[16:17], v21
	s_waitcnt lgkmcnt(0)
	s_barrier
	buffer_gl0_inv
	v_fma_f64 v[1:2], v[9:10], v[1:2], v[7:8]
	s_delay_alu instid0(VALU_DEP_1)
	v_fma_f64 v[1:2], v[16:17], v[3:4], v[1:2]
	ds_store_b64 v28, v[1:2]
	s_waitcnt lgkmcnt(0)
	s_barrier
	buffer_gl0_inv
	s_and_saveexec_b32 s3, s2
	s_cbranch_execz .LBB160_53
; %bb.52:
	ds_load_2addr_b64 v[1:4], v23 offset1:1
	ds_load_2addr_b64 v[7:10], v23 offset0:2 offset1:3
	s_waitcnt lgkmcnt(1)
	v_add_f64 v[1:2], v[1:2], v[3:4]
	s_waitcnt lgkmcnt(0)
	s_delay_alu instid0(VALU_DEP_1) | instskip(NEXT) | instid1(VALU_DEP_1)
	v_add_f64 v[1:2], v[1:2], v[7:8]
	v_add_f64 v[16:17], v[1:2], v[9:10]
	ds_load_2addr_b64 v[1:4], v23 offset0:4 offset1:5
	ds_load_2addr_b64 v[7:10], v23 offset0:6 offset1:7
	s_waitcnt lgkmcnt(1)
	v_add_f64 v[1:2], v[16:17], v[1:2]
	s_delay_alu instid0(VALU_DEP_1) | instskip(SKIP_1) | instid1(VALU_DEP_1)
	v_add_f64 v[1:2], v[1:2], v[3:4]
	s_waitcnt lgkmcnt(0)
	v_add_f64 v[1:2], v[1:2], v[7:8]
	s_delay_alu instid0(VALU_DEP_1)
	v_add_f64 v[26:27], v[1:2], v[9:10]
.LBB160_53:
	s_or_b32 exec_lo, exec_lo, s3
	v_add_co_u32 v1, vcc_lo, 0xffffff00, v5
	v_add_co_ci_u32_e32 v2, vcc_lo, -1, v6, vcc_lo
	s_and_b32 vcc_lo, exec_lo, s26
	s_barrier
	buffer_gl0_inv
	s_cbranch_vccz .LBB160_66
; %bb.54:
	v_sub_co_u32 v3, vcc_lo, v1, v18
	s_ashr_i32 s11, s10, 31
	v_subrev_co_ci_u32_e32 v4, vcc_lo, 0, v2, vcc_lo
	s_lshl_b64 s[4:5], s[10:11], 3
	s_sub_i32 s6, s10, 32
	v_add_co_u32 v3, vcc_lo, v3, s4
	s_delay_alu instid0(VALU_DEP_2) | instskip(SKIP_1) | instid1(VALU_DEP_2)
	v_add_co_ci_u32_e32 v4, vcc_lo, s5, v4, vcc_lo
	s_mov_b32 s11, exec_lo
	v_add_co_u32 v3, vcc_lo, v3, -8
	s_delay_alu instid0(VALU_DEP_2) | instskip(SKIP_2) | instid1(VALU_DEP_4)
	v_add_co_ci_u32_e32 v4, vcc_lo, -1, v4, vcc_lo
	v_cmp_gt_i32_e32 vcc_lo, s10, v0
	v_mov_b32_e32 v7, 0
	v_dual_mov_b32 v8, 0 :: v_dual_cndmask_b32 v3, v3, v1
	s_delay_alu instid0(VALU_DEP_2) | instskip(NEXT) | instid1(VALU_DEP_2)
	v_dual_cndmask_b32 v4, v4, v2 :: v_dual_mov_b32 v5, v7
	v_mov_b32_e32 v6, v8
	v_cmpx_gt_i32_e64 s6, v11
	s_cbranch_execz .LBB160_56
; %bb.55:
	flat_load_b64 v[5:6], v[3:4]
.LBB160_56:
	s_or_b32 exec_lo, exec_lo, s11
	v_add_nc_u32_e32 v31, 8, v11
	v_add_lshl_u32 v34, v20, v0, 3
	s_mov_b32 s11, exec_lo
	s_waitcnt vmcnt(0) lgkmcnt(0)
	ds_store_b64 v34, v[5:6]
	v_cmpx_gt_i32_e64 s6, v31
	s_cbranch_execz .LBB160_58
; %bb.57:
	s_lshl_b64 s[22:23], s[12:13], 6
	s_delay_alu instid0(SALU_CYCLE_1) | instskip(NEXT) | instid1(VALU_DEP_1)
	v_add_co_u32 v5, s3, v3, s22
	v_add_co_ci_u32_e64 v6, s3, s23, v4, s3
	flat_load_b64 v[7:8], v[5:6]
.LBB160_58:
	s_or_b32 exec_lo, exec_lo, s11
	v_mov_b32_e32 v5, 0
	v_dual_mov_b32 v6, 0 :: v_dual_add_nc_u32 v33, 16, v11
	s_mov_b32 s11, exec_lo
	s_waitcnt vmcnt(0) lgkmcnt(0)
	ds_store_b64 v34, v[7:8] offset:2112
	v_dual_mov_b32 v10, v6 :: v_dual_mov_b32 v9, v5
	v_cmpx_gt_i32_e64 s6, v33
	s_cbranch_execz .LBB160_60
; %bb.59:
	s_lshl_b64 s[22:23], s[12:13], 7
	s_delay_alu instid0(SALU_CYCLE_1) | instskip(NEXT) | instid1(VALU_DEP_1)
	v_add_co_u32 v7, s3, v3, s22
	v_add_co_ci_u32_e64 v8, s3, s23, v4, s3
	flat_load_b64 v[9:10], v[7:8]
.LBB160_60:
	s_or_b32 exec_lo, exec_lo, s11
	v_add_nc_u32_e32 v7, 24, v11
	s_waitcnt vmcnt(0) lgkmcnt(0)
	ds_store_b64 v34, v[9:10] offset:4224
	v_cmp_gt_i32_e64 s3, s6, v7
	s_delay_alu instid0(VALU_DEP_1)
	s_and_saveexec_b32 s6, s3
	s_cbranch_execz .LBB160_62
; %bb.61:
	v_mad_u64_u32 v[5:6], null, 0xc0, s12, v[3:4]
	s_delay_alu instid0(VALU_DEP_1) | instskip(NEXT) | instid1(VALU_DEP_1)
	v_mad_u64_u32 v[8:9], null, 0xc0, s13, v[6:7]
	v_mov_b32_e32 v6, v8
	flat_load_b64 v[5:6], v[5:6]
.LBB160_62:
	s_or_b32 exec_lo, exec_lo, s6
	v_add_co_u32 v3, s3, v3, v18
	s_delay_alu instid0(VALU_DEP_1) | instskip(SKIP_3) | instid1(VALU_DEP_1)
	v_add_co_ci_u32_e64 v4, s3, 0, v4, s3
	s_waitcnt vmcnt(0) lgkmcnt(0)
	ds_store_b64 v34, v[5:6] offset:6336
	v_sub_co_u32 v3, s3, v3, s4
	v_subrev_co_ci_u32_e64 v4, s3, s5, v4, s3
	s_delay_alu instid0(VALU_DEP_2) | instskip(NEXT) | instid1(VALU_DEP_1)
	v_add_co_u32 v3, s3, v3, 8
	v_add_co_ci_u32_e64 v4, s3, 0, v4, s3
	s_delay_alu instid0(VALU_DEP_1)
	v_dual_cndmask_b32 v16, v3, v1 :: v_dual_cndmask_b32 v17, v4, v2
	s_branch .LBB160_68
.LBB160_63:
	ds_load_b64 v[1:2], v29
	s_waitcnt lgkmcnt(0)
	ds_store_b64 v31, v[1:2]
	s_or_b32 exec_lo, exec_lo, s6
	s_and_saveexec_b32 s2, s3
	s_cbranch_execz .LBB160_48
.LBB160_64:
	ds_load_b64 v[1:2], v30
	s_waitcnt lgkmcnt(0)
	ds_store_b64 v31, v[1:2] offset:8
	s_or_b32 exec_lo, exec_lo, s2
	s_and_saveexec_b32 s2, s4
	s_cbranch_execz .LBB160_49
.LBB160_65:
	ds_load_b64 v[1:2], v30 offset:264
	s_waitcnt lgkmcnt(0)
	ds_store_b64 v31, v[1:2] offset:16
	s_or_b32 exec_lo, exec_lo, s2
	v_add_nc_u32_e32 v32, 0x2380, v32
	s_and_saveexec_b32 s2, s5
	s_cbranch_execnz .LBB160_50
	s_branch .LBB160_51
.LBB160_66:
                                        ; implicit-def: $vgpr16_vgpr17
                                        ; implicit-def: $vgpr31
                                        ; implicit-def: $vgpr33
                                        ; implicit-def: $vgpr7
	s_cbranch_execz .LBB160_68
; %bb.67:
	flat_load_b64 v[3:4], v[1:2]
	s_lshl_b64 s[4:5], s[12:13], 6
	v_add_lshl_u32 v8, v20, v0, 3
	v_add_co_u32 v5, vcc_lo, v1, s4
	v_add_co_ci_u32_e32 v6, vcc_lo, s5, v2, vcc_lo
	v_mov_b32_e32 v17, v2
	v_dual_mov_b32 v16, v1 :: v_dual_add_nc_u32 v33, 16, v11
	v_add_nc_u32_e32 v31, 8, v11
	s_waitcnt vmcnt(0) lgkmcnt(0)
	ds_store_b64 v8, v[3:4]
	flat_load_b64 v[3:4], v[5:6]
	v_add_co_u32 v5, vcc_lo, v5, s4
	v_add_co_ci_u32_e32 v6, vcc_lo, s5, v6, vcc_lo
	s_waitcnt vmcnt(0) lgkmcnt(0)
	ds_store_b64 v8, v[3:4] offset:2112
	flat_load_b64 v[3:4], v[5:6]
	v_mad_u64_u32 v[5:6], null, 0xc0, s12, v[1:2]
	s_delay_alu instid0(VALU_DEP_1) | instskip(NEXT) | instid1(VALU_DEP_1)
	v_mov_b32_e32 v0, v6
	v_mad_u64_u32 v[6:7], null, 0xc0, s13, v[0:1]
	v_add_nc_u32_e32 v7, 24, v11
	s_waitcnt vmcnt(0) lgkmcnt(0)
	ds_store_b64 v8, v[3:4] offset:4224
	flat_load_b64 v[3:4], v[5:6]
	s_waitcnt vmcnt(0) lgkmcnt(0)
	ds_store_b64 v8, v[3:4] offset:6336
.LBB160_68:
	v_lshlrev_b32_e32 v0, 3, v11
	s_waitcnt lgkmcnt(0)
	s_barrier
	buffer_gl0_inv
	v_add_lshl_u32 v6, v31, v19, 3
	ds_load_b64 v[4:5], v0 offset:9088
	ds_load_b64 v[8:9], v28
	v_lshlrev_b32_e32 v18, 3, v31
	v_add_lshl_u32 v20, v33, v19, 3
	ds_load_b128 v[0:3], v32 offset:272
	ds_load_b64 v[10:11], v6
	ds_load_b64 v[34:35], v18 offset:9088
	ds_load_b64 v[36:37], v20
	v_lshlrev_b32_e32 v6, 3, v33
	s_waitcnt lgkmcnt(4)
	v_fma_f64 v[4:5], v[8:9], v[4:5], 0
	ds_load_b64 v[8:9], v6 offset:9088
	v_add_lshl_u32 v6, v7, v19, 3
	s_waitcnt lgkmcnt(2)
	v_fma_f64 v[4:5], v[10:11], v[34:35], v[4:5]
	v_lshlrev_b32_e32 v10, 3, v7
	ds_load_b64 v[6:7], v6
	ds_load_b64 v[10:11], v10 offset:9088
	ds_load_b64 v[18:19], v21
	s_waitcnt lgkmcnt(3)
	v_fma_f64 v[4:5], v[36:37], v[8:9], v[4:5]
	s_waitcnt lgkmcnt(1)
	s_delay_alu instid0(VALU_DEP_1)
	v_fma_f64 v[33:34], v[6:7], v[10:11], v[4:5]
	ds_load_b64 v[20:21], v29
	ds_load_b128 v[8:11], v32 offset:256
	ds_load_2addr_b64 v[4:7], v30 offset1:33
	s_waitcnt lgkmcnt(0)
	s_barrier
	buffer_gl0_inv
	ds_store_b64 v28, v[33:34]
	s_waitcnt lgkmcnt(0)
	s_barrier
	buffer_gl0_inv
	s_and_saveexec_b32 s3, s2
	s_cbranch_execz .LBB160_70
; %bb.69:
	ds_load_2addr_b64 v[29:32], v23 offset1:1
	ds_load_2addr_b64 v[33:36], v23 offset0:2 offset1:3
	s_waitcnt lgkmcnt(1)
	v_add_f64 v[26:27], v[26:27], v[29:30]
	s_delay_alu instid0(VALU_DEP_1) | instskip(SKIP_1) | instid1(VALU_DEP_1)
	v_add_f64 v[26:27], v[26:27], v[31:32]
	s_waitcnt lgkmcnt(0)
	v_add_f64 v[26:27], v[26:27], v[33:34]
	s_delay_alu instid0(VALU_DEP_1) | instskip(SKIP_4) | instid1(VALU_DEP_1)
	v_add_f64 v[26:27], v[26:27], v[35:36]
	ds_load_2addr_b64 v[29:32], v23 offset0:4 offset1:5
	ds_load_2addr_b64 v[33:36], v23 offset0:6 offset1:7
	s_waitcnt lgkmcnt(1)
	v_add_f64 v[26:27], v[26:27], v[29:30]
	v_add_f64 v[26:27], v[26:27], v[31:32]
	s_waitcnt lgkmcnt(0)
	s_delay_alu instid0(VALU_DEP_1) | instskip(NEXT) | instid1(VALU_DEP_1)
	v_add_f64 v[26:27], v[26:27], v[33:34]
	v_add_f64 v[26:27], v[26:27], v[35:36]
.LBB160_70:
	s_or_b32 exec_lo, exec_lo, s3
	v_fma_f64 v[8:9], v[20:21], v[8:9], 0
	s_barrier
	buffer_gl0_inv
	v_fma_f64 v[4:5], v[4:5], v[10:11], v[8:9]
	s_delay_alu instid0(VALU_DEP_1) | instskip(NEXT) | instid1(VALU_DEP_1)
	v_fma_f64 v[0:1], v[6:7], v[0:1], v[4:5]
	v_fma_f64 v[0:1], v[18:19], v[2:3], v[0:1]
	ds_store_b64 v28, v[0:1]
	s_waitcnt lgkmcnt(0)
	s_barrier
	buffer_gl0_inv
	s_and_saveexec_b32 s2, s1
	s_cbranch_execz .LBB160_72
; %bb.71:
	ds_load_2addr_b64 v[0:3], v23 offset1:1
	ds_load_2addr_b64 v[4:7], v23 offset0:2 offset1:3
	s_waitcnt lgkmcnt(1)
	v_add_f64 v[0:1], v[26:27], v[0:1]
	s_delay_alu instid0(VALU_DEP_1) | instskip(SKIP_1) | instid1(VALU_DEP_1)
	v_add_f64 v[0:1], v[0:1], v[2:3]
	s_waitcnt lgkmcnt(0)
	v_add_f64 v[0:1], v[0:1], v[4:5]
	s_delay_alu instid0(VALU_DEP_1) | instskip(SKIP_4) | instid1(VALU_DEP_1)
	v_add_f64 v[8:9], v[0:1], v[6:7]
	ds_load_2addr_b64 v[0:3], v23 offset0:4 offset1:5
	ds_load_2addr_b64 v[4:7], v23 offset0:6 offset1:7
	s_waitcnt lgkmcnt(1)
	v_add_f64 v[0:1], v[8:9], v[0:1]
	v_add_f64 v[0:1], v[0:1], v[2:3]
	s_waitcnt lgkmcnt(0)
	s_delay_alu instid0(VALU_DEP_1) | instskip(NEXT) | instid1(VALU_DEP_1)
	v_add_f64 v[0:1], v[0:1], v[4:5]
	v_add_f64 v[26:27], v[0:1], v[6:7]
.LBB160_72:
	s_or_b32 exec_lo, exec_lo, s2
	s_mul_hi_u32 s1, s24, s18
	s_mul_i32 s25, s25, s18
	s_mul_i32 s2, s24, s18
	s_add_i32 s1, s1, s25
	s_mul_hi_u32 s3, s2, s7
	s_mul_i32 s1, s1, s7
	s_mul_i32 s2, s2, s7
	s_add_i32 s3, s3, s1
	s_mul_hi_i32 s5, s24, s14
	s_lshl_b64 s[2:3], s[2:3], 3
	s_mul_i32 s4, s24, s14
	s_add_u32 s1, s20, s2
	s_addc_u32 s2, s21, s3
	s_lshl_b64 s[4:5], s[4:5], 3
	v_lshlrev_b32_e32 v94, 3, v92
	s_add_u32 s3, s1, s4
	s_addc_u32 s6, s2, s5
	s_add_i32 s1, s14, 1
	s_delay_alu instid0(SALU_CYCLE_1)
	s_cmp_ge_u32 s1, s7
	s_barrier
	buffer_gl0_inv
	s_cbranch_scc1 .LBB160_129
; %bb.73:
	v_lshrrev_b32_e32 v8, 4, v22
	v_lshlrev_b32_e32 v9, 5, v93
	v_and_b32_e32 v7, 15, v92
	v_or_b32_e32 v1, 0x78, v94
	s_mul_i32 s1, s16, s9
	v_lshlrev_b32_e32 v2, 5, v8
	v_add_nc_u32_e32 v11, 0x110, v9
	v_add_nc_u32_e32 v10, 0x118, v9
	v_mad_u32_u24 v101, 0x218, v7, v1
	s_mul_hi_u32 s2, s16, s8
	v_mad_u32_u24 v102, 0x218, v7, v2
	v_mad_u64_u32 v[2:3], null, s12, v11, 0
	v_and_b32_e32 v6, 48, v92
	s_mul_i32 s4, s17, s8
	s_add_i32 s1, s2, s1
	v_mad_u32_u24 v107, 0x860, v93, v94
	s_add_i32 s5, s1, s4
	v_lshlrev_b32_e32 v0, 3, v6
	s_mul_i32 s4, s16, s8
	v_cmp_gt_u32_e64 s1, 64, v22
	s_lshl_b64 s[4:5], s[4:5], 3
	s_add_i32 s11, s7, -2
	v_mad_u32_u24 v100, 0x218, v7, v0
	v_mad_u64_u32 v[0:1], null, s12, v10, 0
	v_sub_co_u32 v96, vcc_lo, v14, s4
	v_subrev_co_ci_u32_e32 v97, vcc_lo, s5, v15, vcc_lo
	v_mul_i32_i24_e32 v14, 0xffffffe8, v8
	s_add_i32 s16, s16, 64
	s_delay_alu instid0(VALU_DEP_4) | instskip(SKIP_4) | instid1(VALU_DEP_4)
	v_mad_u64_u32 v[4:5], null, s13, v10, v[1:2]
	v_dual_mov_b32 v1, v3 :: v_dual_add_nc_u32 v10, 0x108, v9
	v_or_b32_e32 v120, v6, v7
	v_add_nc_u32_e32 v98, 0x2180, v94
	v_add_nc_u32_e32 v153, v102, v14
	v_mad_u64_u32 v[5:6], null, s12, v10, 0
	v_mov_b32_e32 v7, v4
	v_mad_u64_u32 v[3:4], null, s13, v11, v[1:2]
	v_sub_co_u32 v1, vcc_lo, v0, v12
	s_delay_alu instid0(VALU_DEP_4) | instskip(NEXT) | instid1(VALU_DEP_4)
	v_dual_mov_b32 v0, v6 :: v_dual_lshlrev_b32 v95, 2, v93
	v_sub_co_ci_u32_e32 v4, vcc_lo, v7, v13, vcc_lo
	s_delay_alu instid0(VALU_DEP_3) | instskip(SKIP_1) | instid1(VALU_DEP_3)
	v_add_co_u32 v121, vcc_lo, v16, v1
	v_mov_b32_e32 v7, v3
	v_add_co_ci_u32_e32 v122, vcc_lo, v17, v4, vcc_lo
	v_mad_u64_u32 v[3:4], null, s13, v10, v[0:1]
	v_sub_co_u32 v2, vcc_lo, v2, v12
	v_add_nc_u32_e32 v6, 0x100, v9
	v_sub_co_ci_u32_e32 v4, vcc_lo, v7, v13, vcc_lo
	v_add_nc_u32_e32 v10, 0x198, v9
	s_delay_alu instid0(VALU_DEP_4) | instskip(NEXT) | instid1(VALU_DEP_4)
	v_add_co_u32 v123, vcc_lo, v16, v2
	v_mad_u64_u32 v[0:1], null, s12, v6, 0
	s_delay_alu instid0(VALU_DEP_4) | instskip(SKIP_4) | instid1(VALU_DEP_4)
	v_add_co_ci_u32_e32 v124, vcc_lo, v17, v4, vcc_lo
	v_mov_b32_e32 v4, v3
	v_mad_u64_u32 v[2:3], null, s12, v10, 0
	v_add_nc_u32_e32 v11, 0x190, v9
	v_sub_co_u32 v7, vcc_lo, v5, v12
	v_sub_co_ci_u32_e32 v8, vcc_lo, v4, v13, vcc_lo
	v_or_b32_e32 v103, 1, v95
	v_mad_u64_u32 v[4:5], null, s13, v6, v[1:2]
	v_mad_u64_u32 v[5:6], null, s12, v11, 0
	v_mov_b32_e32 v1, v3
	v_add_co_u32 v125, vcc_lo, v16, v7
	s_delay_alu instid0(VALU_DEP_4) | instskip(SKIP_1) | instid1(VALU_DEP_4)
	v_dual_mov_b32 v3, v4 :: v_dual_add_nc_u32 v108, 16, v95
	v_add_co_ci_u32_e32 v126, vcc_lo, v17, v8, vcc_lo
	v_mad_u64_u32 v[7:8], null, s13, v10, v[1:2]
	v_mov_b32_e32 v1, v6
	v_sub_co_u32 v6, vcc_lo, v0, v12
	v_sub_co_ci_u32_e32 v8, vcc_lo, v3, v13, vcc_lo
	v_add_nc_u32_e32 v10, 0x188, v9
	s_delay_alu instid0(VALU_DEP_4) | instskip(NEXT) | instid1(VALU_DEP_4)
	v_mad_u64_u32 v[3:4], null, s13, v11, v[1:2]
	v_add_co_u32 v127, vcc_lo, v16, v6
	s_delay_alu instid0(VALU_DEP_3)
	v_mad_u64_u32 v[0:1], null, s12, v10, 0
	v_add_co_ci_u32_e32 v128, vcc_lo, v17, v8, vcc_lo
	v_add_nc_u32_e32 v99, 0x2380, v94
	v_sub_co_u32 v6, vcc_lo, v2, v12
	v_mov_b32_e32 v2, v3
	v_add_nc_u32_e32 v8, 0x180, v9
	v_sub_co_ci_u32_e32 v7, vcc_lo, v7, v13, vcc_lo
	v_sub_co_u32 v5, vcc_lo, v5, v12
	s_delay_alu instid0(VALU_DEP_4)
	v_sub_co_ci_u32_e32 v11, vcc_lo, v2, v13, vcc_lo
	v_mad_u64_u32 v[2:3], null, s13, v10, v[1:2]
	v_mad_u64_u32 v[3:4], null, s12, v8, 0
	v_add_co_u32 v129, vcc_lo, v16, v6
	v_add_nc_u32_e32 v10, 0x218, v9
	v_add_co_ci_u32_e32 v130, vcc_lo, v17, v7, vcc_lo
	v_add_co_u32 v131, vcc_lo, v16, v5
	v_add_co_ci_u32_e32 v132, vcc_lo, v17, v11, vcc_lo
	v_dual_mov_b32 v1, v4 :: v_dual_add_nc_u32 v110, 18, v95
	v_sub_co_u32 v0, vcc_lo, v0, v12
	v_mad_u64_u32 v[4:5], null, s12, v10, 0
	v_sub_co_ci_u32_e32 v2, vcc_lo, v2, v13, vcc_lo
	s_delay_alu instid0(VALU_DEP_3) | instskip(SKIP_1) | instid1(VALU_DEP_3)
	v_add_co_u32 v133, vcc_lo, v16, v0
	v_or_b32_e32 v104, 2, v95
	v_mad_u64_u32 v[6:7], null, s13, v8, v[1:2]
	v_dual_mov_b32 v0, v5 :: v_dual_add_nc_u32 v7, 0x210, v9
	v_add_co_ci_u32_e32 v134, vcc_lo, v17, v2, vcc_lo
	v_add_nc_u32_e32 v109, 17, v95
	v_sub_co_u32 v3, vcc_lo, v3, v12
	v_mov_b32_e32 v8, v6
	v_mad_u64_u32 v[1:2], null, s12, v7, 0
	v_add_nc_u32_e32 v111, 19, v95
	v_add_nc_u32_e32 v15, 0x298, v9
	v_or_b32_e32 v105, 3, v95
	v_add_nc_u32_e32 v116, 48, v95
	v_add_nc_u32_e32 v118, 50, v95
	s_lshl_b64 s[4:5], s[12:13], 9
	v_mad_u64_u32 v[5:6], null, s13, v10, v[0:1]
	v_sub_co_ci_u32_e32 v6, vcc_lo, v8, v13, vcc_lo
	v_dual_mov_b32 v0, v2 :: v_dual_add_nc_u32 v113, 33, v95
	v_add_co_u32 v135, vcc_lo, v16, v3
	s_delay_alu instid0(VALU_DEP_4) | instskip(SKIP_4) | instid1(VALU_DEP_4)
	v_mov_b32_e32 v10, v5
	v_add_nc_u32_e32 v8, 0x208, v9
	v_add_co_ci_u32_e32 v136, vcc_lo, v17, v6, vcc_lo
	v_mad_u64_u32 v[2:3], null, s13, v7, v[0:1]
	v_sub_co_u32 v0, vcc_lo, v4, v12
	v_mad_u64_u32 v[5:6], null, s12, v8, 0
	v_sub_co_ci_u32_e32 v3, vcc_lo, v10, v13, vcc_lo
	v_add_nc_u32_e32 v10, 0x200, v9
	s_delay_alu instid0(VALU_DEP_4) | instskip(SKIP_1) | instid1(VALU_DEP_4)
	v_add_co_u32 v137, vcc_lo, v16, v0
	v_dual_mov_b32 v4, v2 :: v_dual_add_nc_u32 v115, 35, v95
	v_add_co_ci_u32_e32 v138, vcc_lo, v17, v3, vcc_lo
	s_delay_alu instid0(VALU_DEP_4) | instskip(SKIP_4) | instid1(VALU_DEP_3)
	v_mad_u64_u32 v[2:3], null, s12, v10, 0
	v_mov_b32_e32 v0, v6
	v_sub_co_u32 v1, vcc_lo, v1, v12
	v_add_nc_u32_e32 v117, 49, v95
	v_sub_co_ci_u32_e32 v11, vcc_lo, v4, v13, vcc_lo
	v_mad_u64_u32 v[6:7], null, s13, v8, v[0:1]
	v_mov_b32_e32 v0, v3
	v_mad_u64_u32 v[3:4], null, s12, v15, 0
	v_add_nc_u32_e32 v106, 0x2180, v9
	v_add_nc_u32_e32 v119, 51, v95
	v_add_co_u32 v139, vcc_lo, v16, v1
	v_mad_u64_u32 v[7:8], null, s13, v10, v[0:1]
	v_dual_mov_b32 v0, v4 :: v_dual_mov_b32 v1, v6
	v_add_nc_u32_e32 v10, 0x290, v9
	v_add_co_ci_u32_e32 v140, vcc_lo, v17, v11, vcc_lo
	v_sub_co_u32 v6, vcc_lo, v5, v12
	s_delay_alu instid0(VALU_DEP_4) | instskip(SKIP_2) | instid1(VALU_DEP_4)
	v_sub_co_ci_u32_e32 v8, vcc_lo, v1, v13, vcc_lo
	v_mad_u64_u32 v[4:5], null, s13, v15, v[0:1]
	v_mad_u64_u32 v[0:1], null, s12, v10, 0
	v_add_co_u32 v141, vcc_lo, v16, v6
	v_add_nc_u32_e32 v15, 0x288, v9
	v_add_nc_u32_e32 v9, 0x280, v9
	v_add_co_ci_u32_e32 v142, vcc_lo, v17, v8, vcc_lo
	v_sub_co_u32 v8, vcc_lo, v2, v12
	v_dual_mov_b32 v11, v4 :: v_dual_add_nc_u32 v112, 32, v95
	v_mad_u64_u32 v[4:5], null, s13, v10, v[1:2]
	v_sub_co_ci_u32_e32 v7, vcc_lo, v7, v13, vcc_lo
	v_mad_u64_u32 v[5:6], null, s12, v9, 0
	v_add_co_u32 v143, vcc_lo, v16, v8
	v_mad_u64_u32 v[1:2], null, s12, v15, 0
	s_delay_alu instid0(VALU_DEP_4)
	v_add_co_ci_u32_e32 v144, vcc_lo, v17, v7, vcc_lo
	v_sub_co_u32 v10, vcc_lo, v3, v12
	v_dual_mov_b32 v3, v6 :: v_dual_add_nc_u32 v114, 34, v95
	v_sub_co_ci_u32_e32 v11, vcc_lo, v11, v13, vcc_lo
	v_sub_co_u32 v0, vcc_lo, v0, v12
	v_sub_co_ci_u32_e32 v4, vcc_lo, v4, v13, vcc_lo
	s_delay_alu instid0(VALU_DEP_4) | instskip(SKIP_1) | instid1(VALU_DEP_3)
	v_mad_u64_u32 v[6:7], null, s13, v15, v[2:3]
	v_add_co_u32 v145, vcc_lo, v16, v10
	v_mad_u64_u32 v[7:8], null, s13, v9, v[3:4]
	v_add_co_ci_u32_e32 v146, vcc_lo, v17, v11, vcc_lo
	v_add_co_u32 v147, vcc_lo, v16, v0
	v_mov_b32_e32 v0, v6
	v_add_co_ci_u32_e32 v148, vcc_lo, v17, v4, vcc_lo
	v_mov_b32_e32 v2, v7
	v_sub_co_u32 v1, vcc_lo, v1, v12
	s_delay_alu instid0(VALU_DEP_4) | instskip(SKIP_1) | instid1(VALU_DEP_4)
	v_sub_co_ci_u32_e32 v0, vcc_lo, v0, v13, vcc_lo
	v_sub_co_u32 v3, vcc_lo, v5, v12
	v_sub_co_ci_u32_e32 v2, vcc_lo, v2, v13, vcc_lo
	s_delay_alu instid0(VALU_DEP_4) | instskip(NEXT) | instid1(VALU_DEP_4)
	v_add_co_u32 v149, vcc_lo, v16, v1
	v_add_co_ci_u32_e32 v150, vcc_lo, v17, v0, vcc_lo
	s_delay_alu instid0(VALU_DEP_4) | instskip(NEXT) | instid1(VALU_DEP_4)
	v_add_co_u32 v151, vcc_lo, v16, v3
	v_add_co_ci_u32_e32 v152, vcc_lo, v17, v2, vcc_lo
	s_cmp_eq_u32 s11, s14
	s_cselect_b32 s12, s15, 0
	s_and_saveexec_b32 s2, s0
	s_cbranch_execz .LBB160_77
.LBB160_74:
	v_cmp_gt_i32_e32 vcc_lo, s12, v92
	s_cmp_eq_u32 s12, 0
	v_mov_b32_e32 v0, 0
	v_mov_b32_e32 v1, 0
	s_cselect_b32 s13, -1, 0
	s_delay_alu instid0(SALU_CYCLE_1) | instskip(NEXT) | instid1(SALU_CYCLE_1)
	s_or_b32 s17, s13, vcc_lo
	s_and_saveexec_b32 s13, s17
	s_cbranch_execz .LBB160_76
; %bb.75:
	s_mul_i32 s17, s16, s9
	s_mul_hi_u32 s18, s16, s8
	s_ashr_i32 s20, s16, 31
	s_add_i32 s17, s18, s17
	s_mul_i32 s20, s20, s8
	s_delay_alu instid0(SALU_CYCLE_1) | instskip(SKIP_1) | instid1(SALU_CYCLE_1)
	s_add_i32 s21, s17, s20
	s_mul_i32 s20, s16, s8
	s_lshl_b64 s[20:21], s[20:21], 3
	s_delay_alu instid0(SALU_CYCLE_1)
	v_add_co_u32 v0, vcc_lo, v96, s20
	v_add_co_ci_u32_e32 v1, vcc_lo, s21, v97, vcc_lo
	flat_load_b64 v[0:1], v[0:1]
.LBB160_76:
	s_or_b32 exec_lo, exec_lo, s13
	s_waitcnt vmcnt(0) lgkmcnt(0)
	ds_store_b64 v98, v[0:1]
.LBB160_77:                             ; =>This Inner Loop Header: Depth=1
	s_or_b32 exec_lo, exec_lo, s2
	s_cmp_eq_u32 s12, 0
	v_add_co_u32 v0, vcc_lo, v127, v94
	s_cselect_b32 s13, -1, 0
	s_cmp_lg_u32 s12, 0
	v_add_co_ci_u32_e32 v1, vcc_lo, 0, v128, vcc_lo
	s_cselect_b32 s2, -1, 0
	s_waitcnt lgkmcnt(0)
	s_and_b32 vcc_lo, exec_lo, s2
	s_barrier
	buffer_gl0_inv
	s_cbranch_vccz .LBB160_125
; %bb.78:                               ;   in Loop: Header=BB160_77 Depth=1
	v_mov_b32_e32 v30, 0
	v_mov_b32_e32 v31, 0
	s_delay_alu instid0(VALU_DEP_2) | instskip(SKIP_1) | instid1(VALU_DEP_2)
	v_mov_b32_e32 v28, v30
	s_mov_b32 s17, exec_lo
	v_mov_b32_e32 v29, v31
	v_cmpx_gt_i32_e64 s12, v95
	s_cbranch_execz .LBB160_80
; %bb.79:                               ;   in Loop: Header=BB160_77 Depth=1
	flat_load_b64 v[28:29], v[0:1]
.LBB160_80:                             ;   in Loop: Header=BB160_77 Depth=1
	s_or_b32 exec_lo, exec_lo, s17
	s_delay_alu instid0(SALU_CYCLE_1)
	s_mov_b32 s17, exec_lo
	v_cmpx_gt_i32_e64 s12, v103
	s_cbranch_execz .LBB160_82
; %bb.81:                               ;   in Loop: Header=BB160_77 Depth=1
	v_add_co_u32 v2, vcc_lo, v125, v94
	v_add_co_ci_u32_e32 v3, vcc_lo, 0, v126, vcc_lo
	flat_load_b64 v[30:31], v[2:3]
.LBB160_82:                             ;   in Loop: Header=BB160_77 Depth=1
	s_or_b32 exec_lo, exec_lo, s17
	v_mov_b32_e32 v32, 0
	v_mov_b32_e32 v33, 0
	s_mov_b32 s17, exec_lo
	s_delay_alu instid0(VALU_DEP_1)
	v_dual_mov_b32 v35, v33 :: v_dual_mov_b32 v34, v32
	v_cmpx_gt_i32_e64 s12, v104
	s_cbranch_execz .LBB160_84
; %bb.83:                               ;   in Loop: Header=BB160_77 Depth=1
	v_add_co_u32 v2, vcc_lo, v123, v94
	v_add_co_ci_u32_e32 v3, vcc_lo, 0, v124, vcc_lo
	flat_load_b64 v[34:35], v[2:3]
.LBB160_84:                             ;   in Loop: Header=BB160_77 Depth=1
	s_or_b32 exec_lo, exec_lo, s17
	s_delay_alu instid0(SALU_CYCLE_1)
	s_mov_b32 s17, exec_lo
	v_cmpx_gt_i32_e64 s12, v105
	s_cbranch_execz .LBB160_86
; %bb.85:                               ;   in Loop: Header=BB160_77 Depth=1
	v_add_co_u32 v2, vcc_lo, v121, v94
	v_add_co_ci_u32_e32 v3, vcc_lo, 0, v122, vcc_lo
	flat_load_b64 v[32:33], v[2:3]
.LBB160_86:                             ;   in Loop: Header=BB160_77 Depth=1
	s_or_b32 exec_lo, exec_lo, s17
	s_branch .LBB160_88
.LBB160_87:                             ;   in Loop: Header=BB160_77 Depth=1
	v_add_co_u32 v2, vcc_lo, v125, v94
	v_add_co_ci_u32_e32 v3, vcc_lo, 0, v126, vcc_lo
	v_add_co_u32 v4, vcc_lo, v123, v94
	v_add_co_ci_u32_e32 v5, vcc_lo, 0, v124, vcc_lo
	;; [unrolled: 2-line block ×3, first 2 shown]
	s_waitcnt vmcnt(0) lgkmcnt(0)
	flat_load_b64 v[28:29], v[0:1]
	flat_load_b64 v[30:31], v[2:3]
	;; [unrolled: 1-line block ×4, first 2 shown]
.LBB160_88:                             ;   in Loop: Header=BB160_77 Depth=1
	ds_load_b64 v[0:1], v99
	ds_load_b64 v[36:37], v106
	v_add_co_u32 v8, vcc_lo, v135, v94
	v_cndmask_b32_e64 v76, 0, 1, s2
	v_add_co_ci_u32_e32 v9, vcc_lo, 0, v136, vcc_lo
	s_and_not1_b32 vcc_lo, exec_lo, s2
	s_waitcnt vmcnt(0) lgkmcnt(1)
	v_mul_f64 v[2:3], v[28:29], v[0:1]
	v_mul_f64 v[4:5], v[30:31], v[0:1]
	;; [unrolled: 1-line block ×4, first 2 shown]
	ds_store_b64 v107, v[2:3]
	ds_load_b64 v[38:39], v106 offset:8
	ds_store_b64 v107, v[4:5] offset:536
	ds_load_b64 v[40:41], v106 offset:16
	ds_store_b64 v107, v[6:7] offset:1072
	;; [unrolled: 2-line block ×3, first 2 shown]
	s_waitcnt lgkmcnt(0)
	s_barrier
	buffer_gl0_inv
	ds_load_2addr_b64 v[4:7], v102 offset1:1
	ds_load_2addr_b64 v[0:3], v102 offset0:2 offset1:3
	s_waitcnt lgkmcnt(0)
	s_barrier
	buffer_gl0_inv
	s_cbranch_vccnz .LBB160_126
; %bb.89:                               ;   in Loop: Header=BB160_77 Depth=1
	v_mov_b32_e32 v46, 0
	v_mov_b32_e32 v47, 0
	s_delay_alu instid0(VALU_DEP_2) | instskip(SKIP_1) | instid1(VALU_DEP_2)
	v_mov_b32_e32 v44, v46
	s_mov_b32 s2, exec_lo
	v_mov_b32_e32 v45, v47
	v_cmpx_gt_i32_e64 s12, v108
	s_cbranch_execz .LBB160_91
; %bb.90:                               ;   in Loop: Header=BB160_77 Depth=1
	flat_load_b64 v[44:45], v[8:9]
.LBB160_91:                             ;   in Loop: Header=BB160_77 Depth=1
	s_or_b32 exec_lo, exec_lo, s2
	s_delay_alu instid0(SALU_CYCLE_1)
	s_mov_b32 s2, exec_lo
	v_cmpx_gt_i32_e64 s12, v109
	s_cbranch_execz .LBB160_93
; %bb.92:                               ;   in Loop: Header=BB160_77 Depth=1
	v_add_co_u32 v10, vcc_lo, v133, v94
	v_add_co_ci_u32_e32 v11, vcc_lo, 0, v134, vcc_lo
	flat_load_b64 v[46:47], v[10:11]
.LBB160_93:                             ;   in Loop: Header=BB160_77 Depth=1
	s_or_b32 exec_lo, exec_lo, s2
	v_mov_b32_e32 v48, 0
	v_mov_b32_e32 v49, 0
	s_mov_b32 s2, exec_lo
	s_delay_alu instid0(VALU_DEP_1)
	v_dual_mov_b32 v51, v49 :: v_dual_mov_b32 v50, v48
	v_cmpx_gt_i32_e64 s12, v110
	s_cbranch_execz .LBB160_95
; %bb.94:                               ;   in Loop: Header=BB160_77 Depth=1
	v_add_co_u32 v10, vcc_lo, v131, v94
	v_add_co_ci_u32_e32 v11, vcc_lo, 0, v132, vcc_lo
	flat_load_b64 v[50:51], v[10:11]
.LBB160_95:                             ;   in Loop: Header=BB160_77 Depth=1
	s_or_b32 exec_lo, exec_lo, s2
	s_delay_alu instid0(SALU_CYCLE_1)
	s_mov_b32 s2, exec_lo
	v_cmpx_gt_i32_e64 s12, v111
	s_cbranch_execz .LBB160_97
; %bb.96:                               ;   in Loop: Header=BB160_77 Depth=1
	v_add_co_u32 v10, vcc_lo, v129, v94
	v_add_co_ci_u32_e32 v11, vcc_lo, 0, v130, vcc_lo
	flat_load_b64 v[48:49], v[10:11]
.LBB160_97:                             ;   in Loop: Header=BB160_77 Depth=1
	s_or_b32 exec_lo, exec_lo, s2
	s_branch .LBB160_99
.LBB160_98:                             ;   in Loop: Header=BB160_77 Depth=1
	v_add_co_u32 v10, vcc_lo, v133, v94
	v_add_co_ci_u32_e32 v11, vcc_lo, 0, v134, vcc_lo
	v_add_co_u32 v12, vcc_lo, v131, v94
	v_add_co_ci_u32_e32 v13, vcc_lo, 0, v132, vcc_lo
	;; [unrolled: 2-line block ×3, first 2 shown]
	s_waitcnt vmcnt(0) lgkmcnt(0)
	flat_load_b64 v[44:45], v[8:9]
	flat_load_b64 v[46:47], v[10:11]
	;; [unrolled: 1-line block ×4, first 2 shown]
.LBB160_99:                             ;   in Loop: Header=BB160_77 Depth=1
	ds_load_b64 v[8:9], v99
	ds_load_b64 v[52:53], v106 offset:128
	v_cmp_ne_u32_e32 vcc_lo, 1, v76
	v_add_co_u32 v16, s2, v143, v94
	s_delay_alu instid0(VALU_DEP_1)
	v_add_co_ci_u32_e64 v17, s2, 0, v144, s2
	s_and_b32 vcc_lo, exec_lo, vcc_lo
	s_waitcnt vmcnt(0) lgkmcnt(1)
	v_mul_f64 v[10:11], v[44:45], v[8:9]
	v_mul_f64 v[12:13], v[46:47], v[8:9]
	v_mul_f64 v[14:15], v[50:51], v[8:9]
	v_mul_f64 v[8:9], v[48:49], v[8:9]
	ds_store_b64 v107, v[10:11]
	ds_load_b64 v[54:55], v106 offset:136
	ds_store_b64 v107, v[12:13] offset:536
	ds_load_b64 v[56:57], v106 offset:144
	ds_store_b64 v107, v[14:15] offset:1072
	;; [unrolled: 2-line block ×3, first 2 shown]
	s_waitcnt lgkmcnt(0)
	s_barrier
	buffer_gl0_inv
	ds_load_2addr_b64 v[12:15], v102 offset1:1
	ds_load_2addr_b64 v[8:11], v102 offset0:2 offset1:3
	s_waitcnt lgkmcnt(0)
	s_barrier
	buffer_gl0_inv
	s_cbranch_vccnz .LBB160_127
; %bb.100:                              ;   in Loop: Header=BB160_77 Depth=1
	v_mov_b32_e32 v62, 0
	v_mov_b32_e32 v63, 0
	s_delay_alu instid0(VALU_DEP_2) | instskip(SKIP_1) | instid1(VALU_DEP_2)
	v_mov_b32_e32 v60, v62
	s_mov_b32 s2, exec_lo
	v_mov_b32_e32 v61, v63
	v_cmpx_gt_i32_e64 s12, v112
	s_cbranch_execz .LBB160_102
; %bb.101:                              ;   in Loop: Header=BB160_77 Depth=1
	flat_load_b64 v[60:61], v[16:17]
.LBB160_102:                            ;   in Loop: Header=BB160_77 Depth=1
	s_or_b32 exec_lo, exec_lo, s2
	s_delay_alu instid0(SALU_CYCLE_1)
	s_mov_b32 s2, exec_lo
	v_cmpx_gt_i32_e64 s12, v113
	s_cbranch_execz .LBB160_104
; %bb.103:                              ;   in Loop: Header=BB160_77 Depth=1
	v_add_co_u32 v18, vcc_lo, v141, v94
	v_add_co_ci_u32_e32 v19, vcc_lo, 0, v142, vcc_lo
	flat_load_b64 v[62:63], v[18:19]
.LBB160_104:                            ;   in Loop: Header=BB160_77 Depth=1
	s_or_b32 exec_lo, exec_lo, s2
	v_mov_b32_e32 v64, 0
	v_mov_b32_e32 v65, 0
	s_mov_b32 s2, exec_lo
	s_delay_alu instid0(VALU_DEP_1)
	v_dual_mov_b32 v67, v65 :: v_dual_mov_b32 v66, v64
	v_cmpx_gt_i32_e64 s12, v114
	s_cbranch_execz .LBB160_106
; %bb.105:                              ;   in Loop: Header=BB160_77 Depth=1
	v_add_co_u32 v18, vcc_lo, v139, v94
	v_add_co_ci_u32_e32 v19, vcc_lo, 0, v140, vcc_lo
	flat_load_b64 v[66:67], v[18:19]
.LBB160_106:                            ;   in Loop: Header=BB160_77 Depth=1
	s_or_b32 exec_lo, exec_lo, s2
	s_delay_alu instid0(SALU_CYCLE_1)
	s_mov_b32 s2, exec_lo
	v_cmpx_gt_i32_e64 s12, v115
	s_cbranch_execz .LBB160_108
; %bb.107:                              ;   in Loop: Header=BB160_77 Depth=1
	v_add_co_u32 v18, vcc_lo, v137, v94
	v_add_co_ci_u32_e32 v19, vcc_lo, 0, v138, vcc_lo
	flat_load_b64 v[64:65], v[18:19]
.LBB160_108:                            ;   in Loop: Header=BB160_77 Depth=1
	s_or_b32 exec_lo, exec_lo, s2
	s_branch .LBB160_110
.LBB160_109:                            ;   in Loop: Header=BB160_77 Depth=1
	v_add_co_u32 v18, vcc_lo, v141, v94
	v_add_co_ci_u32_e32 v19, vcc_lo, 0, v142, vcc_lo
	v_add_co_u32 v20, vcc_lo, v139, v94
	v_add_co_ci_u32_e32 v21, vcc_lo, 0, v140, vcc_lo
	;; [unrolled: 2-line block ×3, first 2 shown]
	s_waitcnt vmcnt(0) lgkmcnt(0)
	flat_load_b64 v[60:61], v[16:17]
	flat_load_b64 v[62:63], v[18:19]
	;; [unrolled: 1-line block ×4, first 2 shown]
.LBB160_110:                            ;   in Loop: Header=BB160_77 Depth=1
	ds_load_b64 v[16:17], v99
	ds_load_b64 v[68:69], v106 offset:256
	v_cmp_ne_u32_e32 vcc_lo, 1, v76
	v_add_co_u32 v84, s2, v151, v94
	s_delay_alu instid0(VALU_DEP_1)
	v_add_co_ci_u32_e64 v85, s2, 0, v152, s2
	s_and_b32 vcc_lo, exec_lo, vcc_lo
	s_waitcnt vmcnt(0) lgkmcnt(1)
	v_mul_f64 v[18:19], v[60:61], v[16:17]
	v_mul_f64 v[20:21], v[62:63], v[16:17]
	v_mul_f64 v[22:23], v[66:67], v[16:17]
	v_mul_f64 v[16:17], v[64:65], v[16:17]
	ds_store_b64 v107, v[18:19]
	ds_load_b64 v[70:71], v106 offset:264
	ds_store_b64 v107, v[20:21] offset:536
	ds_load_b64 v[72:73], v106 offset:272
	ds_store_b64 v107, v[22:23] offset:1072
	ds_load_b64 v[74:75], v106 offset:280
	ds_store_b64 v107, v[16:17] offset:1608
	s_waitcnt lgkmcnt(0)
	s_barrier
	buffer_gl0_inv
	ds_load_2addr_b64 v[20:23], v102 offset1:1
	ds_load_2addr_b64 v[16:19], v102 offset0:2 offset1:3
	s_waitcnt lgkmcnt(0)
	s_barrier
	buffer_gl0_inv
	s_cbranch_vccnz .LBB160_128
; %bb.111:                              ;   in Loop: Header=BB160_77 Depth=1
	v_mov_b32_e32 v78, 0
	v_mov_b32_e32 v79, 0
	s_delay_alu instid0(VALU_DEP_2) | instskip(SKIP_1) | instid1(VALU_DEP_2)
	v_mov_b32_e32 v76, v78
	s_mov_b32 s2, exec_lo
	v_mov_b32_e32 v77, v79
	v_cmpx_gt_i32_e64 s12, v116
	s_cbranch_execz .LBB160_113
; %bb.112:                              ;   in Loop: Header=BB160_77 Depth=1
	flat_load_b64 v[76:77], v[84:85]
.LBB160_113:                            ;   in Loop: Header=BB160_77 Depth=1
	s_or_b32 exec_lo, exec_lo, s2
	s_delay_alu instid0(SALU_CYCLE_1)
	s_mov_b32 s2, exec_lo
	v_cmpx_gt_i32_e64 s12, v117
	s_cbranch_execz .LBB160_115
; %bb.114:                              ;   in Loop: Header=BB160_77 Depth=1
	v_add_co_u32 v78, vcc_lo, v149, v94
	v_add_co_ci_u32_e32 v79, vcc_lo, 0, v150, vcc_lo
	flat_load_b64 v[78:79], v[78:79]
.LBB160_115:                            ;   in Loop: Header=BB160_77 Depth=1
	s_or_b32 exec_lo, exec_lo, s2
	v_mov_b32_e32 v80, 0
	v_mov_b32_e32 v81, 0
	s_mov_b32 s2, exec_lo
	s_delay_alu instid0(VALU_DEP_1)
	v_dual_mov_b32 v83, v81 :: v_dual_mov_b32 v82, v80
	v_cmpx_gt_i32_e64 s12, v118
	s_cbranch_execz .LBB160_117
; %bb.116:                              ;   in Loop: Header=BB160_77 Depth=1
	v_add_co_u32 v82, vcc_lo, v147, v94
	v_add_co_ci_u32_e32 v83, vcc_lo, 0, v148, vcc_lo
	flat_load_b64 v[82:83], v[82:83]
.LBB160_117:                            ;   in Loop: Header=BB160_77 Depth=1
	s_or_b32 exec_lo, exec_lo, s2
	s_delay_alu instid0(SALU_CYCLE_1)
	s_mov_b32 s2, exec_lo
	v_cmpx_gt_i32_e64 s12, v119
	s_cbranch_execz .LBB160_119
; %bb.118:                              ;   in Loop: Header=BB160_77 Depth=1
	v_add_co_u32 v80, vcc_lo, v145, v94
	v_add_co_ci_u32_e32 v81, vcc_lo, 0, v146, vcc_lo
	flat_load_b64 v[80:81], v[80:81]
.LBB160_119:                            ;   in Loop: Header=BB160_77 Depth=1
	s_or_b32 exec_lo, exec_lo, s2
	s_branch .LBB160_121
.LBB160_120:                            ;   in Loop: Header=BB160_77 Depth=1
	s_waitcnt vmcnt(0) lgkmcnt(0)
	v_add_co_u32 v78, vcc_lo, v149, v94
	v_add_co_ci_u32_e32 v79, vcc_lo, 0, v150, vcc_lo
	v_add_co_u32 v80, vcc_lo, v147, v94
	v_add_co_ci_u32_e32 v81, vcc_lo, 0, v148, vcc_lo
	;; [unrolled: 2-line block ×3, first 2 shown]
	flat_load_b64 v[76:77], v[84:85]
	flat_load_b64 v[78:79], v[78:79]
	flat_load_b64 v[82:83], v[80:81]
	flat_load_b64 v[80:81], v[86:87]
.LBB160_121:                            ;   in Loop: Header=BB160_77 Depth=1
	ds_load_b64 v[84:85], v99
	ds_load_b64 v[86:87], v106 offset:384
	v_add_f64 v[12:13], v[12:13], 0
	v_add_f64 v[4:5], v[4:5], 0
	v_add_f64 v[20:21], v[20:21], 0
	v_cmp_gt_i32_e32 vcc_lo, s12, v92
	s_or_b32 s2, s13, vcc_lo
	s_delay_alu instid0(SALU_CYCLE_1)
	s_and_b32 s12, s1, s2
	s_waitcnt vmcnt(0) lgkmcnt(1)
	v_mul_f64 v[88:89], v[76:77], v[84:85]
	v_mul_f64 v[90:91], v[78:79], v[84:85]
	;; [unrolled: 1-line block ×4, first 2 shown]
	v_add_f64 v[12:13], v[12:13], v[14:15]
	v_add_f64 v[4:5], v[4:5], v[6:7]
	;; [unrolled: 1-line block ×3, first 2 shown]
	ds_store_b64 v107, v[88:89]
	ds_load_b64 v[88:89], v106 offset:392
	ds_store_b64 v107, v[90:91] offset:536
	ds_load_b64 v[90:91], v106 offset:400
	ds_store_b64 v107, v[154:155] offset:1072
	;; [unrolled: 2-line block ×3, first 2 shown]
	s_waitcnt lgkmcnt(0)
	s_barrier
	buffer_gl0_inv
	ds_load_2addr_b64 v[154:157], v102 offset1:1
	ds_load_2addr_b64 v[158:161], v102 offset0:2 offset1:3
	s_waitcnt lgkmcnt(0)
	s_barrier
	buffer_gl0_inv
	v_add_f64 v[8:9], v[12:13], v[8:9]
	v_add_f64 v[0:1], v[4:5], v[0:1]
	;; [unrolled: 1-line block ×4, first 2 shown]
	s_delay_alu instid0(VALU_DEP_4) | instskip(NEXT) | instid1(VALU_DEP_4)
	v_add_f64 v[8:9], v[8:9], v[10:11]
	v_add_f64 v[0:1], v[0:1], v[2:3]
	s_delay_alu instid0(VALU_DEP_3) | instskip(NEXT) | instid1(VALU_DEP_1)
	v_add_f64 v[6:7], v[154:155], v[156:157]
	v_add_f64 v[4:5], v[6:7], v[158:159]
	v_add_f64 v[6:7], v[14:15], v[18:19]
	s_delay_alu instid0(VALU_DEP_2)
	v_add_f64 v[2:3], v[4:5], v[160:161]
	ds_store_2addr_b64 v153, v[0:1], v[8:9] offset1:16
	ds_store_2addr_b64 v153, v[6:7], v[2:3] offset0:32 offset1:48
	s_waitcnt lgkmcnt(0)
	s_barrier
	buffer_gl0_inv
	s_and_saveexec_b32 s2, s12
	s_cbranch_execz .LBB160_123
; %bb.122:                              ;   in Loop: Header=BB160_77 Depth=1
	ds_load_2addr_b64 v[0:3], v100 offset1:1
	ds_load_2addr_b64 v[4:7], v100 offset0:2 offset1:3
	s_waitcnt lgkmcnt(1)
	v_add_f64 v[0:1], v[0:1], v[2:3]
	s_waitcnt lgkmcnt(0)
	s_delay_alu instid0(VALU_DEP_1) | instskip(NEXT) | instid1(VALU_DEP_1)
	v_add_f64 v[0:1], v[0:1], v[4:5]
	v_add_f64 v[8:9], v[0:1], v[6:7]
	ds_load_2addr_b64 v[0:3], v100 offset0:4 offset1:5
	ds_load_2addr_b64 v[4:7], v100 offset0:6 offset1:7
	s_waitcnt lgkmcnt(1)
	v_add_f64 v[0:1], v[8:9], v[0:1]
	s_delay_alu instid0(VALU_DEP_1) | instskip(SKIP_1) | instid1(VALU_DEP_1)
	v_add_f64 v[0:1], v[0:1], v[2:3]
	s_waitcnt lgkmcnt(0)
	v_add_f64 v[0:1], v[0:1], v[4:5]
	s_delay_alu instid0(VALU_DEP_1) | instskip(SKIP_4) | instid1(VALU_DEP_1)
	v_add_f64 v[8:9], v[0:1], v[6:7]
	ds_load_2addr_b64 v[0:3], v100 offset0:8 offset1:9
	ds_load_2addr_b64 v[4:7], v100 offset0:10 offset1:11
	s_waitcnt lgkmcnt(1)
	v_add_f64 v[0:1], v[8:9], v[0:1]
	v_add_f64 v[0:1], v[0:1], v[2:3]
	s_waitcnt lgkmcnt(0)
	s_delay_alu instid0(VALU_DEP_1) | instskip(NEXT) | instid1(VALU_DEP_1)
	v_add_f64 v[0:1], v[0:1], v[4:5]
	v_add_f64 v[4:5], v[0:1], v[6:7]
	ds_load_2addr_b64 v[0:3], v100 offset0:12 offset1:13
	ds_load_b64 v[6:7], v100 offset:112
	s_waitcnt lgkmcnt(1)
	v_add_f64 v[0:1], v[4:5], v[0:1]
	s_delay_alu instid0(VALU_DEP_1) | instskip(SKIP_4) | instid1(VALU_DEP_1)
	v_add_f64 v[0:1], v[0:1], v[2:3]
	ds_load_b64 v[2:3], v101
	s_waitcnt lgkmcnt(1)
	v_add_f64 v[0:1], v[0:1], v[6:7]
	s_waitcnt lgkmcnt(0)
	v_add_f64 v[0:1], v[0:1], v[2:3]
	v_add_nc_u32_e32 v2, s16, v120
	s_delay_alu instid0(VALU_DEP_1) | instskip(NEXT) | instid1(VALU_DEP_1)
	v_ashrrev_i32_e32 v3, 31, v2
	v_lshlrev_b64 v[2:3], 3, v[2:3]
	s_delay_alu instid0(VALU_DEP_1) | instskip(NEXT) | instid1(VALU_DEP_2)
	v_add_co_u32 v2, vcc_lo, s3, v2
	v_add_co_ci_u32_e32 v3, vcc_lo, s6, v3, vcc_lo
	global_store_b64 v[2:3], v[0:1], off
.LBB160_123:                            ;   in Loop: Header=BB160_77 Depth=1
	s_or_b32 exec_lo, exec_lo, s2
	v_fma_f64 v[0:1], v[28:29], v[36:37], v[26:27]
	v_add_co_u32 v121, vcc_lo, v121, s4
	v_add_co_ci_u32_e32 v122, vcc_lo, s5, v122, vcc_lo
	v_add_co_u32 v123, vcc_lo, v123, s4
	v_add_co_ci_u32_e32 v124, vcc_lo, s5, v124, vcc_lo
	;; [unrolled: 2-line block ×9, first 2 shown]
	v_add_co_u32 v139, vcc_lo, v139, s4
	v_fma_f64 v[0:1], v[30:31], v[38:39], v[0:1]
	v_add_co_ci_u32_e32 v140, vcc_lo, s5, v140, vcc_lo
	v_add_co_u32 v141, vcc_lo, v141, s4
	v_add_co_ci_u32_e32 v142, vcc_lo, s5, v142, vcc_lo
	v_add_co_u32 v143, vcc_lo, v143, s4
	v_add_co_ci_u32_e32 v144, vcc_lo, s5, v144, vcc_lo
	v_add_co_u32 v145, vcc_lo, v145, s4
	v_add_co_ci_u32_e32 v146, vcc_lo, s5, v146, vcc_lo
	v_add_co_u32 v147, vcc_lo, v147, s4
	v_add_co_ci_u32_e32 v148, vcc_lo, s5, v148, vcc_lo
	v_add_co_u32 v149, vcc_lo, v149, s4
	v_add_co_ci_u32_e32 v150, vcc_lo, s5, v150, vcc_lo
	v_add_co_u32 v151, vcc_lo, v151, s4
	v_add_co_ci_u32_e32 v152, vcc_lo, s5, v152, vcc_lo
	s_add_i32 s12, s14, 2
	s_add_i32 s2, s14, 1
	;; [unrolled: 1-line block ×3, first 2 shown]
	s_cmp_ge_u32 s12, s7
	s_waitcnt_vscnt null, 0x0
	s_barrier
	buffer_gl0_inv
	v_fma_f64 v[0:1], v[34:35], v[40:41], v[0:1]
	s_delay_alu instid0(VALU_DEP_1) | instskip(NEXT) | instid1(VALU_DEP_1)
	v_fma_f64 v[0:1], v[32:33], v[42:43], v[0:1]
	v_fma_f64 v[0:1], v[44:45], v[52:53], v[0:1]
	s_delay_alu instid0(VALU_DEP_1) | instskip(NEXT) | instid1(VALU_DEP_1)
	v_fma_f64 v[0:1], v[46:47], v[54:55], v[0:1]
	;; [unrolled: 3-line block ×6, first 2 shown]
	v_fma_f64 v[0:1], v[82:83], v[90:91], v[0:1]
	s_delay_alu instid0(VALU_DEP_1)
	v_fma_f64 v[26:27], v[80:81], v[84:85], v[0:1]
	s_cbranch_scc1 .LBB160_129
; %bb.124:                              ;   in Loop: Header=BB160_77 Depth=1
	s_mov_b32 s14, s2
	s_delay_alu instid0(SALU_CYCLE_1)
	s_cmp_eq_u32 s11, s14
	s_cselect_b32 s12, s15, 0
	s_and_saveexec_b32 s2, s0
	s_cbranch_execnz .LBB160_74
	s_branch .LBB160_77
.LBB160_125:                            ;   in Loop: Header=BB160_77 Depth=1
                                        ; implicit-def: $vgpr32_vgpr33
                                        ; implicit-def: $vgpr34_vgpr35
                                        ; implicit-def: $vgpr30_vgpr31
                                        ; implicit-def: $vgpr28_vgpr29
	s_cbranch_execnz .LBB160_87
	s_branch .LBB160_88
.LBB160_126:                            ;   in Loop: Header=BB160_77 Depth=1
                                        ; implicit-def: $vgpr48_vgpr49
                                        ; implicit-def: $vgpr50_vgpr51
                                        ; implicit-def: $vgpr46_vgpr47
                                        ; implicit-def: $vgpr44_vgpr45
	s_cbranch_execnz .LBB160_98
	s_branch .LBB160_99
.LBB160_127:                            ;   in Loop: Header=BB160_77 Depth=1
                                        ; implicit-def: $vgpr64_vgpr65
                                        ; implicit-def: $vgpr66_vgpr67
                                        ; implicit-def: $vgpr62_vgpr63
                                        ; implicit-def: $vgpr60_vgpr61
	s_cbranch_execnz .LBB160_109
	s_branch .LBB160_110
.LBB160_128:                            ;   in Loop: Header=BB160_77 Depth=1
                                        ; implicit-def: $vgpr80_vgpr81
                                        ; implicit-def: $vgpr82_vgpr83
                                        ; implicit-def: $vgpr78_vgpr79
                                        ; implicit-def: $vgpr76_vgpr77
	s_cbranch_execnz .LBB160_120
	s_branch .LBB160_121
.LBB160_129:
	v_cmp_gt_i32_e32 vcc_lo, s10, v92
	v_mad_u32_u24 v0, 0x218, v93, v94
	s_or_b32 s1, s19, vcc_lo
	ds_store_b64 v0, v[26:27]
	s_and_b32 s0, s0, s1
	s_waitcnt lgkmcnt(0)
	s_barrier
	buffer_gl0_inv
	s_and_saveexec_b32 s1, s0
	s_cbranch_execz .LBB160_6
; %bb.130:
	ds_load_2addr_b64 v[0:3], v94 offset1:67
	s_waitcnt lgkmcnt(0)
	v_add_f64 v[4:5], v[0:1], v[2:3]
	ds_load_2addr_b64 v[0:3], v94 offset0:134 offset1:201
	s_waitcnt lgkmcnt(0)
	v_add_f64 v[0:1], v[4:5], v[0:1]
	s_delay_alu instid0(VALU_DEP_1) | instskip(SKIP_1) | instid1(VALU_DEP_1)
	v_add_f64 v[0:1], v[0:1], v[2:3]
	v_lshlrev_b64 v[2:3], 3, v[24:25]
	v_add_co_u32 v2, vcc_lo, s3, v2
	s_delay_alu instid0(VALU_DEP_2)
	v_add_co_ci_u32_e32 v3, vcc_lo, s6, v3, vcc_lo
	global_store_b64 v[2:3], v[0:1], off
	s_nop 0
	s_sendmsg sendmsg(MSG_DEALLOC_VGPRS)
	s_endpgm
	.section	.rodata,"a",@progbits
	.p2align	6, 0x0
	.amdhsa_kernel _ZL26rocblas_hemvn_kernel_upperILb0ELi64ELi4ELi33ELi32ELi16ElPKdPKS1_PdEviT6_lT7_lT5_lS6_lS7_lS5_lT8_i
		.amdhsa_group_segment_fixed_size 9600
		.amdhsa_private_segment_fixed_size 0
		.amdhsa_kernarg_size 376
		.amdhsa_user_sgpr_count 14
		.amdhsa_user_sgpr_dispatch_ptr 0
		.amdhsa_user_sgpr_queue_ptr 0
		.amdhsa_user_sgpr_kernarg_segment_ptr 1
		.amdhsa_user_sgpr_dispatch_id 0
		.amdhsa_user_sgpr_private_segment_size 0
		.amdhsa_wavefront_size32 1
		.amdhsa_uses_dynamic_stack 0
		.amdhsa_enable_private_segment 0
		.amdhsa_system_sgpr_workgroup_id_x 1
		.amdhsa_system_sgpr_workgroup_id_y 0
		.amdhsa_system_sgpr_workgroup_id_z 1
		.amdhsa_system_sgpr_workgroup_info 0
		.amdhsa_system_vgpr_workitem_id 1
		.amdhsa_next_free_vgpr 162
		.amdhsa_next_free_sgpr 30
		.amdhsa_reserve_vcc 1
		.amdhsa_float_round_mode_32 0
		.amdhsa_float_round_mode_16_64 0
		.amdhsa_float_denorm_mode_32 3
		.amdhsa_float_denorm_mode_16_64 3
		.amdhsa_dx10_clamp 1
		.amdhsa_ieee_mode 1
		.amdhsa_fp16_overflow 0
		.amdhsa_workgroup_processor_mode 1
		.amdhsa_memory_ordered 1
		.amdhsa_forward_progress 0
		.amdhsa_shared_vgpr_count 0
		.amdhsa_exception_fp_ieee_invalid_op 0
		.amdhsa_exception_fp_denorm_src 0
		.amdhsa_exception_fp_ieee_div_zero 0
		.amdhsa_exception_fp_ieee_overflow 0
		.amdhsa_exception_fp_ieee_underflow 0
		.amdhsa_exception_fp_ieee_inexact 0
		.amdhsa_exception_int_div_zero 0
	.end_amdhsa_kernel
	.section	.text._ZL26rocblas_hemvn_kernel_upperILb0ELi64ELi4ELi33ELi32ELi16ElPKdPKS1_PdEviT6_lT7_lT5_lS6_lS7_lS5_lT8_i,"axG",@progbits,_ZL26rocblas_hemvn_kernel_upperILb0ELi64ELi4ELi33ELi32ELi16ElPKdPKS1_PdEviT6_lT7_lT5_lS6_lS7_lS5_lT8_i,comdat
.Lfunc_end160:
	.size	_ZL26rocblas_hemvn_kernel_upperILb0ELi64ELi4ELi33ELi32ELi16ElPKdPKS1_PdEviT6_lT7_lT5_lS6_lS7_lS5_lT8_i, .Lfunc_end160-_ZL26rocblas_hemvn_kernel_upperILb0ELi64ELi4ELi33ELi32ELi16ElPKdPKS1_PdEviT6_lT7_lT5_lS6_lS7_lS5_lT8_i
                                        ; -- End function
	.section	.AMDGPU.csdata,"",@progbits
; Kernel info:
; codeLenInByte = 8732
; NumSgprs: 32
; NumVgprs: 162
; ScratchSize: 0
; MemoryBound: 0
; FloatMode: 240
; IeeeMode: 1
; LDSByteSize: 9600 bytes/workgroup (compile time only)
; SGPRBlocks: 3
; VGPRBlocks: 20
; NumSGPRsForWavesPerEU: 32
; NumVGPRsForWavesPerEU: 162
; Occupancy: 9
; WaveLimiterHint : 1
; COMPUTE_PGM_RSRC2:SCRATCH_EN: 0
; COMPUTE_PGM_RSRC2:USER_SGPR: 14
; COMPUTE_PGM_RSRC2:TRAP_HANDLER: 0
; COMPUTE_PGM_RSRC2:TGID_X_EN: 1
; COMPUTE_PGM_RSRC2:TGID_Y_EN: 0
; COMPUTE_PGM_RSRC2:TGID_Z_EN: 1
; COMPUTE_PGM_RSRC2:TIDIG_COMP_CNT: 1
	.section	.text._ZL36rocblas_hemvn_kernel_upper_block_sumILi64ElPKdPKPddEviT1_lS5_lT2_lT0_lPT3_i,"axG",@progbits,_ZL36rocblas_hemvn_kernel_upper_block_sumILi64ElPKdPKPddEviT1_lS5_lT2_lT0_lPT3_i,comdat
	.globl	_ZL36rocblas_hemvn_kernel_upper_block_sumILi64ElPKdPKPddEviT1_lS5_lT2_lT0_lPT3_i ; -- Begin function _ZL36rocblas_hemvn_kernel_upper_block_sumILi64ElPKdPKPddEviT1_lS5_lT2_lT0_lPT3_i
	.p2align	8
	.type	_ZL36rocblas_hemvn_kernel_upper_block_sumILi64ElPKdPKPddEviT1_lS5_lT2_lT0_lPT3_i,@function
_ZL36rocblas_hemvn_kernel_upper_block_sumILi64ElPKdPKPddEviT1_lS5_lT2_lT0_lPT3_i: ; @_ZL36rocblas_hemvn_kernel_upper_block_sumILi64ElPKdPKPddEviT1_lS5_lT2_lT0_lPT3_i
; %bb.0:
	s_load_b256 s[16:23], s[0:1], 0x8
	s_waitcnt lgkmcnt(0)
	s_mul_i32 s3, s15, s19
	s_mul_hi_u32 s4, s15, s18
	s_mul_i32 s2, s15, s18
	s_add_i32 s3, s4, s3
	s_mul_i32 s4, s15, s23
	s_lshl_b64 s[2:3], s[2:3], 3
	s_mul_hi_u32 s5, s15, s22
	s_add_u32 s2, s16, s2
	s_addc_u32 s3, s17, s3
	s_add_i32 s5, s5, s4
	s_mul_i32 s4, s15, s22
	s_delay_alu instid0(SALU_CYCLE_1) | instskip(NEXT) | instid1(SALU_CYCLE_1)
	s_lshl_b64 s[4:5], s[4:5], 3
	s_add_u32 s4, s20, s4
	s_addc_u32 s5, s21, s5
	s_load_b64 s[10:11], s[2:3], 0x0
	s_load_b64 s[12:13], s[4:5], 0x0
	s_waitcnt lgkmcnt(0)
	v_cmp_eq_f64_e64 s2, s[10:11], 0
	v_cmp_eq_f64_e64 s3, s[12:13], 1.0
	s_delay_alu instid0(VALU_DEP_1) | instskip(NEXT) | instid1(SALU_CYCLE_1)
	s_and_b32 s2, s2, s3
	s_and_b32 vcc_lo, exec_lo, s2
	s_cbranch_vccnz .LBB161_19
; %bb.1:
	s_clause 0x1
	s_load_b64 s[2:3], s[0:1], 0x28
	s_load_b32 s16, s[0:1], 0x0
	s_mov_b32 s8, s15
	v_cmp_neq_f64_e64 s15, s[10:11], 0
	s_mov_b32 s9, 0
	s_load_b128 s[4:7], s[0:1], 0x30
	s_lshl_b64 s[18:19], s[8:9], 3
	v_lshl_or_b32 v0, s14, 6, v0
	s_waitcnt lgkmcnt(0)
	s_add_u32 s2, s2, s18
	s_addc_u32 s3, s3, s19
	s_load_b64 s[18:19], s[2:3], 0x0
	v_cmp_gt_i32_e64 s2, s16, v0
	s_lshl_b64 s[4:5], s[4:5], 3
	s_waitcnt lgkmcnt(0)
	s_add_u32 s3, s18, s4
	s_addc_u32 s4, s19, s5
	s_delay_alu instid0(VALU_DEP_3)
	s_and_b32 vcc_lo, exec_lo, s15
	s_cbranch_vccnz .LBB161_6
; %bb.2:
	s_mov_b32 s5, 0
                                        ; implicit-def: $vgpr3_vgpr4
                                        ; implicit-def: $vgpr1_vgpr2
	s_and_saveexec_b32 s15, s2
	s_cbranch_execz .LBB161_7
; %bb.3:
	v_cmp_eq_f64_e64 s2, s[12:13], 0
	v_ashrrev_i32_e32 v1, 31, v0
	v_mul_lo_u32 v3, v0, s7
	s_delay_alu instid0(VALU_DEP_2) | instskip(SKIP_1) | instid1(VALU_DEP_1)
	v_mul_lo_u32 v4, v1, s6
	v_mad_u64_u32 v[1:2], null, v0, s6, 0
	v_add3_u32 v2, v2, v3, v4
	v_mov_b32_e32 v3, 0
	v_mov_b32_e32 v4, 0
	s_and_b32 vcc_lo, exec_lo, s2
	s_cbranch_vccnz .LBB161_5
; %bb.4:
	s_delay_alu instid0(VALU_DEP_4) | instskip(NEXT) | instid1(VALU_DEP_1)
	v_lshlrev_b64 v[3:4], 3, v[1:2]
	v_add_co_u32 v3, vcc_lo, s3, v3
	s_delay_alu instid0(VALU_DEP_2)
	v_add_co_ci_u32_e32 v4, vcc_lo, s4, v4, vcc_lo
	global_load_b64 v[3:4], v[3:4], off
	s_waitcnt vmcnt(0)
	v_mul_f64 v[3:4], s[12:13], v[3:4]
.LBB161_5:
	s_mov_b32 s9, exec_lo
	s_or_b32 exec_lo, exec_lo, s15
	s_delay_alu instid0(SALU_CYCLE_1)
	s_and_b32 vcc_lo, exec_lo, s5
	s_cbranch_vccnz .LBB161_8
	s_branch .LBB161_17
.LBB161_6:
                                        ; implicit-def: $vgpr3_vgpr4
                                        ; implicit-def: $vgpr1_vgpr2
	s_cbranch_execnz .LBB161_8
	s_branch .LBB161_17
.LBB161_7:
	s_or_b32 exec_lo, exec_lo, s15
	s_delay_alu instid0(SALU_CYCLE_1)
	s_and_b32 vcc_lo, exec_lo, s5
	s_cbranch_vccz .LBB161_17
.LBB161_8:
	s_mov_b32 s2, exec_lo
                                        ; implicit-def: $vgpr3_vgpr4
                                        ; implicit-def: $vgpr1_vgpr2
	v_cmpx_gt_i32_e64 s16, v0
	s_cbranch_execz .LBB161_16
; %bb.9:
	v_mov_b32_e32 v5, 0
	v_mov_b32_e32 v6, 0
	v_ashrrev_i32_e32 v1, 31, v0
	s_cmp_lt_i32 s14, 0
	s_cbranch_scc1 .LBB161_12
; %bb.10:
	s_clause 0x1
	s_load_b32 s5, s[0:1], 0x58
	s_load_b64 s[0:1], s[0:1], 0x48
	s_ashr_i32 s17, s16, 31
	s_mul_hi_u32 s15, s16, s8
	s_mul_i32 s18, s17, s8
	s_mul_i32 s8, s16, s8
	s_add_i32 s15, s15, s18
	v_lshlrev_b64 v[2:3], 3, v[0:1]
	v_mov_b32_e32 v5, 0
	v_mov_b32_e32 v6, 0
	s_waitcnt lgkmcnt(0)
	s_mul_i32 s15, s15, s5
	s_mul_hi_u32 s19, s8, s5
	s_mul_i32 s18, s8, s5
	s_add_i32 s19, s19, s15
	s_delay_alu instid0(SALU_CYCLE_1) | instskip(NEXT) | instid1(SALU_CYCLE_1)
	s_lshl_b64 s[18:19], s[18:19], 3
	s_add_u32 s0, s0, s18
	s_addc_u32 s1, s1, s19
	v_add_co_u32 v2, vcc_lo, s0, v2
	v_add_co_ci_u32_e32 v3, vcc_lo, s1, v3, vcc_lo
	s_add_i32 s5, s14, 1
	s_lshl_b64 s[0:1], s[16:17], 3
.LBB161_11:                             ; =>This Inner Loop Header: Depth=1
	global_load_b64 v[7:8], v[2:3], off
	v_add_co_u32 v2, vcc_lo, v2, s0
	v_add_co_ci_u32_e32 v3, vcc_lo, s1, v3, vcc_lo
	s_add_i32 s5, s5, -1
	s_delay_alu instid0(SALU_CYCLE_1)
	s_cmp_eq_u32 s5, 0
	s_waitcnt vmcnt(0)
	v_add_f64 v[5:6], v[5:6], v[7:8]
	s_cbranch_scc0 .LBB161_11
.LBB161_12:
	v_cmp_eq_f64_e64 s0, s[12:13], 0
	s_delay_alu instid0(VALU_DEP_2) | instskip(SKIP_1) | instid1(VALU_DEP_3)
	v_mul_lo_u32 v7, v1, s6
	v_mul_lo_u32 v8, v0, s7
	s_and_b32 vcc_lo, exec_lo, s0
	s_cbranch_vccz .LBB161_20
; %bb.13:
	v_mad_u64_u32 v[1:2], null, v0, s6, 0
	v_mul_f64 v[3:4], s[10:11], v[5:6]
	s_delay_alu instid0(VALU_DEP_2)
	v_add3_u32 v2, v2, v8, v7
	s_cbranch_execnz .LBB161_15
.LBB161_14:
	v_mad_u64_u32 v[1:2], null, v0, s6, 0
	s_delay_alu instid0(VALU_DEP_1) | instskip(NEXT) | instid1(VALU_DEP_1)
	v_add3_u32 v2, v2, v8, v7
	v_lshlrev_b64 v[3:4], 3, v[1:2]
	s_delay_alu instid0(VALU_DEP_1) | instskip(NEXT) | instid1(VALU_DEP_2)
	v_add_co_u32 v3, vcc_lo, s3, v3
	v_add_co_ci_u32_e32 v4, vcc_lo, s4, v4, vcc_lo
	global_load_b64 v[3:4], v[3:4], off
	s_waitcnt vmcnt(0)
	v_mul_f64 v[3:4], s[12:13], v[3:4]
	s_delay_alu instid0(VALU_DEP_1)
	v_fma_f64 v[3:4], s[10:11], v[5:6], v[3:4]
.LBB161_15:
	s_or_b32 s9, s9, exec_lo
.LBB161_16:
	s_or_b32 exec_lo, exec_lo, s2
.LBB161_17:
	s_and_saveexec_b32 s0, s9
	s_cbranch_execz .LBB161_19
; %bb.18:
	v_lshlrev_b64 v[0:1], 3, v[1:2]
	s_delay_alu instid0(VALU_DEP_1) | instskip(NEXT) | instid1(VALU_DEP_2)
	v_add_co_u32 v0, vcc_lo, s3, v0
	v_add_co_ci_u32_e32 v1, vcc_lo, s4, v1, vcc_lo
	global_store_b64 v[0:1], v[3:4], off
.LBB161_19:
	s_nop 0
	s_sendmsg sendmsg(MSG_DEALLOC_VGPRS)
	s_endpgm
.LBB161_20:
                                        ; implicit-def: $vgpr3_vgpr4
                                        ; implicit-def: $vgpr1_vgpr2
	s_branch .LBB161_14
	.section	.rodata,"a",@progbits
	.p2align	6, 0x0
	.amdhsa_kernel _ZL36rocblas_hemvn_kernel_upper_block_sumILi64ElPKdPKPddEviT1_lS5_lT2_lT0_lPT3_i
		.amdhsa_group_segment_fixed_size 0
		.amdhsa_private_segment_fixed_size 0
		.amdhsa_kernarg_size 344
		.amdhsa_user_sgpr_count 14
		.amdhsa_user_sgpr_dispatch_ptr 0
		.amdhsa_user_sgpr_queue_ptr 0
		.amdhsa_user_sgpr_kernarg_segment_ptr 1
		.amdhsa_user_sgpr_dispatch_id 0
		.amdhsa_user_sgpr_private_segment_size 0
		.amdhsa_wavefront_size32 1
		.amdhsa_uses_dynamic_stack 0
		.amdhsa_enable_private_segment 0
		.amdhsa_system_sgpr_workgroup_id_x 1
		.amdhsa_system_sgpr_workgroup_id_y 0
		.amdhsa_system_sgpr_workgroup_id_z 1
		.amdhsa_system_sgpr_workgroup_info 0
		.amdhsa_system_vgpr_workitem_id 0
		.amdhsa_next_free_vgpr 9
		.amdhsa_next_free_sgpr 24
		.amdhsa_reserve_vcc 1
		.amdhsa_float_round_mode_32 0
		.amdhsa_float_round_mode_16_64 0
		.amdhsa_float_denorm_mode_32 3
		.amdhsa_float_denorm_mode_16_64 3
		.amdhsa_dx10_clamp 1
		.amdhsa_ieee_mode 1
		.amdhsa_fp16_overflow 0
		.amdhsa_workgroup_processor_mode 1
		.amdhsa_memory_ordered 1
		.amdhsa_forward_progress 0
		.amdhsa_shared_vgpr_count 0
		.amdhsa_exception_fp_ieee_invalid_op 0
		.amdhsa_exception_fp_denorm_src 0
		.amdhsa_exception_fp_ieee_div_zero 0
		.amdhsa_exception_fp_ieee_overflow 0
		.amdhsa_exception_fp_ieee_underflow 0
		.amdhsa_exception_fp_ieee_inexact 0
		.amdhsa_exception_int_div_zero 0
	.end_amdhsa_kernel
	.section	.text._ZL36rocblas_hemvn_kernel_upper_block_sumILi64ElPKdPKPddEviT1_lS5_lT2_lT0_lPT3_i,"axG",@progbits,_ZL36rocblas_hemvn_kernel_upper_block_sumILi64ElPKdPKPddEviT1_lS5_lT2_lT0_lPT3_i,comdat
.Lfunc_end161:
	.size	_ZL36rocblas_hemvn_kernel_upper_block_sumILi64ElPKdPKPddEviT1_lS5_lT2_lT0_lPT3_i, .Lfunc_end161-_ZL36rocblas_hemvn_kernel_upper_block_sumILi64ElPKdPKPddEviT1_lS5_lT2_lT0_lPT3_i
                                        ; -- End function
	.section	.AMDGPU.csdata,"",@progbits
; Kernel info:
; codeLenInByte = 812
; NumSgprs: 26
; NumVgprs: 9
; ScratchSize: 0
; MemoryBound: 0
; FloatMode: 240
; IeeeMode: 1
; LDSByteSize: 0 bytes/workgroup (compile time only)
; SGPRBlocks: 3
; VGPRBlocks: 1
; NumSGPRsForWavesPerEU: 26
; NumVGPRsForWavesPerEU: 9
; Occupancy: 16
; WaveLimiterHint : 1
; COMPUTE_PGM_RSRC2:SCRATCH_EN: 0
; COMPUTE_PGM_RSRC2:USER_SGPR: 14
; COMPUTE_PGM_RSRC2:TRAP_HANDLER: 0
; COMPUTE_PGM_RSRC2:TGID_X_EN: 1
; COMPUTE_PGM_RSRC2:TGID_Y_EN: 0
; COMPUTE_PGM_RSRC2:TGID_Z_EN: 1
; COMPUTE_PGM_RSRC2:TIDIG_COMP_CNT: 0
	.section	.text._ZL26rocblas_hemvn_kernel_upperILb0ELi64ELi4ELi33ELi32ELi16EiPKdPKS1_PdEviT6_lT7_lT5_lS6_lS7_lS5_lT8_i,"axG",@progbits,_ZL26rocblas_hemvn_kernel_upperILb0ELi64ELi4ELi33ELi32ELi16EiPKdPKS1_PdEviT6_lT7_lT5_lS6_lS7_lS5_lT8_i,comdat
	.globl	_ZL26rocblas_hemvn_kernel_upperILb0ELi64ELi4ELi33ELi32ELi16EiPKdPKS1_PdEviT6_lT7_lT5_lS6_lS7_lS5_lT8_i ; -- Begin function _ZL26rocblas_hemvn_kernel_upperILb0ELi64ELi4ELi33ELi32ELi16EiPKdPKS1_PdEviT6_lT7_lT5_lS6_lS7_lS5_lT8_i
	.p2align	8
	.type	_ZL26rocblas_hemvn_kernel_upperILb0ELi64ELi4ELi33ELi32ELi16EiPKdPKS1_PdEviT6_lT7_lT5_lS6_lS7_lS5_lT8_i,@function
_ZL26rocblas_hemvn_kernel_upperILb0ELi64ELi4ELi33ELi32ELi16EiPKdPKS1_PdEviT6_lT7_lT5_lS6_lS7_lS5_lT8_i: ; @_ZL26rocblas_hemvn_kernel_upperILb0ELi64ELi4ELi33ELi32ELi16EiPKdPKS1_PdEviT6_lT7_lT5_lS6_lS7_lS5_lT8_i
; %bb.0:
	s_load_b64 s[4:5], s[0:1], 0x84
	s_add_u32 s2, s0, 0x78
	s_addc_u32 s3, s1, 0
	s_waitcnt lgkmcnt(0)
	s_lshr_b32 s6, s4, 16
	s_and_b32 s4, s4, 0xffff
	s_and_b32 s5, s5, 0xffff
	s_mul_i32 s4, s6, s4
	s_delay_alu instid0(SALU_CYCLE_1) | instskip(NEXT) | instid1(SALU_CYCLE_1)
	s_mul_i32 s4, s4, s5
	s_cmpk_lg_i32 s4, 0x100
	s_cbranch_scc1 .LBB162_6
; %bb.1:
	s_clause 0x1
	s_load_b256 s[4:11], s[0:1], 0x8
	s_load_b128 s[16:19], s[0:1], 0x58
	s_mov_b32 s12, s15
	s_waitcnt lgkmcnt(0)
	s_mul_i32 s7, s15, s7
	s_mul_hi_u32 s13, s15, s6
	s_mul_i32 s6, s15, s6
	s_add_i32 s7, s13, s7
	s_mul_i32 s13, s15, s19
	s_lshl_b64 s[6:7], s[6:7], 3
	s_mul_hi_u32 s15, s15, s18
	s_add_u32 s4, s4, s6
	s_addc_u32 s5, s5, s7
	s_add_i32 s7, s15, s13
	s_mul_i32 s6, s12, s18
	s_delay_alu instid0(SALU_CYCLE_1) | instskip(NEXT) | instid1(SALU_CYCLE_1)
	s_lshl_b64 s[6:7], s[6:7], 3
	s_add_u32 s16, s16, s6
	s_addc_u32 s17, s17, s7
	s_load_b64 s[6:7], s[4:5], 0x0
	s_load_b64 s[4:5], s[16:17], 0x0
	s_waitcnt lgkmcnt(0)
	v_cmp_eq_f64_e64 s13, s[6:7], 0
	v_cmp_eq_f64_e64 s4, s[4:5], 1.0
	s_delay_alu instid0(VALU_DEP_1) | instskip(NEXT) | instid1(SALU_CYCLE_1)
	s_and_b32 s4, s13, s4
	s_and_b32 vcc_lo, exec_lo, s4
	s_mov_b64 s[4:5], 0
	s_cbranch_vccnz .LBB162_6
; %bb.2:
	v_cmp_neq_f64_e64 s6, s[6:7], 0
	s_and_b32 vcc_lo, exec_lo, s13
	s_mov_b32 s13, 0
	s_cbranch_vccnz .LBB162_4
; %bb.3:
	s_lshl_b64 s[4:5], s[12:13], 3
	s_delay_alu instid0(SALU_CYCLE_1)
	s_add_u32 s4, s8, s4
	s_addc_u32 s5, s9, s5
	s_lshl_b64 s[8:9], s[10:11], 3
	s_load_b64 s[4:5], s[4:5], 0x0
	s_waitcnt lgkmcnt(0)
	s_add_u32 s4, s4, s8
	s_addc_u32 s5, s5, s9
.LBB162_4:
	s_delay_alu instid0(VALU_DEP_1)
	v_cndmask_b32_e64 v1, 0, 1, s6
	s_and_not1_b32 vcc_lo, exec_lo, s6
	s_cbranch_vccnz .LBB162_7
; %bb.5:
	s_load_b128 s[8:11], s[0:1], 0x38
	s_lshl_b64 s[6:7], s[12:13], 3
	s_waitcnt lgkmcnt(0)
	s_add_u32 s6, s8, s6
	s_addc_u32 s7, s9, s7
	s_lshl_b64 s[8:9], s[10:11], 3
	s_load_b64 s[6:7], s[6:7], 0x0
	s_waitcnt lgkmcnt(0)
	s_add_u32 s6, s6, s8
	s_addc_u32 s7, s7, s9
	v_cmp_ne_u32_e32 vcc_lo, 1, v1
	s_cbranch_vccz .LBB162_8
.LBB162_6:
	s_endpgm
.LBB162_7:
	s_mov_b64 s[6:7], 0
	s_delay_alu instid0(VALU_DEP_1)
	v_cmp_ne_u32_e32 vcc_lo, 1, v1
	s_cbranch_vccnz .LBB162_6
.LBB162_8:
	s_clause 0x1
	s_load_b32 s26, s[0:1], 0x48
	s_load_b32 s13, s[0:1], 0x0
	v_and_b32_e32 v25, 0x3ff, v0
	s_lshl_b32 s16, s14, 6
	s_load_b32 s15, s[2:3], 0x0
	s_load_b64 s[18:19], s[0:1], 0x68
	v_bfe_u32 v94, v0, 10, 10
	v_add_nc_u32_e32 v24, s16, v25
	s_waitcnt lgkmcnt(0)
	s_delay_alu instid0(VALU_DEP_1) | instskip(SKIP_1) | instid1(SALU_CYCLE_1)
	v_mul_lo_u32 v1, v24, s26
	s_ashr_i32 s27, s13, 31
	s_lshr_b32 s2, s27, 26
	s_add_i32 s3, s15, -1
	s_add_i32 s2, s13, s2
	s_delay_alu instid0(SALU_CYCLE_1) | instskip(NEXT) | instid1(VALU_DEP_1)
	s_and_not1_b32 s2, s2, 63
	v_ashrrev_i32_e32 v2, 31, v1
	s_sub_i32 s28, s13, s2
	v_cmp_eq_u32_e64 s2, 0, v94
	s_cmp_eq_u32 s14, s3
	s_cselect_b32 s8, s28, 0
	v_lshlrev_b64 v[1:2], 3, v[1:2]
	s_delay_alu instid0(VALU_DEP_1) | instskip(NEXT) | instid1(VALU_DEP_2)
	v_add_co_u32 v14, vcc_lo, s6, v1
	v_add_co_ci_u32_e32 v15, vcc_lo, s7, v2, vcc_lo
	s_and_saveexec_b32 s3, s2
	s_cbranch_execz .LBB162_12
; %bb.9:
	v_cmp_gt_i32_e32 vcc_lo, s8, v25
	s_cmp_eq_u32 s8, 0
	v_mov_b32_e32 v0, 0
	v_mov_b32_e32 v1, 0
	s_cselect_b32 s6, -1, 0
	s_delay_alu instid0(SALU_CYCLE_1) | instskip(NEXT) | instid1(SALU_CYCLE_1)
	s_or_b32 s7, s6, vcc_lo
	s_and_saveexec_b32 s6, s7
	s_cbranch_execz .LBB162_11
; %bb.10:
	flat_load_b64 v[0:1], v[14:15]
.LBB162_11:
	s_or_b32 exec_lo, exec_lo, s6
	v_lshlrev_b32_e32 v2, 3, v25
	s_waitcnt vmcnt(0) lgkmcnt(0)
	ds_store_b64 v2, v[0:1] offset:9088
.LBB162_12:
	s_or_b32 exec_lo, exec_lo, s3
	s_load_b32 s10, s[0:1], 0x28
	v_lshl_add_u32 v22, v94, 6, v25
	v_and_b32_e32 v0, 31, v25
	s_ashr_i32 s17, s16, 31
	s_delay_alu instid0(SALU_CYCLE_1) | instskip(NEXT) | instid1(VALU_DEP_2)
	s_lshl_b64 s[0:1], s[16:17], 3
	v_lshrrev_b32_e32 v11, 5, v22
	s_add_u32 s3, s4, s0
	s_addc_u32 s4, s5, s1
	v_lshlrev_b32_e32 v18, 3, v0
	s_waitcnt lgkmcnt(0)
	v_mad_u64_u32 v[1:2], null, v11, s10, v[0:1]
	s_mul_i32 s0, s16, s10
	s_delay_alu instid0(SALU_CYCLE_1) | instskip(NEXT) | instid1(SALU_CYCLE_1)
	s_ashr_i32 s1, s0, 31
	s_lshl_b64 s[0:1], s[0:1], 3
	s_delay_alu instid0(SALU_CYCLE_1) | instskip(NEXT) | instid1(VALU_DEP_1)
	s_add_u32 s3, s0, s3
	v_ashrrev_i32_e32 v2, 31, v1
	s_addc_u32 s4, s1, s4
	s_cmp_eq_u32 s8, 0
	v_cmp_gt_i32_e64 s0, s8, v0
	s_cselect_b32 s29, -1, 0
	v_lshlrev_b64 v[12:13], 3, v[1:2]
	s_cmp_lg_u32 s8, 0
	s_cselect_b32 s7, -1, 0
	s_delay_alu instid0(SALU_CYCLE_1) | instskip(NEXT) | instid1(VALU_DEP_1)
	s_and_b32 vcc_lo, exec_lo, s7
	v_add_co_u32 v3, s1, s3, v12
	s_delay_alu instid0(VALU_DEP_1)
	v_add_co_ci_u32_e64 v4, s1, s4, v13, s1
	s_cbranch_vccz .LBB162_22
; %bb.13:
	s_delay_alu instid0(VALU_DEP_2) | instskip(SKIP_1) | instid1(VALU_DEP_2)
	v_sub_co_u32 v1, vcc_lo, v3, v18
	s_ashr_i32 s9, s8, 31
	v_subrev_co_ci_u32_e32 v2, vcc_lo, 0, v4, vcc_lo
	s_lshl_b64 s[4:5], s[8:9], 3
	v_mov_b32_e32 v7, 0
	v_add_co_u32 v1, vcc_lo, v1, s4
	s_delay_alu instid0(VALU_DEP_3) | instskip(SKIP_1) | instid1(VALU_DEP_3)
	v_add_co_ci_u32_e32 v2, vcc_lo, s5, v2, vcc_lo
	v_mov_b32_e32 v8, 0
	v_add_co_u32 v1, vcc_lo, v1, -8
	s_delay_alu instid0(VALU_DEP_3) | instskip(NEXT) | instid1(VALU_DEP_3)
	v_add_co_ci_u32_e32 v2, vcc_lo, -1, v2, vcc_lo
	v_dual_mov_b32 v5, v7 :: v_dual_mov_b32 v6, v8
	s_delay_alu instid0(VALU_DEP_3) | instskip(NEXT) | instid1(VALU_DEP_3)
	v_cndmask_b32_e64 v1, v1, v3, s0
	v_cndmask_b32_e64 v2, v2, v4, s0
	s_mov_b32 s1, exec_lo
	v_cmpx_gt_i32_e64 s8, v11
	s_cbranch_execz .LBB162_15
; %bb.14:
	flat_load_b64 v[5:6], v[1:2]
.LBB162_15:
	s_or_b32 exec_lo, exec_lo, s1
	v_mul_u32_u24_e32 v9, 33, v11
	v_add_nc_u32_e32 v10, 8, v11
	s_mov_b32 s1, exec_lo
	s_delay_alu instid0(VALU_DEP_2)
	v_add_lshl_u32 v16, v9, v0, 3
	s_waitcnt vmcnt(0) lgkmcnt(0)
	ds_store_b64 v16, v[5:6]
	v_cmpx_gt_i32_e64 s8, v10
	s_cbranch_execz .LBB162_17
; %bb.16:
	s_lshl_b32 s20, s10, 3
	s_delay_alu instid0(SALU_CYCLE_1) | instskip(NEXT) | instid1(SALU_CYCLE_1)
	s_ashr_i32 s21, s20, 31
	s_lshl_b64 s[20:21], s[20:21], 3
	s_delay_alu instid0(SALU_CYCLE_1)
	v_add_co_u32 v5, vcc_lo, v1, s20
	v_add_co_ci_u32_e32 v6, vcc_lo, s21, v2, vcc_lo
	flat_load_b64 v[7:8], v[5:6]
.LBB162_17:
	s_or_b32 exec_lo, exec_lo, s1
	v_mov_b32_e32 v5, 0
	v_dual_mov_b32 v6, 0 :: v_dual_add_nc_u32 v9, 16, v11
	s_waitcnt vmcnt(0) lgkmcnt(0)
	ds_store_b64 v16, v[7:8] offset:2112
	v_cmp_gt_i32_e32 vcc_lo, s8, v9
	v_dual_mov_b32 v10, v6 :: v_dual_mov_b32 v9, v5
	s_and_saveexec_b32 s1, vcc_lo
	s_cbranch_execz .LBB162_19
; %bb.18:
	s_lshl_b32 s20, s10, 4
	s_delay_alu instid0(SALU_CYCLE_1) | instskip(NEXT) | instid1(SALU_CYCLE_1)
	s_ashr_i32 s21, s20, 31
	s_lshl_b64 s[20:21], s[20:21], 3
	s_delay_alu instid0(SALU_CYCLE_1)
	v_add_co_u32 v7, vcc_lo, v1, s20
	v_add_co_ci_u32_e32 v8, vcc_lo, s21, v2, vcc_lo
	flat_load_b64 v[9:10], v[7:8]
.LBB162_19:
	s_or_b32 exec_lo, exec_lo, s1
	v_add_nc_u32_e32 v7, 24, v11
	s_mov_b32 s1, exec_lo
	s_waitcnt vmcnt(0) lgkmcnt(0)
	ds_store_b64 v16, v[9:10] offset:4224
	v_cmpx_gt_i32_e64 s8, v7
	s_cbranch_execz .LBB162_21
; %bb.20:
	s_mul_i32 s20, s10, 24
	s_delay_alu instid0(SALU_CYCLE_1) | instskip(NEXT) | instid1(SALU_CYCLE_1)
	s_ashr_i32 s21, s20, 31
	s_lshl_b64 s[20:21], s[20:21], 3
	s_delay_alu instid0(SALU_CYCLE_1)
	v_add_co_u32 v5, vcc_lo, v1, s20
	v_add_co_ci_u32_e32 v6, vcc_lo, s21, v2, vcc_lo
	flat_load_b64 v[5:6], v[5:6]
.LBB162_21:
	s_or_b32 exec_lo, exec_lo, s1
	v_add_co_u32 v1, vcc_lo, v1, v18
	v_add_co_ci_u32_e32 v2, vcc_lo, 0, v2, vcc_lo
	s_waitcnt vmcnt(0) lgkmcnt(0)
	ds_store_b64 v16, v[5:6] offset:6336
	v_sub_co_u32 v1, vcc_lo, v1, s4
	v_subrev_co_ci_u32_e32 v2, vcc_lo, s5, v2, vcc_lo
	s_delay_alu instid0(VALU_DEP_2) | instskip(NEXT) | instid1(VALU_DEP_2)
	v_add_co_u32 v1, vcc_lo, v1, 8
	v_add_co_ci_u32_e32 v2, vcc_lo, 0, v2, vcc_lo
	s_delay_alu instid0(VALU_DEP_2) | instskip(NEXT) | instid1(VALU_DEP_2)
	v_cndmask_b32_e64 v1, v1, v3, s0
	v_cndmask_b32_e64 v2, v2, v4, s0
	v_mul_u32_u24_e32 v20, 33, v11
	s_branch .LBB162_24
.LBB162_22:
                                        ; implicit-def: $vgpr1_vgpr2
	v_mul_u32_u24_e32 v20, 33, v11
	s_cbranch_execz .LBB162_24
; %bb.23:
	flat_load_b64 v[1:2], v[3:4]
	s_lshl_b32 s0, s10, 3
	v_add_lshl_u32 v7, v20, v0, 3
	s_ashr_i32 s1, s0, 31
	s_ashr_i32 s11, s10, 31
	s_lshl_b64 s[0:1], s[0:1], 3
	s_delay_alu instid0(SALU_CYCLE_1)
	v_add_co_u32 v5, vcc_lo, v3, s0
	v_add_co_ci_u32_e32 v6, vcc_lo, s1, v4, vcc_lo
	s_lshl_b64 s[0:1], s[10:11], 6
	s_waitcnt vmcnt(0) lgkmcnt(0)
	ds_store_b64 v7, v[1:2]
	flat_load_b64 v[1:2], v[5:6]
	v_add_co_u32 v5, vcc_lo, v5, s0
	v_add_co_ci_u32_e32 v6, vcc_lo, s1, v6, vcc_lo
	s_waitcnt vmcnt(0) lgkmcnt(0)
	ds_store_b64 v7, v[1:2] offset:2112
	flat_load_b64 v[1:2], v[5:6]
	v_add_co_u32 v5, vcc_lo, v5, s0
	v_add_co_ci_u32_e32 v6, vcc_lo, s1, v6, vcc_lo
	s_waitcnt vmcnt(0) lgkmcnt(0)
	ds_store_b64 v7, v[1:2] offset:4224
	flat_load_b64 v[5:6], v[5:6]
	v_dual_mov_b32 v1, v3 :: v_dual_mov_b32 v2, v4
	s_waitcnt vmcnt(0) lgkmcnt(0)
	ds_store_b64 v7, v[5:6] offset:6336
.LBB162_24:
	v_lshlrev_b32_e32 v3, 2, v11
	v_mul_u32_u24_e32 v19, 33, v0
	v_mul_u32_u24_e32 v4, 0x84, v11
	s_waitcnt lgkmcnt(0)
	s_barrier
	v_cmp_gt_u32_e64 s1, v3, v0
	v_add_lshl_u32 v31, v3, v19, 3
	buffer_gl0_inv
	s_and_saveexec_b32 s0, s1
	s_cbranch_execz .LBB162_26
; %bb.25:
	v_add_lshl_u32 v5, v4, v0, 3
	ds_load_b64 v[5:6], v5
	s_waitcnt lgkmcnt(0)
	ds_store_b64 v31, v[5:6]
.LBB162_26:
	s_or_b32 exec_lo, exec_lo, s0
	v_cmp_ge_u32_e64 s3, v3, v0
	s_delay_alu instid0(VALU_DEP_1)
	s_and_saveexec_b32 s0, s3
	s_cbranch_execz .LBB162_28
; %bb.27:
	v_or_b32_e32 v5, 1, v3
	s_delay_alu instid0(VALU_DEP_1) | instskip(NEXT) | instid1(VALU_DEP_1)
	v_mul_u32_u24_e32 v5, 33, v5
	v_add_lshl_u32 v5, v5, v0, 3
	ds_load_b64 v[5:6], v5
	s_waitcnt lgkmcnt(0)
	ds_store_b64 v31, v[5:6] offset:8
.LBB162_28:
	s_or_b32 exec_lo, exec_lo, s0
	v_or_b32_e32 v5, 2, v3
	s_delay_alu instid0(VALU_DEP_1) | instskip(NEXT) | instid1(VALU_DEP_1)
	v_cmp_gt_u32_e64 s4, v5, v0
	s_and_saveexec_b32 s0, s4
	s_cbranch_execz .LBB162_30
; %bb.29:
	v_mul_u32_u24_e32 v5, 33, v5
	s_delay_alu instid0(VALU_DEP_1)
	v_add_lshl_u32 v5, v5, v0, 3
	ds_load_b64 v[5:6], v5
	s_waitcnt lgkmcnt(0)
	ds_store_b64 v31, v[5:6] offset:16
.LBB162_30:
	s_or_b32 exec_lo, exec_lo, s0
	v_or_b32_e32 v5, 3, v3
	s_delay_alu instid0(VALU_DEP_1) | instskip(SKIP_1) | instid1(VALU_DEP_2)
	v_mad_u32_u24 v6, v5, 33, v0
	v_cmp_gt_u32_e64 s5, v5, v0
	v_lshlrev_b32_e32 v21, 3, v6
	s_delay_alu instid0(VALU_DEP_2)
	s_and_saveexec_b32 s0, s5
	s_cbranch_execz .LBB162_32
; %bb.31:
	ds_load_b64 v[5:6], v21
	s_waitcnt lgkmcnt(0)
	ds_store_b64 v31, v[5:6] offset:24
.LBB162_32:
	s_or_b32 exec_lo, exec_lo, s0
	v_add_lshl_u32 v29, v4, v0, 3
	v_lshlrev_b32_e32 v32, 3, v3
	v_dual_mov_b32 v26, 0 :: v_dual_lshlrev_b32 v23, 3, v19
	s_waitcnt lgkmcnt(0)
	s_barrier
	buffer_gl0_inv
	v_mov_b32_e32 v27, 0
	ds_load_b64 v[7:8], v29
	ds_load_b128 v[3:6], v32 offset:9088
	v_add_nc_u32_e32 v30, 0xfffffdf0, v21
	v_add_lshl_u32 v28, v11, v19, 3
	v_cmp_gt_u32_e64 s0, 32, v22
	s_waitcnt lgkmcnt(0)
	v_fma_f64 v[3:4], v[7:8], v[3:4], 0
	ds_load_2addr_b64 v[7:10], v30 offset1:33
	s_waitcnt lgkmcnt(0)
	v_fma_f64 v[7:8], v[7:8], v[5:6], v[3:4]
	ds_load_b128 v[3:6], v32 offset:9104
	ds_load_b64 v[16:17], v21
	s_waitcnt lgkmcnt(0)
	s_barrier
	buffer_gl0_inv
	v_fma_f64 v[3:4], v[9:10], v[3:4], v[7:8]
	s_delay_alu instid0(VALU_DEP_1)
	v_fma_f64 v[3:4], v[16:17], v[5:6], v[3:4]
	ds_store_b64 v28, v[3:4]
	s_waitcnt lgkmcnt(0)
	s_barrier
	buffer_gl0_inv
	s_and_saveexec_b32 s6, s0
	s_cbranch_execz .LBB162_34
; %bb.33:
	ds_load_2addr_b64 v[3:6], v23 offset1:1
	ds_load_2addr_b64 v[7:10], v23 offset0:2 offset1:3
	s_waitcnt lgkmcnt(1)
	v_add_f64 v[3:4], v[3:4], v[5:6]
	s_waitcnt lgkmcnt(0)
	s_delay_alu instid0(VALU_DEP_1) | instskip(NEXT) | instid1(VALU_DEP_1)
	v_add_f64 v[3:4], v[3:4], v[7:8]
	v_add_f64 v[16:17], v[3:4], v[9:10]
	ds_load_2addr_b64 v[3:6], v23 offset0:4 offset1:5
	ds_load_2addr_b64 v[7:10], v23 offset0:6 offset1:7
	s_waitcnt lgkmcnt(1)
	v_add_f64 v[3:4], v[16:17], v[3:4]
	s_delay_alu instid0(VALU_DEP_1) | instskip(SKIP_1) | instid1(VALU_DEP_1)
	v_add_f64 v[3:4], v[3:4], v[5:6]
	s_waitcnt lgkmcnt(0)
	v_add_f64 v[3:4], v[3:4], v[7:8]
	s_delay_alu instid0(VALU_DEP_1)
	v_add_f64 v[26:27], v[3:4], v[9:10]
.LBB162_34:
	s_or_b32 exec_lo, exec_lo, s6
	s_lshl_b32 s22, s10, 5
	s_delay_alu instid0(SALU_CYCLE_1)
	s_ashr_i32 s23, s22, 31
	s_barrier
	s_lshl_b64 s[20:21], s[22:23], 3
	buffer_gl0_inv
	v_add_co_u32 v3, vcc_lo, v1, s20
	v_add_co_ci_u32_e32 v4, vcc_lo, s21, v2, vcc_lo
	s_delay_alu instid0(VALU_DEP_2) | instskip(NEXT) | instid1(VALU_DEP_2)
	v_add_co_u32 v1, vcc_lo, 0x100, v3
	v_add_co_ci_u32_e32 v2, vcc_lo, 0, v4, vcc_lo
	s_and_b32 vcc_lo, exec_lo, s7
	s_cbranch_vccz .LBB162_44
; %bb.35:
	v_or_b32_e32 v5, 32, v0
	s_ashr_i32 s9, s8, 31
	s_mov_b32 s11, exec_lo
	s_lshl_b64 s[24:25], s[8:9], 3
	s_sub_i32 s9, s8, 32
	v_dual_mov_b32 v9, 0 :: v_dual_lshlrev_b32 v6, 3, v5
	s_delay_alu instid0(VALU_DEP_1) | instskip(SKIP_1) | instid1(VALU_DEP_2)
	v_sub_co_u32 v6, vcc_lo, v1, v6
	v_subrev_co_ci_u32_e32 v7, vcc_lo, 0, v2, vcc_lo
	v_add_co_u32 v6, vcc_lo, v6, s24
	s_delay_alu instid0(VALU_DEP_2) | instskip(NEXT) | instid1(VALU_DEP_2)
	v_add_co_ci_u32_e32 v7, vcc_lo, s25, v7, vcc_lo
	v_add_co_u32 v8, vcc_lo, v6, -8
	s_delay_alu instid0(VALU_DEP_2) | instskip(SKIP_1) | instid1(VALU_DEP_3)
	v_add_co_ci_u32_e32 v6, vcc_lo, -1, v7, vcc_lo
	v_cmp_gt_i32_e32 vcc_lo, s8, v5
	v_dual_mov_b32 v10, 0 :: v_dual_cndmask_b32 v5, v8, v1
	s_delay_alu instid0(VALU_DEP_3) | instskip(NEXT) | instid1(VALU_DEP_2)
	v_dual_cndmask_b32 v6, v6, v2 :: v_dual_mov_b32 v7, v9
	v_mov_b32_e32 v8, v10
	v_cmpx_gt_i32_e64 s9, v11
	s_cbranch_execz .LBB162_37
; %bb.36:
	flat_load_b64 v[7:8], v[5:6]
.LBB162_37:
	s_or_b32 exec_lo, exec_lo, s11
	v_add_nc_u32_e32 v16, 8, v11
	v_add_lshl_u32 v33, v20, v0, 3
	s_mov_b32 s11, exec_lo
	s_waitcnt vmcnt(0) lgkmcnt(0)
	ds_store_b64 v33, v[7:8]
	v_cmpx_gt_i32_e64 s9, v16
	s_cbranch_execz .LBB162_39
; %bb.38:
	s_lshl_b32 s30, s10, 3
	s_delay_alu instid0(SALU_CYCLE_1) | instskip(NEXT) | instid1(SALU_CYCLE_1)
	s_ashr_i32 s31, s30, 31
	s_lshl_b64 s[30:31], s[30:31], 3
	s_delay_alu instid0(SALU_CYCLE_1) | instskip(NEXT) | instid1(VALU_DEP_1)
	v_add_co_u32 v7, s6, v5, s30
	v_add_co_ci_u32_e64 v8, s6, s31, v6, s6
	flat_load_b64 v[9:10], v[7:8]
.LBB162_39:
	s_or_b32 exec_lo, exec_lo, s11
	v_dual_mov_b32 v7, 0 :: v_dual_add_nc_u32 v16, 16, v11
	v_mov_b32_e32 v8, 0
	s_waitcnt vmcnt(0) lgkmcnt(0)
	ds_store_b64 v33, v[9:10] offset:2112
	v_cmp_gt_i32_e64 s6, s9, v16
	v_dual_mov_b32 v17, v8 :: v_dual_mov_b32 v16, v7
	s_delay_alu instid0(VALU_DEP_2)
	s_and_saveexec_b32 s11, s6
	s_cbranch_execz .LBB162_41
; %bb.40:
	s_lshl_b32 s30, s10, 4
	s_delay_alu instid0(SALU_CYCLE_1) | instskip(NEXT) | instid1(SALU_CYCLE_1)
	s_ashr_i32 s31, s30, 31
	s_lshl_b64 s[30:31], s[30:31], 3
	s_delay_alu instid0(SALU_CYCLE_1) | instskip(NEXT) | instid1(VALU_DEP_1)
	v_add_co_u32 v9, s6, v5, s30
	v_add_co_ci_u32_e64 v10, s6, s31, v6, s6
	flat_load_b64 v[16:17], v[9:10]
.LBB162_41:
	s_or_b32 exec_lo, exec_lo, s11
	v_add_nc_u32_e32 v9, 24, v11
	s_waitcnt vmcnt(0) lgkmcnt(0)
	ds_store_b64 v33, v[16:17] offset:4224
	v_cmp_gt_i32_e64 s6, s9, v9
	s_delay_alu instid0(VALU_DEP_1)
	s_and_saveexec_b32 s9, s6
	s_cbranch_execz .LBB162_43
; %bb.42:
	s_mul_i32 s30, s10, 24
	s_delay_alu instid0(SALU_CYCLE_1) | instskip(NEXT) | instid1(SALU_CYCLE_1)
	s_ashr_i32 s31, s30, 31
	s_lshl_b64 s[30:31], s[30:31], 3
	s_delay_alu instid0(SALU_CYCLE_1) | instskip(NEXT) | instid1(VALU_DEP_1)
	v_add_co_u32 v7, s6, v5, s30
	v_add_co_ci_u32_e64 v8, s6, s31, v6, s6
	flat_load_b64 v[7:8], v[7:8]
.LBB162_43:
	s_or_b32 exec_lo, exec_lo, s9
	v_add_co_u32 v5, s6, v5, v18
	s_delay_alu instid0(VALU_DEP_1) | instskip(SKIP_3) | instid1(VALU_DEP_1)
	v_add_co_ci_u32_e64 v6, s6, 0, v6, s6
	s_waitcnt vmcnt(0) lgkmcnt(0)
	ds_store_b64 v33, v[7:8] offset:6336
	v_sub_co_u32 v5, s6, v5, s24
	v_subrev_co_ci_u32_e64 v6, s6, s25, v6, s6
	s_delay_alu instid0(VALU_DEP_2) | instskip(NEXT) | instid1(VALU_DEP_1)
	v_add_co_u32 v5, s6, 0x108, v5
	v_add_co_ci_u32_e64 v6, s6, 0, v6, s6
	s_delay_alu instid0(VALU_DEP_1)
	v_dual_cndmask_b32 v5, v5, v1 :: v_dual_cndmask_b32 v6, v6, v2
	s_branch .LBB162_46
.LBB162_44:
                                        ; implicit-def: $vgpr5_vgpr6
	s_cbranch_execz .LBB162_46
; %bb.45:
	flat_load_b64 v[5:6], v[3:4] offset:256
	s_lshl_b32 s24, s10, 3
	v_add_lshl_u32 v7, v20, v0, 3
	s_ashr_i32 s25, s24, 31
	s_ashr_i32 s11, s10, 31
	s_lshl_b64 s[24:25], s[24:25], 3
	s_delay_alu instid0(SALU_CYCLE_1)
	v_add_co_u32 v3, vcc_lo, v3, s24
	v_add_co_ci_u32_e32 v4, vcc_lo, s25, v4, vcc_lo
	s_lshl_b64 s[24:25], s[10:11], 6
	s_waitcnt vmcnt(0) lgkmcnt(0)
	ds_store_b64 v7, v[5:6]
	flat_load_b64 v[5:6], v[3:4] offset:256
	v_add_co_u32 v3, vcc_lo, v3, s24
	v_add_co_ci_u32_e32 v4, vcc_lo, s25, v4, vcc_lo
	s_waitcnt vmcnt(0) lgkmcnt(0)
	ds_store_b64 v7, v[5:6] offset:2112
	flat_load_b64 v[5:6], v[3:4] offset:256
	v_add_co_u32 v3, vcc_lo, v3, s24
	v_add_co_ci_u32_e32 v4, vcc_lo, s25, v4, vcc_lo
	s_waitcnt vmcnt(0) lgkmcnt(0)
	ds_store_b64 v7, v[5:6] offset:4224
	flat_load_b64 v[3:4], v[3:4] offset:256
	v_dual_mov_b32 v6, v2 :: v_dual_mov_b32 v5, v1
	s_waitcnt vmcnt(0) lgkmcnt(0)
	ds_store_b64 v7, v[3:4] offset:6336
.LBB162_46:
	s_waitcnt lgkmcnt(0)
	s_barrier
	buffer_gl0_inv
	s_and_saveexec_b32 s6, s1
	s_cbranch_execnz .LBB162_63
; %bb.47:
	s_or_b32 exec_lo, exec_lo, s6
	s_and_saveexec_b32 s1, s3
	s_cbranch_execnz .LBB162_64
.LBB162_48:
	s_or_b32 exec_lo, exec_lo, s1
	s_and_saveexec_b32 s1, s4
	s_cbranch_execnz .LBB162_65
.LBB162_49:
	s_or_b32 exec_lo, exec_lo, s1
	v_add_nc_u32_e32 v32, 0x2380, v32
	s_and_saveexec_b32 s1, s5
	s_cbranch_execz .LBB162_51
.LBB162_50:
	ds_load_b64 v[1:2], v21
	s_waitcnt lgkmcnt(0)
	ds_store_b64 v31, v[1:2] offset:24
.LBB162_51:
	s_or_b32 exec_lo, exec_lo, s1
	s_waitcnt lgkmcnt(0)
	s_barrier
	buffer_gl0_inv
	ds_load_b64 v[7:8], v29
	ds_load_b128 v[1:4], v32 offset:256
	v_cmp_eq_u32_e64 s1, 1, v11
	s_waitcnt lgkmcnt(0)
	v_fma_f64 v[1:2], v[7:8], v[1:2], 0
	ds_load_2addr_b64 v[7:10], v30 offset1:33
	s_waitcnt lgkmcnt(0)
	v_fma_f64 v[7:8], v[7:8], v[3:4], v[1:2]
	ds_load_b128 v[1:4], v32 offset:272
	ds_load_b64 v[16:17], v21
	s_waitcnt lgkmcnt(0)
	s_barrier
	buffer_gl0_inv
	v_fma_f64 v[1:2], v[9:10], v[1:2], v[7:8]
	s_delay_alu instid0(VALU_DEP_1)
	v_fma_f64 v[1:2], v[16:17], v[3:4], v[1:2]
	ds_store_b64 v28, v[1:2]
	s_waitcnt lgkmcnt(0)
	s_barrier
	buffer_gl0_inv
	s_and_saveexec_b32 s3, s1
	s_cbranch_execz .LBB162_53
; %bb.52:
	ds_load_2addr_b64 v[1:4], v23 offset1:1
	ds_load_2addr_b64 v[7:10], v23 offset0:2 offset1:3
	s_waitcnt lgkmcnt(1)
	v_add_f64 v[1:2], v[1:2], v[3:4]
	s_waitcnt lgkmcnt(0)
	s_delay_alu instid0(VALU_DEP_1) | instskip(NEXT) | instid1(VALU_DEP_1)
	v_add_f64 v[1:2], v[1:2], v[7:8]
	v_add_f64 v[16:17], v[1:2], v[9:10]
	ds_load_2addr_b64 v[1:4], v23 offset0:4 offset1:5
	ds_load_2addr_b64 v[7:10], v23 offset0:6 offset1:7
	s_waitcnt lgkmcnt(1)
	v_add_f64 v[1:2], v[16:17], v[1:2]
	s_delay_alu instid0(VALU_DEP_1) | instskip(SKIP_1) | instid1(VALU_DEP_1)
	v_add_f64 v[1:2], v[1:2], v[3:4]
	s_waitcnt lgkmcnt(0)
	v_add_f64 v[1:2], v[1:2], v[7:8]
	s_delay_alu instid0(VALU_DEP_1)
	v_add_f64 v[26:27], v[1:2], v[9:10]
.LBB162_53:
	s_or_b32 exec_lo, exec_lo, s3
	v_add_co_u32 v1, vcc_lo, 0xffffff00, v5
	v_add_co_ci_u32_e32 v2, vcc_lo, -1, v6, vcc_lo
	s_and_b32 vcc_lo, exec_lo, s7
	s_barrier
	buffer_gl0_inv
	s_cbranch_vccz .LBB162_66
; %bb.54:
	v_sub_co_u32 v3, vcc_lo, v1, v18
	s_ashr_i32 s9, s8, 31
	v_subrev_co_ci_u32_e32 v4, vcc_lo, 0, v2, vcc_lo
	s_lshl_b64 s[4:5], s[8:9], 3
	s_sub_i32 s6, s8, 32
	v_add_co_u32 v3, vcc_lo, v3, s4
	s_delay_alu instid0(VALU_DEP_2) | instskip(SKIP_1) | instid1(VALU_DEP_2)
	v_add_co_ci_u32_e32 v4, vcc_lo, s5, v4, vcc_lo
	s_mov_b32 s7, exec_lo
	v_add_co_u32 v3, vcc_lo, v3, -8
	s_delay_alu instid0(VALU_DEP_2) | instskip(SKIP_2) | instid1(VALU_DEP_4)
	v_add_co_ci_u32_e32 v4, vcc_lo, -1, v4, vcc_lo
	v_cmp_gt_i32_e32 vcc_lo, s8, v0
	v_mov_b32_e32 v7, 0
	v_dual_mov_b32 v8, 0 :: v_dual_cndmask_b32 v3, v3, v1
	s_delay_alu instid0(VALU_DEP_2) | instskip(NEXT) | instid1(VALU_DEP_2)
	v_dual_cndmask_b32 v4, v4, v2 :: v_dual_mov_b32 v5, v7
	v_mov_b32_e32 v6, v8
	v_cmpx_gt_i32_e64 s6, v11
	s_cbranch_execz .LBB162_56
; %bb.55:
	flat_load_b64 v[5:6], v[3:4]
.LBB162_56:
	s_or_b32 exec_lo, exec_lo, s7
	v_add_nc_u32_e32 v31, 8, v11
	v_add_lshl_u32 v34, v20, v0, 3
	s_mov_b32 s7, exec_lo
	s_waitcnt vmcnt(0) lgkmcnt(0)
	ds_store_b64 v34, v[5:6]
	v_cmpx_gt_i32_e64 s6, v31
	s_cbranch_execz .LBB162_58
; %bb.57:
	s_lshl_b32 s24, s10, 3
	s_delay_alu instid0(SALU_CYCLE_1) | instskip(NEXT) | instid1(SALU_CYCLE_1)
	s_ashr_i32 s25, s24, 31
	s_lshl_b64 s[24:25], s[24:25], 3
	s_delay_alu instid0(SALU_CYCLE_1) | instskip(NEXT) | instid1(VALU_DEP_1)
	v_add_co_u32 v5, s3, v3, s24
	v_add_co_ci_u32_e64 v6, s3, s25, v4, s3
	flat_load_b64 v[7:8], v[5:6]
.LBB162_58:
	s_or_b32 exec_lo, exec_lo, s7
	v_mov_b32_e32 v5, 0
	v_dual_mov_b32 v6, 0 :: v_dual_add_nc_u32 v33, 16, v11
	s_mov_b32 s7, exec_lo
	s_waitcnt vmcnt(0) lgkmcnt(0)
	ds_store_b64 v34, v[7:8] offset:2112
	v_dual_mov_b32 v10, v6 :: v_dual_mov_b32 v9, v5
	v_cmpx_gt_i32_e64 s6, v33
	s_cbranch_execz .LBB162_60
; %bb.59:
	s_lshl_b32 s24, s10, 4
	s_delay_alu instid0(SALU_CYCLE_1) | instskip(NEXT) | instid1(SALU_CYCLE_1)
	s_ashr_i32 s25, s24, 31
	s_lshl_b64 s[24:25], s[24:25], 3
	s_delay_alu instid0(SALU_CYCLE_1) | instskip(NEXT) | instid1(VALU_DEP_1)
	v_add_co_u32 v7, s3, v3, s24
	v_add_co_ci_u32_e64 v8, s3, s25, v4, s3
	flat_load_b64 v[9:10], v[7:8]
.LBB162_60:
	s_or_b32 exec_lo, exec_lo, s7
	v_add_nc_u32_e32 v7, 24, v11
	s_waitcnt vmcnt(0) lgkmcnt(0)
	ds_store_b64 v34, v[9:10] offset:4224
	v_cmp_gt_i32_e64 s3, s6, v7
	s_delay_alu instid0(VALU_DEP_1)
	s_and_saveexec_b32 s6, s3
	s_cbranch_execz .LBB162_62
; %bb.61:
	s_mul_i32 s24, s10, 24
	s_delay_alu instid0(SALU_CYCLE_1) | instskip(NEXT) | instid1(SALU_CYCLE_1)
	s_ashr_i32 s25, s24, 31
	s_lshl_b64 s[24:25], s[24:25], 3
	s_delay_alu instid0(SALU_CYCLE_1) | instskip(NEXT) | instid1(VALU_DEP_1)
	v_add_co_u32 v5, s3, v3, s24
	v_add_co_ci_u32_e64 v6, s3, s25, v4, s3
	flat_load_b64 v[5:6], v[5:6]
.LBB162_62:
	s_or_b32 exec_lo, exec_lo, s6
	v_add_co_u32 v3, s3, v3, v18
	s_delay_alu instid0(VALU_DEP_1) | instskip(SKIP_3) | instid1(VALU_DEP_1)
	v_add_co_ci_u32_e64 v4, s3, 0, v4, s3
	s_waitcnt vmcnt(0) lgkmcnt(0)
	ds_store_b64 v34, v[5:6] offset:6336
	v_sub_co_u32 v3, s3, v3, s4
	v_subrev_co_ci_u32_e64 v4, s3, s5, v4, s3
	s_delay_alu instid0(VALU_DEP_2) | instskip(NEXT) | instid1(VALU_DEP_1)
	v_add_co_u32 v3, s3, v3, 8
	v_add_co_ci_u32_e64 v4, s3, 0, v4, s3
	s_delay_alu instid0(VALU_DEP_1)
	v_dual_cndmask_b32 v16, v3, v1 :: v_dual_cndmask_b32 v17, v4, v2
	s_branch .LBB162_68
.LBB162_63:
	ds_load_b64 v[1:2], v29
	s_waitcnt lgkmcnt(0)
	ds_store_b64 v31, v[1:2]
	s_or_b32 exec_lo, exec_lo, s6
	s_and_saveexec_b32 s1, s3
	s_cbranch_execz .LBB162_48
.LBB162_64:
	ds_load_b64 v[1:2], v30
	s_waitcnt lgkmcnt(0)
	ds_store_b64 v31, v[1:2] offset:8
	s_or_b32 exec_lo, exec_lo, s1
	s_and_saveexec_b32 s1, s4
	s_cbranch_execz .LBB162_49
.LBB162_65:
	ds_load_b64 v[1:2], v30 offset:264
	s_waitcnt lgkmcnt(0)
	ds_store_b64 v31, v[1:2] offset:16
	s_or_b32 exec_lo, exec_lo, s1
	v_add_nc_u32_e32 v32, 0x2380, v32
	s_and_saveexec_b32 s1, s5
	s_cbranch_execnz .LBB162_50
	s_branch .LBB162_51
.LBB162_66:
                                        ; implicit-def: $vgpr16_vgpr17
                                        ; implicit-def: $vgpr31
                                        ; implicit-def: $vgpr33
                                        ; implicit-def: $vgpr7
	s_cbranch_execz .LBB162_68
; %bb.67:
	flat_load_b64 v[3:4], v[1:2]
	s_lshl_b32 s4, s10, 3
	v_add_lshl_u32 v0, v20, v0, 3
	s_ashr_i32 s5, s4, 31
	s_ashr_i32 s11, s10, 31
	s_lshl_b64 s[4:5], s[4:5], 3
	v_mov_b32_e32 v17, v2
	v_add_co_u32 v5, vcc_lo, v1, s4
	v_add_co_ci_u32_e32 v6, vcc_lo, s5, v2, vcc_lo
	s_lshl_b64 s[4:5], s[10:11], 6
	v_dual_mov_b32 v16, v1 :: v_dual_add_nc_u32 v31, 8, v11
	v_add_nc_u32_e32 v33, 16, v11
	v_add_nc_u32_e32 v7, 24, v11
	s_waitcnt vmcnt(0) lgkmcnt(0)
	ds_store_b64 v0, v[3:4]
	flat_load_b64 v[3:4], v[5:6]
	v_add_co_u32 v5, vcc_lo, v5, s4
	v_add_co_ci_u32_e32 v6, vcc_lo, s5, v6, vcc_lo
	s_waitcnt vmcnt(0) lgkmcnt(0)
	ds_store_b64 v0, v[3:4] offset:2112
	flat_load_b64 v[3:4], v[5:6]
	v_add_co_u32 v5, vcc_lo, v5, s4
	v_add_co_ci_u32_e32 v6, vcc_lo, s5, v6, vcc_lo
	s_waitcnt vmcnt(0) lgkmcnt(0)
	ds_store_b64 v0, v[3:4] offset:4224
	flat_load_b64 v[3:4], v[5:6]
	s_waitcnt vmcnt(0) lgkmcnt(0)
	ds_store_b64 v0, v[3:4] offset:6336
.LBB162_68:
	v_lshlrev_b32_e32 v0, 3, v11
	s_waitcnt lgkmcnt(0)
	s_barrier
	buffer_gl0_inv
	v_add_lshl_u32 v6, v31, v19, 3
	ds_load_b64 v[4:5], v0 offset:9088
	ds_load_b64 v[8:9], v28
	v_lshlrev_b32_e32 v18, 3, v31
	v_add_lshl_u32 v20, v33, v19, 3
	ds_load_b128 v[0:3], v32 offset:272
	ds_load_b64 v[10:11], v6
	ds_load_b64 v[34:35], v18 offset:9088
	ds_load_b64 v[36:37], v20
	v_lshlrev_b32_e32 v6, 3, v33
	s_waitcnt lgkmcnt(4)
	v_fma_f64 v[4:5], v[8:9], v[4:5], 0
	ds_load_b64 v[8:9], v6 offset:9088
	v_add_lshl_u32 v6, v7, v19, 3
	s_waitcnt lgkmcnt(2)
	v_fma_f64 v[4:5], v[10:11], v[34:35], v[4:5]
	v_lshlrev_b32_e32 v10, 3, v7
	ds_load_b64 v[6:7], v6
	ds_load_b64 v[10:11], v10 offset:9088
	ds_load_b64 v[18:19], v21
	s_waitcnt lgkmcnt(3)
	v_fma_f64 v[4:5], v[36:37], v[8:9], v[4:5]
	s_waitcnt lgkmcnt(1)
	s_delay_alu instid0(VALU_DEP_1)
	v_fma_f64 v[33:34], v[6:7], v[10:11], v[4:5]
	ds_load_b64 v[20:21], v29
	ds_load_b128 v[8:11], v32 offset:256
	ds_load_2addr_b64 v[4:7], v30 offset1:33
	s_waitcnt lgkmcnt(0)
	s_barrier
	buffer_gl0_inv
	ds_store_b64 v28, v[33:34]
	s_waitcnt lgkmcnt(0)
	s_barrier
	buffer_gl0_inv
	s_and_saveexec_b32 s3, s1
	s_cbranch_execz .LBB162_70
; %bb.69:
	ds_load_2addr_b64 v[29:32], v23 offset1:1
	ds_load_2addr_b64 v[33:36], v23 offset0:2 offset1:3
	s_waitcnt lgkmcnt(1)
	v_add_f64 v[26:27], v[26:27], v[29:30]
	s_delay_alu instid0(VALU_DEP_1) | instskip(SKIP_1) | instid1(VALU_DEP_1)
	v_add_f64 v[26:27], v[26:27], v[31:32]
	s_waitcnt lgkmcnt(0)
	v_add_f64 v[26:27], v[26:27], v[33:34]
	s_delay_alu instid0(VALU_DEP_1) | instskip(SKIP_4) | instid1(VALU_DEP_1)
	v_add_f64 v[26:27], v[26:27], v[35:36]
	ds_load_2addr_b64 v[29:32], v23 offset0:4 offset1:5
	ds_load_2addr_b64 v[33:36], v23 offset0:6 offset1:7
	s_waitcnt lgkmcnt(1)
	v_add_f64 v[26:27], v[26:27], v[29:30]
	v_add_f64 v[26:27], v[26:27], v[31:32]
	s_waitcnt lgkmcnt(0)
	s_delay_alu instid0(VALU_DEP_1) | instskip(NEXT) | instid1(VALU_DEP_1)
	v_add_f64 v[26:27], v[26:27], v[33:34]
	v_add_f64 v[26:27], v[26:27], v[35:36]
.LBB162_70:
	s_or_b32 exec_lo, exec_lo, s3
	v_fma_f64 v[8:9], v[20:21], v[8:9], 0
	s_barrier
	buffer_gl0_inv
	v_fma_f64 v[4:5], v[4:5], v[10:11], v[8:9]
	s_delay_alu instid0(VALU_DEP_1) | instskip(NEXT) | instid1(VALU_DEP_1)
	v_fma_f64 v[0:1], v[6:7], v[0:1], v[4:5]
	v_fma_f64 v[0:1], v[18:19], v[2:3], v[0:1]
	ds_store_b64 v28, v[0:1]
	s_waitcnt lgkmcnt(0)
	s_barrier
	buffer_gl0_inv
	s_and_saveexec_b32 s1, s0
	s_cbranch_execz .LBB162_72
; %bb.71:
	ds_load_2addr_b64 v[0:3], v23 offset1:1
	ds_load_2addr_b64 v[4:7], v23 offset0:2 offset1:3
	s_waitcnt lgkmcnt(1)
	v_add_f64 v[0:1], v[26:27], v[0:1]
	s_delay_alu instid0(VALU_DEP_1) | instskip(SKIP_1) | instid1(VALU_DEP_1)
	v_add_f64 v[0:1], v[0:1], v[2:3]
	s_waitcnt lgkmcnt(0)
	v_add_f64 v[0:1], v[0:1], v[4:5]
	s_delay_alu instid0(VALU_DEP_1) | instskip(SKIP_4) | instid1(VALU_DEP_1)
	v_add_f64 v[8:9], v[0:1], v[6:7]
	ds_load_2addr_b64 v[0:3], v23 offset0:4 offset1:5
	ds_load_2addr_b64 v[4:7], v23 offset0:6 offset1:7
	s_waitcnt lgkmcnt(1)
	v_add_f64 v[0:1], v[8:9], v[0:1]
	v_add_f64 v[0:1], v[0:1], v[2:3]
	s_waitcnt lgkmcnt(0)
	s_delay_alu instid0(VALU_DEP_1) | instskip(NEXT) | instid1(VALU_DEP_1)
	v_add_f64 v[0:1], v[0:1], v[4:5]
	v_add_f64 v[26:27], v[0:1], v[6:7]
.LBB162_72:
	s_or_b32 exec_lo, exec_lo, s1
	s_mul_hi_u32 s0, s13, s12
	s_mul_i32 s27, s27, s12
	s_mul_i32 s1, s13, s12
	s_add_i32 s0, s0, s27
	s_mul_hi_u32 s4, s1, s15
	s_mul_i32 s3, s0, s15
	s_mul_i32 s0, s1, s15
	s_add_i32 s1, s4, s3
	s_mul_hi_i32 s5, s13, s14
	s_lshl_b64 s[0:1], s[0:1], 3
	s_mul_i32 s4, s13, s14
	s_add_u32 s3, s18, s0
	s_addc_u32 s6, s19, s1
	s_lshl_b64 s[0:1], s[4:5], 3
	v_lshlrev_b32_e32 v95, 3, v25
	s_add_u32 s3, s3, s0
	s_addc_u32 s9, s6, s1
	s_add_i32 s1, s14, 1
	s_delay_alu instid0(SALU_CYCLE_1)
	s_cmp_ge_u32 s1, s15
	s_barrier
	buffer_gl0_inv
	s_cbranch_scc1 .LBB162_129
; %bb.73:
	v_lshlrev_b32_e32 v96, 2, v94
	s_mul_i32 s4, s16, s26
	v_lshrrev_b32_e32 v3, 4, v22
	s_ashr_i32 s5, s4, 31
	v_and_b32_e32 v4, 48, v25
	s_lshl_b64 s[4:5], s[4:5], 3
	v_mad_u64_u32 v[0:1], null, v96, s10, v[25:26]
	v_sub_co_u32 v97, vcc_lo, v14, s4
	v_subrev_co_ci_u32_e32 v98, vcc_lo, s5, v15, vcc_lo
	v_add_co_u32 v99, vcc_lo, v16, s20
	s_lshl_b32 s31, s26, 6
	s_ashr_i32 s11, s10, 31
	s_mul_i32 s26, s26, s1
	s_lshl_b32 s12, s10, 4
	s_lshl_b32 s18, s10, 1
	s_mul_i32 s24, s10, 3
	v_add_co_ci_u32_e32 v100, vcc_lo, s21, v17, vcc_lo
	s_lshl_b32 s4, s26, 6
	s_lshl_b64 s[26:27], s[10:11], 4
	v_and_b32_e32 v2, 15, v25
	v_ashrrev_i32_e32 v1, 31, v0
	s_add_i32 s30, s15, -2
	v_lshlrev_b32_e32 v5, 3, v4
	v_or_b32_e32 v6, 0x78, v95
	v_lshlrev_b32_e32 v7, 5, v3
	s_ashr_i32 s13, s12, 31
	s_ashr_i32 s19, s18, 31
	;; [unrolled: 1-line block ×3, first 2 shown]
	v_add_nc_u32_e32 v4, s16, v4
	s_lshl_b64 s[16:17], s[10:11], 3
	v_sub_co_u32 v123, vcc_lo, 0, v12
	s_add_u32 s1, s26, s20
	v_sub_co_ci_u32_e32 v124, vcc_lo, 0, v13, vcc_lo
	s_addc_u32 s5, s27, s21
	v_add_co_u32 v125, vcc_lo, v16, s1
	v_mad_u32_u24 v103, 0x218, v2, v5
	v_mad_u32_u24 v104, 0x218, v2, v6
	;; [unrolled: 1-line block ×3, first 2 shown]
	v_mul_i32_i24_e32 v7, 0xffffffe8, v3
	v_add3_u32 v28, v4, v2, 64
	v_lshlrev_b64 v[2:3], 3, v[0:1]
	v_add_co_ci_u32_e32 v126, vcc_lo, s5, v17, vcc_lo
	v_add_co_u32 v4, vcc_lo, s22, v0
	v_add_co_ci_u32_e32 v5, vcc_lo, s23, v1, vcc_lo
	s_delay_alu instid0(VALU_DEP_4) | instskip(SKIP_1) | instid1(VALU_DEP_3)
	v_sub_co_u32 v127, vcc_lo, v2, v12
	v_sub_co_ci_u32_e32 v128, vcc_lo, v3, v13, vcc_lo
	v_lshlrev_b64 v[2:3], 3, v[4:5]
	s_lshl_b64 s[6:7], s[12:13], 5
	s_mul_i32 s36, s10, 24
	s_add_u32 s37, s16, s20
	s_addc_u32 s38, s17, s21
	s_lshl_b64 s[18:19], s[18:19], 3
	s_mul_hi_i32 s33, s10, 24
	v_add_co_u32 v4, vcc_lo, s36, v2
	s_add_u32 s39, s20, s18
	v_add_co_ci_u32_e32 v5, vcc_lo, s33, v3, vcc_lo
	s_addc_u32 s40, s21, s19
	s_lshl_b64 s[24:25], s[24:25], 3
	v_add_co_u32 v129, vcc_lo, v16, v4
	s_add_u32 s41, s20, s24
	s_addc_u32 s42, s21, s25
	s_lshl_b64 s[34:35], s[12:13], 3
	v_add_co_ci_u32_e32 v130, vcc_lo, v17, v5, vcc_lo
	s_add_u32 s43, s1, s34
	v_add_co_u32 v131, vcc_lo, v16, s37
	s_addc_u32 s44, s5, s35
	s_add_u32 s22, s22, s12
	v_add_co_ci_u32_e32 v132, vcc_lo, s38, v17, vcc_lo
	s_addc_u32 s23, s23, s13
	v_add_co_u32 v0, vcc_lo, s22, v0
	v_add_co_ci_u32_e32 v1, vcc_lo, s23, v1, vcc_lo
	v_add_co_u32 v133, vcc_lo, v16, s39
	v_add_co_ci_u32_e32 v134, vcc_lo, s40, v17, vcc_lo
	s_delay_alu instid0(VALU_DEP_3) | instskip(SKIP_3) | instid1(VALU_DEP_3)
	v_lshlrev_b64 v[0:1], 3, v[0:1]
	v_add_co_u32 v135, vcc_lo, v16, s41
	v_add_co_ci_u32_e32 v136, vcc_lo, s42, v17, vcc_lo
	s_add_u32 s22, s37, s34
	v_add_co_u32 v0, vcc_lo, s36, v0
	s_delay_alu instid0(VALU_DEP_4) | instskip(SKIP_2) | instid1(VALU_DEP_4)
	v_add_co_ci_u32_e32 v1, vcc_lo, s33, v1, vcc_lo
	v_add_co_u32 v137, vcc_lo, v16, s43
	v_add_co_ci_u32_e32 v138, vcc_lo, s44, v17, vcc_lo
	v_add_co_u32 v139, vcc_lo, v16, v0
	s_delay_alu instid0(VALU_DEP_4)
	v_add_co_ci_u32_e32 v140, vcc_lo, v17, v1, vcc_lo
	s_addc_u32 s23, s38, s35
	v_add_co_u32 v141, vcc_lo, v16, s22
	s_add_u32 s22, s20, s34
	v_add_co_ci_u32_e32 v142, vcc_lo, s23, v17, vcc_lo
	s_addc_u32 s23, s21, s35
	v_add_co_u32 v143, vcc_lo, v16, s22
	s_add_u32 s34, s22, s18
	v_add_co_ci_u32_e32 v144, vcc_lo, s23, v17, vcc_lo
	s_addc_u32 s35, s23, s19
	v_add_co_u32 v145, vcc_lo, v16, s34
	s_add_u32 s34, s22, s24
	v_add_co_ci_u32_e32 v146, vcc_lo, s35, v17, vcc_lo
	s_addc_u32 s35, s23, s25
	s_lshl_b64 s[22:23], s[12:13], 4
	v_add_co_u32 v147, vcc_lo, v16, s34
	s_add_u32 s1, s1, s22
	s_addc_u32 s5, s5, s23
	s_add_u32 s34, s36, s22
	v_add_co_ci_u32_e32 v148, vcc_lo, s35, v17, vcc_lo
	s_addc_u32 s33, s33, s23
	v_add_co_u32 v0, vcc_lo, s34, v2
	v_add_co_ci_u32_e32 v1, vcc_lo, s33, v3, vcc_lo
	v_add_co_u32 v149, vcc_lo, v16, s1
	v_add_co_ci_u32_e32 v150, vcc_lo, s5, v17, vcc_lo
	s_add_u32 s1, s22, s20
	v_add_co_u32 v151, vcc_lo, v16, v0
	s_addc_u32 s5, s23, s21
	s_add_u32 s20, s1, s16
	v_add_co_ci_u32_e32 v152, vcc_lo, v17, v1, vcc_lo
	s_addc_u32 s21, s5, s17
	v_add_co_u32 v153, vcc_lo, v16, s20
	s_add_u32 s20, s1, s18
	v_add_co_ci_u32_e32 v154, vcc_lo, s21, v17, vcc_lo
	s_addc_u32 s21, s5, s19
	s_add_u32 s22, s1, s24
	s_mul_i32 s33, s10, 0x180
	s_addc_u32 s23, s5, s25
	s_mul_hi_i32 s34, s12, 24
	s_add_u32 s26, s33, s26
	s_addc_u32 s27, s34, s27
	s_add_u32 s10, s10, s12
	v_add_co_u32 v155, vcc_lo, v16, s1
	v_mad_u64_u32 v[0:1], null, s10, 24, v[2:3]
	v_add_co_ci_u32_e32 v156, vcc_lo, s5, v17, vcc_lo
	v_add_co_u32 v157, vcc_lo, v16, s20
	s_addc_u32 s1, s11, s13
	v_add_co_ci_u32_e32 v158, vcc_lo, s21, v17, vcc_lo
	v_add_co_u32 v8, vcc_lo, s26, v2
	v_mad_u64_u32 v[4:5], null, s1, 24, v[1:2]
	v_mad_i64_i32 v[5:6], null, s12, 24, v[2:3]
	v_add_co_ci_u32_e32 v9, vcc_lo, s27, v3, vcc_lo
	v_add_co_u32 v159, vcc_lo, v16, s22
	s_delay_alu instid0(VALU_DEP_4)
	v_mov_b32_e32 v1, v4
	v_add_co_ci_u32_e32 v160, vcc_lo, s23, v17, vcc_lo
	v_add_co_u32 v161, vcc_lo, v16, v8
	v_add_co_ci_u32_e32 v162, vcc_lo, v17, v9, vcc_lo
	v_add_co_u32 v2, vcc_lo, v5, s16
	;; [unrolled: 2-line block ×3, first 2 shown]
	v_add_co_ci_u32_e32 v164, vcc_lo, v17, v1, vcc_lo
	s_delay_alu instid0(VALU_DEP_4) | instskip(NEXT) | instid1(VALU_DEP_4)
	v_add_co_u32 v165, vcc_lo, v16, v2
	v_add_co_ci_u32_e32 v166, vcc_lo, v17, v3, vcc_lo
	v_add_co_u32 v167, vcc_lo, v16, v5
	v_add_co_ci_u32_e32 v168, vcc_lo, v17, v6, vcc_lo
	;; [unrolled: 2-line block ×4, first 2 shown]
	s_delay_alu instid0(VALU_DEP_4) | instskip(NEXT) | instid1(VALU_DEP_4)
	v_add_co_u32 v169, vcc_lo, v16, v0
	v_add_co_ci_u32_e32 v170, vcc_lo, v17, v1, vcc_lo
	s_delay_alu instid0(VALU_DEP_4)
	v_add_co_u32 v171, vcc_lo, v16, v2
	v_add_nc_u32_e32 v101, 0x2180, v95
	v_add_nc_u32_e32 v102, 0x2380, v95
	v_cmp_gt_u32_e64 s0, 64, v22
	v_or_b32_e32 v106, 1, v96
	v_or_b32_e32 v107, 2, v96
	;; [unrolled: 1-line block ×3, first 2 shown]
	v_lshl_add_u32 v109, v94, 5, 0x2180
	v_mad_u32_u24 v110, 0x860, v94, v95
	v_add_nc_u32_e32 v111, 16, v96
	v_add_nc_u32_e32 v112, 17, v96
	;; [unrolled: 1-line block ×12, first 2 shown]
	v_add_co_ci_u32_e32 v172, vcc_lo, v17, v3, vcc_lo
	v_add_nc_u32_e32 v173, v105, v7
	s_cmp_eq_u32 s30, s14
	s_cselect_b32 s10, s28, 0
	s_and_saveexec_b32 s1, s2
	s_cbranch_execz .LBB162_77
.LBB162_74:
	v_cmp_gt_i32_e32 vcc_lo, s10, v25
	s_cmp_eq_u32 s10, 0
	v_mov_b32_e32 v0, 0
	v_mov_b32_e32 v1, 0
	s_cselect_b32 s5, -1, 0
	s_delay_alu instid0(SALU_CYCLE_1) | instskip(NEXT) | instid1(SALU_CYCLE_1)
	s_or_b32 s5, s5, vcc_lo
	s_and_saveexec_b32 s11, s5
	s_cbranch_execz .LBB162_76
; %bb.75:
	s_ashr_i32 s5, s4, 31
	s_delay_alu instid0(SALU_CYCLE_1) | instskip(NEXT) | instid1(SALU_CYCLE_1)
	s_lshl_b64 s[12:13], s[4:5], 3
	v_add_co_u32 v0, vcc_lo, v97, s12
	v_add_co_ci_u32_e32 v1, vcc_lo, s13, v98, vcc_lo
	flat_load_b64 v[0:1], v[0:1]
.LBB162_76:
	s_or_b32 exec_lo, exec_lo, s11
	s_waitcnt vmcnt(0) lgkmcnt(0)
	ds_store_b64 v101, v[0:1]
.LBB162_77:                             ; =>This Inner Loop Header: Depth=1
	s_or_b32 exec_lo, exec_lo, s1
	s_cmp_eq_u32 s10, 0
	v_add_co_u32 v0, vcc_lo, v99, v127
	s_cselect_b32 s5, -1, 0
	s_cmp_lg_u32 s10, 0
	v_add_co_ci_u32_e32 v1, vcc_lo, v100, v128, vcc_lo
	s_cselect_b32 s1, -1, 0
	s_waitcnt lgkmcnt(0)
	s_and_b32 vcc_lo, exec_lo, s1
	s_barrier
	buffer_gl0_inv
	s_cbranch_vccz .LBB162_125
; %bb.78:                               ;   in Loop: Header=BB162_77 Depth=1
	v_mov_b32_e32 v32, 0
	v_mov_b32_e32 v33, 0
	s_delay_alu instid0(VALU_DEP_2) | instskip(SKIP_1) | instid1(VALU_DEP_2)
	v_mov_b32_e32 v30, v32
	s_mov_b32 s11, exec_lo
	v_mov_b32_e32 v31, v33
	v_cmpx_gt_i32_e64 s10, v96
	s_cbranch_execz .LBB162_80
; %bb.79:                               ;   in Loop: Header=BB162_77 Depth=1
	flat_load_b64 v[30:31], v[0:1]
.LBB162_80:                             ;   in Loop: Header=BB162_77 Depth=1
	s_or_b32 exec_lo, exec_lo, s11
	s_delay_alu instid0(SALU_CYCLE_1)
	s_mov_b32 s11, exec_lo
	v_cmpx_gt_i32_e64 s10, v106
	s_cbranch_execz .LBB162_82
; %bb.81:                               ;   in Loop: Header=BB162_77 Depth=1
	v_add_co_u32 v2, vcc_lo, v131, v127
	v_add_co_ci_u32_e32 v3, vcc_lo, v132, v128, vcc_lo
	flat_load_b64 v[32:33], v[2:3]
.LBB162_82:                             ;   in Loop: Header=BB162_77 Depth=1
	s_or_b32 exec_lo, exec_lo, s11
	v_mov_b32_e32 v34, 0
	v_mov_b32_e32 v35, 0
	s_mov_b32 s11, exec_lo
	s_delay_alu instid0(VALU_DEP_1)
	v_dual_mov_b32 v37, v35 :: v_dual_mov_b32 v36, v34
	v_cmpx_gt_i32_e64 s10, v107
	s_cbranch_execz .LBB162_84
; %bb.83:                               ;   in Loop: Header=BB162_77 Depth=1
	v_add_co_u32 v2, vcc_lo, v133, v127
	v_add_co_ci_u32_e32 v3, vcc_lo, v134, v128, vcc_lo
	flat_load_b64 v[36:37], v[2:3]
.LBB162_84:                             ;   in Loop: Header=BB162_77 Depth=1
	s_or_b32 exec_lo, exec_lo, s11
	s_delay_alu instid0(SALU_CYCLE_1)
	s_mov_b32 s11, exec_lo
	v_cmpx_gt_i32_e64 s10, v108
	s_cbranch_execz .LBB162_86
; %bb.85:                               ;   in Loop: Header=BB162_77 Depth=1
	v_add_co_u32 v2, vcc_lo, v135, v127
	v_add_co_ci_u32_e32 v3, vcc_lo, v136, v128, vcc_lo
	flat_load_b64 v[34:35], v[2:3]
.LBB162_86:                             ;   in Loop: Header=BB162_77 Depth=1
	s_or_b32 exec_lo, exec_lo, s11
	s_branch .LBB162_88
.LBB162_87:                             ;   in Loop: Header=BB162_77 Depth=1
	v_add_co_u32 v2, vcc_lo, v131, v127
	v_add_co_ci_u32_e32 v3, vcc_lo, v132, v128, vcc_lo
	v_add_co_u32 v4, vcc_lo, v125, v127
	v_add_co_ci_u32_e32 v5, vcc_lo, v126, v128, vcc_lo
	;; [unrolled: 2-line block ×3, first 2 shown]
	s_waitcnt vmcnt(0) lgkmcnt(0)
	flat_load_b64 v[30:31], v[0:1]
	flat_load_b64 v[32:33], v[2:3]
	;; [unrolled: 1-line block ×4, first 2 shown]
.LBB162_88:                             ;   in Loop: Header=BB162_77 Depth=1
	ds_load_b64 v[0:1], v102
	ds_load_b64 v[38:39], v109
	v_add_co_u32 v8, vcc_lo, v143, v127
	v_cndmask_b32_e64 v29, 0, 1, s1
	v_add_co_ci_u32_e32 v9, vcc_lo, v144, v128, vcc_lo
	s_and_not1_b32 vcc_lo, exec_lo, s1
	s_waitcnt vmcnt(0) lgkmcnt(1)
	v_mul_f64 v[2:3], v[30:31], v[0:1]
	v_mul_f64 v[4:5], v[32:33], v[0:1]
	;; [unrolled: 1-line block ×4, first 2 shown]
	ds_store_b64 v110, v[2:3]
	ds_load_b64 v[40:41], v109 offset:8
	ds_store_b64 v110, v[4:5] offset:536
	ds_load_b64 v[42:43], v109 offset:16
	ds_store_b64 v110, v[6:7] offset:1072
	;; [unrolled: 2-line block ×3, first 2 shown]
	s_waitcnt lgkmcnt(0)
	s_barrier
	buffer_gl0_inv
	ds_load_2addr_b64 v[4:7], v105 offset1:1
	ds_load_2addr_b64 v[0:3], v105 offset0:2 offset1:3
	s_waitcnt lgkmcnt(0)
	s_barrier
	buffer_gl0_inv
	s_cbranch_vccnz .LBB162_126
; %bb.89:                               ;   in Loop: Header=BB162_77 Depth=1
	v_mov_b32_e32 v48, 0
	v_mov_b32_e32 v49, 0
	s_delay_alu instid0(VALU_DEP_2) | instskip(SKIP_1) | instid1(VALU_DEP_2)
	v_mov_b32_e32 v46, v48
	s_mov_b32 s1, exec_lo
	v_mov_b32_e32 v47, v49
	v_cmpx_gt_i32_e64 s10, v111
	s_cbranch_execz .LBB162_91
; %bb.90:                               ;   in Loop: Header=BB162_77 Depth=1
	flat_load_b64 v[46:47], v[8:9]
.LBB162_91:                             ;   in Loop: Header=BB162_77 Depth=1
	s_or_b32 exec_lo, exec_lo, s1
	s_delay_alu instid0(SALU_CYCLE_1)
	s_mov_b32 s1, exec_lo
	v_cmpx_gt_i32_e64 s10, v112
	s_cbranch_execz .LBB162_93
; %bb.92:                               ;   in Loop: Header=BB162_77 Depth=1
	v_add_co_u32 v10, vcc_lo, v141, v127
	v_add_co_ci_u32_e32 v11, vcc_lo, v142, v128, vcc_lo
	flat_load_b64 v[48:49], v[10:11]
.LBB162_93:                             ;   in Loop: Header=BB162_77 Depth=1
	s_or_b32 exec_lo, exec_lo, s1
	v_mov_b32_e32 v50, 0
	v_mov_b32_e32 v51, 0
	s_mov_b32 s1, exec_lo
	s_delay_alu instid0(VALU_DEP_1)
	v_dual_mov_b32 v53, v51 :: v_dual_mov_b32 v52, v50
	v_cmpx_gt_i32_e64 s10, v113
	s_cbranch_execz .LBB162_95
; %bb.94:                               ;   in Loop: Header=BB162_77 Depth=1
	v_add_co_u32 v10, vcc_lo, v145, v127
	v_add_co_ci_u32_e32 v11, vcc_lo, v146, v128, vcc_lo
	flat_load_b64 v[52:53], v[10:11]
.LBB162_95:                             ;   in Loop: Header=BB162_77 Depth=1
	s_or_b32 exec_lo, exec_lo, s1
	s_delay_alu instid0(SALU_CYCLE_1)
	s_mov_b32 s1, exec_lo
	v_cmpx_gt_i32_e64 s10, v114
	s_cbranch_execz .LBB162_97
; %bb.96:                               ;   in Loop: Header=BB162_77 Depth=1
	v_add_co_u32 v10, vcc_lo, v147, v127
	v_add_co_ci_u32_e32 v11, vcc_lo, v148, v128, vcc_lo
	flat_load_b64 v[50:51], v[10:11]
.LBB162_97:                             ;   in Loop: Header=BB162_77 Depth=1
	s_or_b32 exec_lo, exec_lo, s1
	s_branch .LBB162_99
.LBB162_98:                             ;   in Loop: Header=BB162_77 Depth=1
	v_add_co_u32 v10, vcc_lo, v141, v127
	v_add_co_ci_u32_e32 v11, vcc_lo, v142, v128, vcc_lo
	v_add_co_u32 v12, vcc_lo, v137, v127
	v_add_co_ci_u32_e32 v13, vcc_lo, v138, v128, vcc_lo
	;; [unrolled: 2-line block ×3, first 2 shown]
	s_waitcnt vmcnt(0) lgkmcnt(0)
	flat_load_b64 v[46:47], v[8:9]
	flat_load_b64 v[48:49], v[10:11]
	;; [unrolled: 1-line block ×4, first 2 shown]
.LBB162_99:                             ;   in Loop: Header=BB162_77 Depth=1
	ds_load_b64 v[8:9], v102
	ds_load_b64 v[54:55], v109 offset:128
	v_cmp_ne_u32_e32 vcc_lo, 1, v29
	v_add_co_u32 v16, s1, v155, v127
	s_delay_alu instid0(VALU_DEP_1)
	v_add_co_ci_u32_e64 v17, s1, v156, v128, s1
	s_and_b32 vcc_lo, exec_lo, vcc_lo
	s_waitcnt vmcnt(0) lgkmcnt(1)
	v_mul_f64 v[10:11], v[46:47], v[8:9]
	v_mul_f64 v[12:13], v[48:49], v[8:9]
	;; [unrolled: 1-line block ×4, first 2 shown]
	ds_store_b64 v110, v[10:11]
	ds_load_b64 v[56:57], v109 offset:136
	ds_store_b64 v110, v[12:13] offset:536
	ds_load_b64 v[58:59], v109 offset:144
	ds_store_b64 v110, v[14:15] offset:1072
	;; [unrolled: 2-line block ×3, first 2 shown]
	s_waitcnt lgkmcnt(0)
	s_barrier
	buffer_gl0_inv
	ds_load_2addr_b64 v[12:15], v105 offset1:1
	ds_load_2addr_b64 v[8:11], v105 offset0:2 offset1:3
	s_waitcnt lgkmcnt(0)
	s_barrier
	buffer_gl0_inv
	s_cbranch_vccnz .LBB162_127
; %bb.100:                              ;   in Loop: Header=BB162_77 Depth=1
	v_mov_b32_e32 v64, 0
	v_mov_b32_e32 v65, 0
	s_delay_alu instid0(VALU_DEP_2) | instskip(SKIP_1) | instid1(VALU_DEP_2)
	v_mov_b32_e32 v62, v64
	s_mov_b32 s1, exec_lo
	v_mov_b32_e32 v63, v65
	v_cmpx_gt_i32_e64 s10, v115
	s_cbranch_execz .LBB162_102
; %bb.101:                              ;   in Loop: Header=BB162_77 Depth=1
	flat_load_b64 v[62:63], v[16:17]
.LBB162_102:                            ;   in Loop: Header=BB162_77 Depth=1
	s_or_b32 exec_lo, exec_lo, s1
	s_delay_alu instid0(SALU_CYCLE_1)
	s_mov_b32 s1, exec_lo
	v_cmpx_gt_i32_e64 s10, v116
	s_cbranch_execz .LBB162_104
; %bb.103:                              ;   in Loop: Header=BB162_77 Depth=1
	v_add_co_u32 v18, vcc_lo, v153, v127
	v_add_co_ci_u32_e32 v19, vcc_lo, v154, v128, vcc_lo
	flat_load_b64 v[64:65], v[18:19]
.LBB162_104:                            ;   in Loop: Header=BB162_77 Depth=1
	s_or_b32 exec_lo, exec_lo, s1
	v_mov_b32_e32 v66, 0
	v_mov_b32_e32 v67, 0
	s_mov_b32 s1, exec_lo
	s_delay_alu instid0(VALU_DEP_1)
	v_dual_mov_b32 v69, v67 :: v_dual_mov_b32 v68, v66
	v_cmpx_gt_i32_e64 s10, v117
	s_cbranch_execz .LBB162_106
; %bb.105:                              ;   in Loop: Header=BB162_77 Depth=1
	v_add_co_u32 v18, vcc_lo, v157, v127
	v_add_co_ci_u32_e32 v19, vcc_lo, v158, v128, vcc_lo
	flat_load_b64 v[68:69], v[18:19]
.LBB162_106:                            ;   in Loop: Header=BB162_77 Depth=1
	s_or_b32 exec_lo, exec_lo, s1
	s_delay_alu instid0(SALU_CYCLE_1)
	s_mov_b32 s1, exec_lo
	v_cmpx_gt_i32_e64 s10, v118
	s_cbranch_execz .LBB162_108
; %bb.107:                              ;   in Loop: Header=BB162_77 Depth=1
	v_add_co_u32 v18, vcc_lo, v159, v127
	v_add_co_ci_u32_e32 v19, vcc_lo, v160, v128, vcc_lo
	flat_load_b64 v[66:67], v[18:19]
.LBB162_108:                            ;   in Loop: Header=BB162_77 Depth=1
	s_or_b32 exec_lo, exec_lo, s1
	s_branch .LBB162_110
.LBB162_109:                            ;   in Loop: Header=BB162_77 Depth=1
	v_add_co_u32 v18, vcc_lo, v153, v127
	v_add_co_ci_u32_e32 v19, vcc_lo, v154, v128, vcc_lo
	v_add_co_u32 v20, vcc_lo, v149, v127
	v_add_co_ci_u32_e32 v21, vcc_lo, v150, v128, vcc_lo
	;; [unrolled: 2-line block ×3, first 2 shown]
	s_waitcnt vmcnt(0) lgkmcnt(0)
	flat_load_b64 v[62:63], v[16:17]
	flat_load_b64 v[64:65], v[18:19]
	;; [unrolled: 1-line block ×4, first 2 shown]
.LBB162_110:                            ;   in Loop: Header=BB162_77 Depth=1
	ds_load_b64 v[16:17], v102
	ds_load_b64 v[70:71], v109 offset:256
	v_cmp_ne_u32_e32 vcc_lo, 1, v29
	v_add_co_u32 v86, s1, v167, v123
	s_delay_alu instid0(VALU_DEP_1)
	v_add_co_ci_u32_e64 v87, s1, v168, v124, s1
	s_and_b32 vcc_lo, exec_lo, vcc_lo
	s_waitcnt vmcnt(0) lgkmcnt(1)
	v_mul_f64 v[18:19], v[62:63], v[16:17]
	v_mul_f64 v[20:21], v[64:65], v[16:17]
	;; [unrolled: 1-line block ×4, first 2 shown]
	ds_store_b64 v110, v[18:19]
	ds_load_b64 v[72:73], v109 offset:264
	ds_store_b64 v110, v[20:21] offset:536
	ds_load_b64 v[74:75], v109 offset:272
	ds_store_b64 v110, v[22:23] offset:1072
	;; [unrolled: 2-line block ×3, first 2 shown]
	s_waitcnt lgkmcnt(0)
	s_barrier
	buffer_gl0_inv
	ds_load_2addr_b64 v[20:23], v105 offset1:1
	ds_load_2addr_b64 v[16:19], v105 offset0:2 offset1:3
	s_waitcnt lgkmcnt(0)
	s_barrier
	buffer_gl0_inv
	s_cbranch_vccnz .LBB162_128
; %bb.111:                              ;   in Loop: Header=BB162_77 Depth=1
	v_mov_b32_e32 v82, 0
	v_mov_b32_e32 v83, 0
	s_delay_alu instid0(VALU_DEP_2) | instskip(SKIP_1) | instid1(VALU_DEP_2)
	v_mov_b32_e32 v80, v82
	s_mov_b32 s1, exec_lo
	v_mov_b32_e32 v81, v83
	v_cmpx_gt_i32_e64 s10, v119
	s_cbranch_execz .LBB162_113
; %bb.112:                              ;   in Loop: Header=BB162_77 Depth=1
	flat_load_b64 v[80:81], v[86:87]
.LBB162_113:                            ;   in Loop: Header=BB162_77 Depth=1
	s_or_b32 exec_lo, exec_lo, s1
	s_delay_alu instid0(SALU_CYCLE_1)
	s_mov_b32 s1, exec_lo
	v_cmpx_gt_i32_e64 s10, v120
	s_cbranch_execz .LBB162_115
; %bb.114:                              ;   in Loop: Header=BB162_77 Depth=1
	v_add_co_u32 v78, vcc_lo, v165, v123
	v_add_co_ci_u32_e32 v79, vcc_lo, v166, v124, vcc_lo
	flat_load_b64 v[82:83], v[78:79]
.LBB162_115:                            ;   in Loop: Header=BB162_77 Depth=1
	s_or_b32 exec_lo, exec_lo, s1
	v_mov_b32_e32 v78, 0
	v_mov_b32_e32 v79, 0
	s_mov_b32 s1, exec_lo
	s_delay_alu instid0(VALU_DEP_1)
	v_dual_mov_b32 v85, v79 :: v_dual_mov_b32 v84, v78
	v_cmpx_gt_i32_e64 s10, v121
	s_cbranch_execz .LBB162_117
; %bb.116:                              ;   in Loop: Header=BB162_77 Depth=1
	v_add_co_u32 v84, vcc_lo, v169, v123
	v_add_co_ci_u32_e32 v85, vcc_lo, v170, v124, vcc_lo
	flat_load_b64 v[84:85], v[84:85]
.LBB162_117:                            ;   in Loop: Header=BB162_77 Depth=1
	s_or_b32 exec_lo, exec_lo, s1
	s_delay_alu instid0(SALU_CYCLE_1)
	s_mov_b32 s1, exec_lo
	v_cmpx_gt_i32_e64 s10, v122
	s_cbranch_execz .LBB162_119
; %bb.118:                              ;   in Loop: Header=BB162_77 Depth=1
	v_add_co_u32 v78, vcc_lo, v171, v123
	v_add_co_ci_u32_e32 v79, vcc_lo, v172, v124, vcc_lo
	flat_load_b64 v[78:79], v[78:79]
.LBB162_119:                            ;   in Loop: Header=BB162_77 Depth=1
	s_or_b32 exec_lo, exec_lo, s1
	s_branch .LBB162_121
.LBB162_120:                            ;   in Loop: Header=BB162_77 Depth=1
	s_waitcnt vmcnt(0) lgkmcnt(0)
	v_add_co_u32 v78, vcc_lo, v165, v123
	v_add_co_ci_u32_e32 v79, vcc_lo, v166, v124, vcc_lo
	v_add_co_u32 v84, vcc_lo, v161, v123
	v_add_co_ci_u32_e32 v85, vcc_lo, v162, v124, vcc_lo
	;; [unrolled: 2-line block ×3, first 2 shown]
	flat_load_b64 v[80:81], v[86:87]
	flat_load_b64 v[82:83], v[78:79]
	;; [unrolled: 1-line block ×4, first 2 shown]
.LBB162_121:                            ;   in Loop: Header=BB162_77 Depth=1
	ds_load_b64 v[86:87], v102
	ds_load_b64 v[90:91], v109 offset:384
	v_add_f64 v[12:13], v[12:13], 0
	v_add_f64 v[4:5], v[4:5], 0
	;; [unrolled: 1-line block ×3, first 2 shown]
	v_cmp_gt_i32_e32 vcc_lo, s10, v25
	s_or_b32 s1, s5, vcc_lo
	s_delay_alu instid0(SALU_CYCLE_1)
	s_and_b32 s5, s0, s1
	s_waitcnt vmcnt(0) lgkmcnt(1)
	v_mul_f64 v[88:89], v[80:81], v[86:87]
	v_mul_f64 v[174:175], v[82:83], v[86:87]
	;; [unrolled: 1-line block ×4, first 2 shown]
	v_add_f64 v[12:13], v[12:13], v[14:15]
	v_add_f64 v[4:5], v[4:5], v[6:7]
	;; [unrolled: 1-line block ×3, first 2 shown]
	ds_store_b64 v110, v[88:89]
	ds_load_b64 v[92:93], v109 offset:392
	ds_store_b64 v110, v[174:175] offset:536
	ds_load_b64 v[88:89], v109 offset:400
	ds_store_b64 v110, v[176:177] offset:1072
	;; [unrolled: 2-line block ×3, first 2 shown]
	s_waitcnt lgkmcnt(0)
	s_barrier
	buffer_gl0_inv
	ds_load_2addr_b64 v[174:177], v105 offset1:1
	ds_load_2addr_b64 v[178:181], v105 offset0:2 offset1:3
	s_waitcnt lgkmcnt(0)
	s_barrier
	buffer_gl0_inv
	v_add_f64 v[8:9], v[12:13], v[8:9]
	v_add_f64 v[0:1], v[4:5], v[0:1]
	;; [unrolled: 1-line block ×4, first 2 shown]
	s_delay_alu instid0(VALU_DEP_4) | instskip(NEXT) | instid1(VALU_DEP_4)
	v_add_f64 v[8:9], v[8:9], v[10:11]
	v_add_f64 v[0:1], v[0:1], v[2:3]
	s_delay_alu instid0(VALU_DEP_3) | instskip(NEXT) | instid1(VALU_DEP_1)
	v_add_f64 v[6:7], v[174:175], v[176:177]
	v_add_f64 v[4:5], v[6:7], v[178:179]
	;; [unrolled: 1-line block ×3, first 2 shown]
	s_delay_alu instid0(VALU_DEP_2)
	v_add_f64 v[2:3], v[4:5], v[180:181]
	ds_store_2addr_b64 v173, v[0:1], v[8:9] offset1:16
	ds_store_2addr_b64 v173, v[6:7], v[2:3] offset0:32 offset1:48
	s_waitcnt lgkmcnt(0)
	s_barrier
	buffer_gl0_inv
	s_and_saveexec_b32 s1, s5
	s_cbranch_execz .LBB162_123
; %bb.122:                              ;   in Loop: Header=BB162_77 Depth=1
	ds_load_2addr_b64 v[0:3], v103 offset1:1
	ds_load_2addr_b64 v[4:7], v103 offset0:2 offset1:3
	v_ashrrev_i32_e32 v29, 31, v28
	s_waitcnt lgkmcnt(1)
	v_add_f64 v[0:1], v[0:1], v[2:3]
	s_waitcnt lgkmcnt(0)
	s_delay_alu instid0(VALU_DEP_1) | instskip(NEXT) | instid1(VALU_DEP_1)
	v_add_f64 v[0:1], v[0:1], v[4:5]
	v_add_f64 v[8:9], v[0:1], v[6:7]
	ds_load_2addr_b64 v[0:3], v103 offset0:4 offset1:5
	ds_load_2addr_b64 v[4:7], v103 offset0:6 offset1:7
	s_waitcnt lgkmcnt(1)
	v_add_f64 v[0:1], v[8:9], v[0:1]
	s_delay_alu instid0(VALU_DEP_1) | instskip(SKIP_1) | instid1(VALU_DEP_1)
	v_add_f64 v[0:1], v[0:1], v[2:3]
	s_waitcnt lgkmcnt(0)
	v_add_f64 v[0:1], v[0:1], v[4:5]
	s_delay_alu instid0(VALU_DEP_1) | instskip(SKIP_4) | instid1(VALU_DEP_1)
	v_add_f64 v[8:9], v[0:1], v[6:7]
	ds_load_2addr_b64 v[0:3], v103 offset0:8 offset1:9
	ds_load_2addr_b64 v[4:7], v103 offset0:10 offset1:11
	s_waitcnt lgkmcnt(1)
	v_add_f64 v[0:1], v[8:9], v[0:1]
	v_add_f64 v[0:1], v[0:1], v[2:3]
	s_waitcnt lgkmcnt(0)
	s_delay_alu instid0(VALU_DEP_1) | instskip(NEXT) | instid1(VALU_DEP_1)
	v_add_f64 v[0:1], v[0:1], v[4:5]
	v_add_f64 v[4:5], v[0:1], v[6:7]
	ds_load_2addr_b64 v[0:3], v103 offset0:12 offset1:13
	ds_load_b64 v[6:7], v103 offset:112
	s_waitcnt lgkmcnt(1)
	v_add_f64 v[0:1], v[4:5], v[0:1]
	s_delay_alu instid0(VALU_DEP_1) | instskip(SKIP_4) | instid1(VALU_DEP_1)
	v_add_f64 v[0:1], v[0:1], v[2:3]
	ds_load_b64 v[2:3], v104
	s_waitcnt lgkmcnt(1)
	v_add_f64 v[0:1], v[0:1], v[6:7]
	s_waitcnt lgkmcnt(0)
	v_add_f64 v[0:1], v[0:1], v[2:3]
	v_lshlrev_b64 v[2:3], 3, v[28:29]
	s_delay_alu instid0(VALU_DEP_1) | instskip(NEXT) | instid1(VALU_DEP_2)
	v_add_co_u32 v2, vcc_lo, s3, v2
	v_add_co_ci_u32_e32 v3, vcc_lo, s9, v3, vcc_lo
	global_store_b64 v[2:3], v[0:1], off
.LBB162_123:                            ;   in Loop: Header=BB162_77 Depth=1
	s_or_b32 exec_lo, exec_lo, s1
	v_fma_f64 v[0:1], v[30:31], v[38:39], v[26:27]
	v_add_co_u32 v125, vcc_lo, v125, s6
	v_add_co_ci_u32_e32 v126, vcc_lo, s7, v126, vcc_lo
	v_add_co_u32 v129, vcc_lo, v129, s6
	v_add_co_ci_u32_e32 v130, vcc_lo, s7, v130, vcc_lo
	;; [unrolled: 2-line block ×9, first 2 shown]
	v_add_co_u32 v143, vcc_lo, v143, s6
	v_fma_f64 v[0:1], v[32:33], v[40:41], v[0:1]
	v_add_co_ci_u32_e32 v144, vcc_lo, s7, v144, vcc_lo
	v_add_co_u32 v145, vcc_lo, v145, s6
	v_add_co_ci_u32_e32 v146, vcc_lo, s7, v146, vcc_lo
	v_add_co_u32 v147, vcc_lo, v147, s6
	;; [unrolled: 2-line block ×9, first 2 shown]
	v_add_co_ci_u32_e32 v162, vcc_lo, s7, v162, vcc_lo
	v_fma_f64 v[0:1], v[36:37], v[42:43], v[0:1]
	v_add_co_u32 v163, vcc_lo, v163, s6
	v_add_co_ci_u32_e32 v164, vcc_lo, s7, v164, vcc_lo
	v_add_co_u32 v165, vcc_lo, v165, s6
	v_add_co_ci_u32_e32 v166, vcc_lo, s7, v166, vcc_lo
	;; [unrolled: 2-line block ×4, first 2 shown]
	v_add_co_u32 v171, vcc_lo, v171, s6
	v_add_nc_u32_e32 v28, 64, v28
	v_add_co_ci_u32_e32 v172, vcc_lo, s7, v172, vcc_lo
	s_add_i32 s5, s14, 2
	s_add_i32 s1, s14, 1
	;; [unrolled: 1-line block ×3, first 2 shown]
	s_cmp_ge_u32 s5, s15
	s_waitcnt_vscnt null, 0x0
	s_barrier
	buffer_gl0_inv
	v_fma_f64 v[0:1], v[34:35], v[44:45], v[0:1]
	s_delay_alu instid0(VALU_DEP_1) | instskip(NEXT) | instid1(VALU_DEP_1)
	v_fma_f64 v[0:1], v[46:47], v[54:55], v[0:1]
	v_fma_f64 v[0:1], v[48:49], v[56:57], v[0:1]
	s_delay_alu instid0(VALU_DEP_1) | instskip(NEXT) | instid1(VALU_DEP_1)
	v_fma_f64 v[0:1], v[52:53], v[58:59], v[0:1]
	;; [unrolled: 3-line block ×6, first 2 shown]
	v_fma_f64 v[26:27], v[78:79], v[86:87], v[0:1]
	s_cbranch_scc1 .LBB162_129
; %bb.124:                              ;   in Loop: Header=BB162_77 Depth=1
	s_mov_b32 s14, s1
	s_delay_alu instid0(SALU_CYCLE_1)
	s_cmp_eq_u32 s30, s14
	s_cselect_b32 s10, s28, 0
	s_and_saveexec_b32 s1, s2
	s_cbranch_execnz .LBB162_74
	s_branch .LBB162_77
.LBB162_125:                            ;   in Loop: Header=BB162_77 Depth=1
                                        ; implicit-def: $vgpr34_vgpr35
                                        ; implicit-def: $vgpr36_vgpr37
                                        ; implicit-def: $vgpr32_vgpr33
                                        ; implicit-def: $vgpr30_vgpr31
	s_cbranch_execnz .LBB162_87
	s_branch .LBB162_88
.LBB162_126:                            ;   in Loop: Header=BB162_77 Depth=1
                                        ; implicit-def: $vgpr50_vgpr51
                                        ; implicit-def: $vgpr52_vgpr53
                                        ; implicit-def: $vgpr48_vgpr49
                                        ; implicit-def: $vgpr46_vgpr47
	s_cbranch_execnz .LBB162_98
	s_branch .LBB162_99
.LBB162_127:                            ;   in Loop: Header=BB162_77 Depth=1
                                        ; implicit-def: $vgpr66_vgpr67
                                        ; implicit-def: $vgpr68_vgpr69
                                        ; implicit-def: $vgpr64_vgpr65
                                        ; implicit-def: $vgpr62_vgpr63
	s_cbranch_execnz .LBB162_109
	s_branch .LBB162_110
.LBB162_128:                            ;   in Loop: Header=BB162_77 Depth=1
                                        ; implicit-def: $vgpr78_vgpr79
                                        ; implicit-def: $vgpr84_vgpr85
                                        ; implicit-def: $vgpr82_vgpr83
                                        ; implicit-def: $vgpr80_vgpr81
	s_cbranch_execnz .LBB162_120
	s_branch .LBB162_121
.LBB162_129:
	v_cmp_gt_i32_e32 vcc_lo, s8, v25
	v_mad_u32_u24 v0, 0x218, v94, v95
	s_or_b32 s0, s29, vcc_lo
	ds_store_b64 v0, v[26:27]
	s_and_b32 s0, s2, s0
	s_waitcnt lgkmcnt(0)
	s_barrier
	buffer_gl0_inv
	s_and_saveexec_b32 s1, s0
	s_cbranch_execz .LBB162_6
; %bb.130:
	ds_load_2addr_b64 v[0:3], v95 offset1:67
	v_ashrrev_i32_e32 v25, 31, v24
	s_waitcnt lgkmcnt(0)
	v_add_f64 v[4:5], v[0:1], v[2:3]
	ds_load_2addr_b64 v[0:3], v95 offset0:134 offset1:201
	s_waitcnt lgkmcnt(0)
	v_add_f64 v[0:1], v[4:5], v[0:1]
	s_delay_alu instid0(VALU_DEP_1) | instskip(SKIP_1) | instid1(VALU_DEP_1)
	v_add_f64 v[0:1], v[0:1], v[2:3]
	v_lshlrev_b64 v[2:3], 3, v[24:25]
	v_add_co_u32 v2, vcc_lo, s3, v2
	s_delay_alu instid0(VALU_DEP_2)
	v_add_co_ci_u32_e32 v3, vcc_lo, s9, v3, vcc_lo
	global_store_b64 v[2:3], v[0:1], off
	s_nop 0
	s_sendmsg sendmsg(MSG_DEALLOC_VGPRS)
	s_endpgm
	.section	.rodata,"a",@progbits
	.p2align	6, 0x0
	.amdhsa_kernel _ZL26rocblas_hemvn_kernel_upperILb0ELi64ELi4ELi33ELi32ELi16EiPKdPKS1_PdEviT6_lT7_lT5_lS6_lS7_lS5_lT8_i
		.amdhsa_group_segment_fixed_size 9600
		.amdhsa_private_segment_fixed_size 0
		.amdhsa_kernarg_size 376
		.amdhsa_user_sgpr_count 14
		.amdhsa_user_sgpr_dispatch_ptr 0
		.amdhsa_user_sgpr_queue_ptr 0
		.amdhsa_user_sgpr_kernarg_segment_ptr 1
		.amdhsa_user_sgpr_dispatch_id 0
		.amdhsa_user_sgpr_private_segment_size 0
		.amdhsa_wavefront_size32 1
		.amdhsa_uses_dynamic_stack 0
		.amdhsa_enable_private_segment 0
		.amdhsa_system_sgpr_workgroup_id_x 1
		.amdhsa_system_sgpr_workgroup_id_y 0
		.amdhsa_system_sgpr_workgroup_id_z 1
		.amdhsa_system_sgpr_workgroup_info 0
		.amdhsa_system_vgpr_workitem_id 1
		.amdhsa_next_free_vgpr 182
		.amdhsa_next_free_sgpr 45
		.amdhsa_reserve_vcc 1
		.amdhsa_float_round_mode_32 0
		.amdhsa_float_round_mode_16_64 0
		.amdhsa_float_denorm_mode_32 3
		.amdhsa_float_denorm_mode_16_64 3
		.amdhsa_dx10_clamp 1
		.amdhsa_ieee_mode 1
		.amdhsa_fp16_overflow 0
		.amdhsa_workgroup_processor_mode 1
		.amdhsa_memory_ordered 1
		.amdhsa_forward_progress 0
		.amdhsa_shared_vgpr_count 0
		.amdhsa_exception_fp_ieee_invalid_op 0
		.amdhsa_exception_fp_denorm_src 0
		.amdhsa_exception_fp_ieee_div_zero 0
		.amdhsa_exception_fp_ieee_overflow 0
		.amdhsa_exception_fp_ieee_underflow 0
		.amdhsa_exception_fp_ieee_inexact 0
		.amdhsa_exception_int_div_zero 0
	.end_amdhsa_kernel
	.section	.text._ZL26rocblas_hemvn_kernel_upperILb0ELi64ELi4ELi33ELi32ELi16EiPKdPKS1_PdEviT6_lT7_lT5_lS6_lS7_lS5_lT8_i,"axG",@progbits,_ZL26rocblas_hemvn_kernel_upperILb0ELi64ELi4ELi33ELi32ELi16EiPKdPKS1_PdEviT6_lT7_lT5_lS6_lS7_lS5_lT8_i,comdat
.Lfunc_end162:
	.size	_ZL26rocblas_hemvn_kernel_upperILb0ELi64ELi4ELi33ELi32ELi16EiPKdPKS1_PdEviT6_lT7_lT5_lS6_lS7_lS5_lT8_i, .Lfunc_end162-_ZL26rocblas_hemvn_kernel_upperILb0ELi64ELi4ELi33ELi32ELi16EiPKdPKS1_PdEviT6_lT7_lT5_lS6_lS7_lS5_lT8_i
                                        ; -- End function
	.section	.AMDGPU.csdata,"",@progbits
; Kernel info:
; codeLenInByte = 8632
; NumSgprs: 47
; NumVgprs: 182
; ScratchSize: 0
; MemoryBound: 0
; FloatMode: 240
; IeeeMode: 1
; LDSByteSize: 9600 bytes/workgroup (compile time only)
; SGPRBlocks: 5
; VGPRBlocks: 22
; NumSGPRsForWavesPerEU: 47
; NumVGPRsForWavesPerEU: 182
; Occupancy: 8
; WaveLimiterHint : 1
; COMPUTE_PGM_RSRC2:SCRATCH_EN: 0
; COMPUTE_PGM_RSRC2:USER_SGPR: 14
; COMPUTE_PGM_RSRC2:TRAP_HANDLER: 0
; COMPUTE_PGM_RSRC2:TGID_X_EN: 1
; COMPUTE_PGM_RSRC2:TGID_Y_EN: 0
; COMPUTE_PGM_RSRC2:TGID_Z_EN: 1
; COMPUTE_PGM_RSRC2:TIDIG_COMP_CNT: 1
	.section	.text._ZL36rocblas_hemvn_kernel_upper_block_sumILi64EiPKdPKPddEviT1_lS5_lT2_lT0_lPT3_i,"axG",@progbits,_ZL36rocblas_hemvn_kernel_upper_block_sumILi64EiPKdPKPddEviT1_lS5_lT2_lT0_lPT3_i,comdat
	.globl	_ZL36rocblas_hemvn_kernel_upper_block_sumILi64EiPKdPKPddEviT1_lS5_lT2_lT0_lPT3_i ; -- Begin function _ZL36rocblas_hemvn_kernel_upper_block_sumILi64EiPKdPKPddEviT1_lS5_lT2_lT0_lPT3_i
	.p2align	8
	.type	_ZL36rocblas_hemvn_kernel_upper_block_sumILi64EiPKdPKPddEviT1_lS5_lT2_lT0_lPT3_i,@function
_ZL36rocblas_hemvn_kernel_upper_block_sumILi64EiPKdPKPddEviT1_lS5_lT2_lT0_lPT3_i: ; @_ZL36rocblas_hemvn_kernel_upper_block_sumILi64EiPKdPKPddEviT1_lS5_lT2_lT0_lPT3_i
; %bb.0:
	s_load_b256 s[16:23], s[0:1], 0x8
	s_waitcnt lgkmcnt(0)
	s_mul_i32 s3, s15, s19
	s_mul_hi_u32 s5, s15, s18
	s_mul_i32 s2, s15, s18
	s_add_i32 s3, s5, s3
	s_mul_i32 s5, s15, s23
	s_lshl_b64 s[2:3], s[2:3], 3
	s_mul_hi_u32 s6, s15, s22
	s_add_u32 s2, s16, s2
	s_addc_u32 s3, s17, s3
	s_add_i32 s7, s6, s5
	s_mul_i32 s6, s15, s22
	s_delay_alu instid0(SALU_CYCLE_1) | instskip(NEXT) | instid1(SALU_CYCLE_1)
	s_lshl_b64 s[6:7], s[6:7], 3
	s_add_u32 s8, s20, s6
	s_addc_u32 s9, s21, s7
	s_load_b64 s[6:7], s[2:3], 0x0
	s_load_b64 s[8:9], s[8:9], 0x0
	s_waitcnt lgkmcnt(0)
	v_cmp_eq_f64_e64 s2, s[6:7], 0
	v_cmp_eq_f64_e64 s3, s[8:9], 1.0
	s_delay_alu instid0(VALU_DEP_1) | instskip(NEXT) | instid1(SALU_CYCLE_1)
	s_and_b32 s2, s2, s3
	s_and_b32 vcc_lo, exec_lo, s2
	s_cbranch_vccnz .LBB163_19
; %bb.1:
	s_clause 0x1
	s_load_b128 s[16:19], s[0:1], 0x28
	s_load_b32 s13, s[0:1], 0x38
	v_cmp_neq_f64_e64 s11, s[6:7], 0
	s_mov_b32 s4, s15
	s_mov_b32 s5, 0
	s_load_b32 s10, s[0:1], 0x0
	s_lshl_b64 s[2:3], s[4:5], 3
	v_lshl_or_b32 v0, s14, 6, v0
	s_waitcnt lgkmcnt(0)
	s_add_u32 s2, s16, s2
	s_addc_u32 s3, s17, s3
	s_lshl_b64 s[18:19], s[18:19], 3
	s_load_b64 s[16:17], s[2:3], 0x0
	v_cmp_gt_i32_e64 s2, s10, v0
	s_waitcnt lgkmcnt(0)
	s_add_u32 s3, s16, s18
	s_addc_u32 s12, s17, s19
	s_delay_alu instid0(VALU_DEP_3)
	s_and_b32 vcc_lo, exec_lo, s11
	s_cbranch_vccnz .LBB163_6
; %bb.2:
	s_mov_b32 s11, 0
                                        ; implicit-def: $vgpr3_vgpr4
                                        ; implicit-def: $vgpr1_vgpr2
	s_and_saveexec_b32 s15, s2
	s_cbranch_execz .LBB163_7
; %bb.3:
	v_cmp_eq_f64_e64 s2, s[8:9], 0
	v_mul_lo_u32 v1, v0, s13
	v_mov_b32_e32 v3, 0
	v_mov_b32_e32 v4, 0
	s_delay_alu instid0(VALU_DEP_3)
	v_ashrrev_i32_e32 v2, 31, v1
	s_and_b32 vcc_lo, exec_lo, s2
	s_cbranch_vccnz .LBB163_5
; %bb.4:
	s_delay_alu instid0(VALU_DEP_1) | instskip(NEXT) | instid1(VALU_DEP_1)
	v_lshlrev_b64 v[3:4], 3, v[1:2]
	v_add_co_u32 v3, vcc_lo, s3, v3
	s_delay_alu instid0(VALU_DEP_2)
	v_add_co_ci_u32_e32 v4, vcc_lo, s12, v4, vcc_lo
	global_load_b64 v[3:4], v[3:4], off
	s_waitcnt vmcnt(0)
	v_mul_f64 v[3:4], s[8:9], v[3:4]
.LBB163_5:
	s_mov_b32 s5, exec_lo
	s_or_b32 exec_lo, exec_lo, s15
	s_delay_alu instid0(SALU_CYCLE_1)
	s_and_b32 vcc_lo, exec_lo, s11
	s_cbranch_vccnz .LBB163_8
	s_branch .LBB163_17
.LBB163_6:
                                        ; implicit-def: $vgpr3_vgpr4
                                        ; implicit-def: $vgpr1_vgpr2
	s_cbranch_execnz .LBB163_8
	s_branch .LBB163_17
.LBB163_7:
	s_or_b32 exec_lo, exec_lo, s15
	s_delay_alu instid0(SALU_CYCLE_1)
	s_and_b32 vcc_lo, exec_lo, s11
	s_cbranch_vccz .LBB163_17
.LBB163_8:
	s_mov_b32 s2, exec_lo
                                        ; implicit-def: $vgpr3_vgpr4
                                        ; implicit-def: $vgpr1_vgpr2
	v_cmpx_gt_i32_e64 s10, v0
	s_cbranch_execz .LBB163_16
; %bb.9:
	v_mov_b32_e32 v5, 0
	v_mov_b32_e32 v6, 0
	s_cmp_lt_i32 s14, 0
	s_cbranch_scc1 .LBB163_12
; %bb.10:
	s_clause 0x1
	s_load_b32 s15, s[0:1], 0x58
	s_load_b64 s[0:1], s[0:1], 0x48
	s_ashr_i32 s11, s10, 31
	s_mul_hi_u32 s16, s10, s4
	s_mul_i32 s17, s11, s4
	v_mov_b32_e32 v1, 0
	s_mul_i32 s4, s10, s4
	s_add_i32 s16, s16, s17
	v_mov_b32_e32 v5, 0
	v_mov_b32_e32 v6, 0
	v_lshlrev_b64 v[1:2], 3, v[0:1]
	s_waitcnt lgkmcnt(0)
	s_mul_i32 s17, s16, s15
	s_mul_hi_u32 s18, s4, s15
	s_mul_i32 s16, s4, s15
	s_add_i32 s17, s18, s17
	s_delay_alu instid0(SALU_CYCLE_1) | instskip(NEXT) | instid1(SALU_CYCLE_1)
	s_lshl_b64 s[16:17], s[16:17], 3
	s_add_u32 s0, s0, s16
	s_addc_u32 s1, s1, s17
	v_add_co_u32 v1, vcc_lo, s0, v1
	v_add_co_ci_u32_e32 v2, vcc_lo, s1, v2, vcc_lo
	s_add_i32 s4, s14, 1
	s_lshl_b64 s[0:1], s[10:11], 3
.LBB163_11:                             ; =>This Inner Loop Header: Depth=1
	global_load_b64 v[3:4], v[1:2], off
	v_add_co_u32 v1, vcc_lo, v1, s0
	v_add_co_ci_u32_e32 v2, vcc_lo, s1, v2, vcc_lo
	s_add_i32 s4, s4, -1
	s_delay_alu instid0(SALU_CYCLE_1)
	s_cmp_eq_u32 s4, 0
	s_waitcnt vmcnt(0)
	v_add_f64 v[5:6], v[5:6], v[3:4]
	s_cbranch_scc0 .LBB163_11
.LBB163_12:
	v_cmp_eq_f64_e64 s0, s[8:9], 0
	v_mul_lo_u32 v1, v0, s13
	s_delay_alu instid0(VALU_DEP_1) | instskip(NEXT) | instid1(VALU_DEP_3)
	v_ashrrev_i32_e32 v2, 31, v1
	s_and_b32 vcc_lo, exec_lo, s0
	s_cbranch_vccz .LBB163_20
; %bb.13:
	s_delay_alu instid0(VALU_DEP_4)
	v_mul_f64 v[3:4], s[6:7], v[5:6]
	s_cbranch_execnz .LBB163_15
.LBB163_14:
	s_delay_alu instid0(VALU_DEP_1) | instskip(NEXT) | instid1(VALU_DEP_1)
	v_lshlrev_b64 v[3:4], 3, v[1:2]
	v_add_co_u32 v3, vcc_lo, s3, v3
	s_delay_alu instid0(VALU_DEP_2) | instskip(SKIP_3) | instid1(VALU_DEP_1)
	v_add_co_ci_u32_e32 v4, vcc_lo, s12, v4, vcc_lo
	global_load_b64 v[3:4], v[3:4], off
	s_waitcnt vmcnt(0)
	v_mul_f64 v[3:4], s[8:9], v[3:4]
	v_fma_f64 v[3:4], s[6:7], v[5:6], v[3:4]
.LBB163_15:
	s_or_b32 s5, s5, exec_lo
.LBB163_16:
	s_or_b32 exec_lo, exec_lo, s2
.LBB163_17:
	s_and_saveexec_b32 s0, s5
	s_cbranch_execz .LBB163_19
; %bb.18:
	v_lshlrev_b64 v[0:1], 3, v[1:2]
	s_delay_alu instid0(VALU_DEP_1) | instskip(NEXT) | instid1(VALU_DEP_2)
	v_add_co_u32 v0, vcc_lo, s3, v0
	v_add_co_ci_u32_e32 v1, vcc_lo, s12, v1, vcc_lo
	global_store_b64 v[0:1], v[3:4], off
.LBB163_19:
	s_nop 0
	s_sendmsg sendmsg(MSG_DEALLOC_VGPRS)
	s_endpgm
.LBB163_20:
                                        ; implicit-def: $vgpr3_vgpr4
	s_branch .LBB163_14
	.section	.rodata,"a",@progbits
	.p2align	6, 0x0
	.amdhsa_kernel _ZL36rocblas_hemvn_kernel_upper_block_sumILi64EiPKdPKPddEviT1_lS5_lT2_lT0_lPT3_i
		.amdhsa_group_segment_fixed_size 0
		.amdhsa_private_segment_fixed_size 0
		.amdhsa_kernarg_size 344
		.amdhsa_user_sgpr_count 14
		.amdhsa_user_sgpr_dispatch_ptr 0
		.amdhsa_user_sgpr_queue_ptr 0
		.amdhsa_user_sgpr_kernarg_segment_ptr 1
		.amdhsa_user_sgpr_dispatch_id 0
		.amdhsa_user_sgpr_private_segment_size 0
		.amdhsa_wavefront_size32 1
		.amdhsa_uses_dynamic_stack 0
		.amdhsa_enable_private_segment 0
		.amdhsa_system_sgpr_workgroup_id_x 1
		.amdhsa_system_sgpr_workgroup_id_y 0
		.amdhsa_system_sgpr_workgroup_id_z 1
		.amdhsa_system_sgpr_workgroup_info 0
		.amdhsa_system_vgpr_workitem_id 0
		.amdhsa_next_free_vgpr 7
		.amdhsa_next_free_sgpr 24
		.amdhsa_reserve_vcc 1
		.amdhsa_float_round_mode_32 0
		.amdhsa_float_round_mode_16_64 0
		.amdhsa_float_denorm_mode_32 3
		.amdhsa_float_denorm_mode_16_64 3
		.amdhsa_dx10_clamp 1
		.amdhsa_ieee_mode 1
		.amdhsa_fp16_overflow 0
		.amdhsa_workgroup_processor_mode 1
		.amdhsa_memory_ordered 1
		.amdhsa_forward_progress 0
		.amdhsa_shared_vgpr_count 0
		.amdhsa_exception_fp_ieee_invalid_op 0
		.amdhsa_exception_fp_denorm_src 0
		.amdhsa_exception_fp_ieee_div_zero 0
		.amdhsa_exception_fp_ieee_overflow 0
		.amdhsa_exception_fp_ieee_underflow 0
		.amdhsa_exception_fp_ieee_inexact 0
		.amdhsa_exception_int_div_zero 0
	.end_amdhsa_kernel
	.section	.text._ZL36rocblas_hemvn_kernel_upper_block_sumILi64EiPKdPKPddEviT1_lS5_lT2_lT0_lPT3_i,"axG",@progbits,_ZL36rocblas_hemvn_kernel_upper_block_sumILi64EiPKdPKPddEviT1_lS5_lT2_lT0_lPT3_i,comdat
.Lfunc_end163:
	.size	_ZL36rocblas_hemvn_kernel_upper_block_sumILi64EiPKdPKPddEviT1_lS5_lT2_lT0_lPT3_i, .Lfunc_end163-_ZL36rocblas_hemvn_kernel_upper_block_sumILi64EiPKdPKPddEviT1_lS5_lT2_lT0_lPT3_i
                                        ; -- End function
	.section	.AMDGPU.csdata,"",@progbits
; Kernel info:
; codeLenInByte = 748
; NumSgprs: 26
; NumVgprs: 7
; ScratchSize: 0
; MemoryBound: 0
; FloatMode: 240
; IeeeMode: 1
; LDSByteSize: 0 bytes/workgroup (compile time only)
; SGPRBlocks: 3
; VGPRBlocks: 0
; NumSGPRsForWavesPerEU: 26
; NumVGPRsForWavesPerEU: 7
; Occupancy: 16
; WaveLimiterHint : 1
; COMPUTE_PGM_RSRC2:SCRATCH_EN: 0
; COMPUTE_PGM_RSRC2:USER_SGPR: 14
; COMPUTE_PGM_RSRC2:TRAP_HANDLER: 0
; COMPUTE_PGM_RSRC2:TGID_X_EN: 1
; COMPUTE_PGM_RSRC2:TGID_Y_EN: 0
; COMPUTE_PGM_RSRC2:TGID_Z_EN: 1
; COMPUTE_PGM_RSRC2:TIDIG_COMP_CNT: 0
	.section	.text._ZL26rocblas_hemvn_kernel_upperILb0ELi64ELi4ELi33ELi32ELi16EldPKPKdPdEviT6_lT7_lT5_lS6_lS7_lS5_lT8_i,"axG",@progbits,_ZL26rocblas_hemvn_kernel_upperILb0ELi64ELi4ELi33ELi32ELi16EldPKPKdPdEviT6_lT7_lT5_lS6_lS7_lS5_lT8_i,comdat
	.globl	_ZL26rocblas_hemvn_kernel_upperILb0ELi64ELi4ELi33ELi32ELi16EldPKPKdPdEviT6_lT7_lT5_lS6_lS7_lS5_lT8_i ; -- Begin function _ZL26rocblas_hemvn_kernel_upperILb0ELi64ELi4ELi33ELi32ELi16EldPKPKdPdEviT6_lT7_lT5_lS6_lS7_lS5_lT8_i
	.p2align	8
	.type	_ZL26rocblas_hemvn_kernel_upperILb0ELi64ELi4ELi33ELi32ELi16EldPKPKdPdEviT6_lT7_lT5_lS6_lS7_lS5_lT8_i,@function
_ZL26rocblas_hemvn_kernel_upperILb0ELi64ELi4ELi33ELi32ELi16EldPKPKdPdEviT6_lT7_lT5_lS6_lS7_lS5_lT8_i: ; @_ZL26rocblas_hemvn_kernel_upperILb0ELi64ELi4ELi33ELi32ELi16EldPKPKdPdEviT6_lT7_lT5_lS6_lS7_lS5_lT8_i
; %bb.0:
	s_load_b64 s[4:5], s[0:1], 0x84
	s_add_u32 s2, s0, 0x78
	s_addc_u32 s3, s1, 0
	s_waitcnt lgkmcnt(0)
	s_lshr_b32 s6, s4, 16
	s_and_b32 s4, s4, 0xffff
	s_and_b32 s5, s5, 0xffff
	s_mul_i32 s4, s6, s4
	s_delay_alu instid0(SALU_CYCLE_1) | instskip(NEXT) | instid1(SALU_CYCLE_1)
	s_mul_i32 s4, s4, s5
	s_cmpk_lg_i32 s4, 0x100
	s_cbranch_scc1 .LBB164_6
; %bb.1:
	s_clause 0x1
	s_load_b64 s[4:5], s[0:1], 0x8
	s_load_b64 s[6:7], s[0:1], 0x58
	s_mov_b64 s[8:9], 0
	s_waitcnt lgkmcnt(0)
	v_cmp_eq_f64_e64 s10, s[4:5], 0
	v_cmp_eq_f64_e64 s6, s[6:7], 1.0
	s_delay_alu instid0(VALU_DEP_1) | instskip(NEXT) | instid1(SALU_CYCLE_1)
	s_and_b32 s6, s10, s6
	s_and_b32 vcc_lo, exec_lo, s6
	s_cbranch_vccnz .LBB164_6
; %bb.2:
	v_cmp_neq_f64_e64 s12, s[4:5], 0
	s_clause 0x1
	s_load_b128 s[4:7], s[0:1], 0x18
	s_load_b64 s[16:17], s[0:1], 0x28
	s_mov_b32 s20, s15
	s_and_b32 vcc_lo, exec_lo, s10
	s_cbranch_vccnz .LBB164_4
; %bb.3:
	s_mov_b32 s21, 0
	s_delay_alu instid0(SALU_CYCLE_1)
	s_lshl_b64 s[8:9], s[20:21], 3
	s_waitcnt lgkmcnt(0)
	s_add_u32 s4, s4, s8
	s_addc_u32 s5, s5, s9
	s_lshl_b64 s[6:7], s[6:7], 3
	s_load_b64 s[4:5], s[4:5], 0x0
	s_waitcnt lgkmcnt(0)
	s_add_u32 s8, s4, s6
	s_addc_u32 s9, s5, s7
.LBB164_4:
	s_waitcnt lgkmcnt(0)
	s_clause 0x1
	s_load_b128 s[4:7], s[0:1], 0x38
	s_load_b64 s[10:11], s[0:1], 0x48
	s_delay_alu instid0(VALU_DEP_1)
	v_cndmask_b32_e64 v1, 0, 1, s12
	s_and_not1_b32 vcc_lo, exec_lo, s12
	s_cbranch_vccnz .LBB164_7
; %bb.5:
	s_mov_b32 s21, 0
	s_delay_alu instid0(SALU_CYCLE_1)
	s_lshl_b64 s[12:13], s[20:21], 3
	s_waitcnt lgkmcnt(0)
	s_add_u32 s4, s4, s12
	s_addc_u32 s5, s5, s13
	s_lshl_b64 s[6:7], s[6:7], 3
	s_load_b64 s[4:5], s[4:5], 0x0
	s_waitcnt lgkmcnt(0)
	s_add_u32 s4, s4, s6
	s_addc_u32 s5, s5, s7
	v_cmp_ne_u32_e32 vcc_lo, 1, v1
	s_cbranch_vccz .LBB164_8
.LBB164_6:
	s_endpgm
.LBB164_7:
	s_waitcnt lgkmcnt(0)
	s_mov_b64 s[4:5], 0
	v_cmp_ne_u32_e32 vcc_lo, 1, v1
	s_cbranch_vccnz .LBB164_6
.LBB164_8:
	v_and_b32_e32 v92, 0x3ff, v0
	s_lshl_b32 s18, s14, 6
	s_load_b32 s24, s[0:1], 0x0
	s_load_b32 s15, s[2:3], 0x0
	v_bfe_u32 v93, v0, 10, 10
	v_add_nc_u32_e32 v24, s18, v92
	s_delay_alu instid0(VALU_DEP_1) | instskip(SKIP_2) | instid1(VALU_DEP_3)
	v_ashrrev_i32_e32 v25, 31, v24
	v_mul_lo_u32 v3, v24, s11
	v_mad_u64_u32 v[1:2], null, v24, s10, 0
	v_mul_lo_u32 v4, v25, s10
	s_waitcnt lgkmcnt(0)
	s_ashr_i32 s25, s24, 31
	s_delay_alu instid0(VALU_DEP_1) | instskip(SKIP_3) | instid1(SALU_CYCLE_1)
	v_add3_u32 v2, v2, v3, v4
	s_lshr_b32 s2, s25, 26
	s_add_i32 s3, s15, -1
	s_add_i32 s2, s24, s2
	s_and_not1_b32 s2, s2, 63
	v_lshlrev_b64 v[1:2], 3, v[1:2]
	s_sub_i32 s21, s24, s2
	v_cmp_eq_u32_e64 s2, 0, v93
	s_cmp_eq_u32 s14, s3
	s_cselect_b32 s12, s21, 0
	s_delay_alu instid0(VALU_DEP_2)
	v_add_co_u32 v14, vcc_lo, s4, v1
	v_add_co_ci_u32_e32 v15, vcc_lo, s5, v2, vcc_lo
	s_and_saveexec_b32 s3, s2
	s_cbranch_execz .LBB164_12
; %bb.9:
	v_cmp_gt_i32_e32 vcc_lo, s12, v92
	s_cmp_eq_u32 s12, 0
	v_mov_b32_e32 v0, 0
	v_mov_b32_e32 v1, 0
	s_cselect_b32 s4, -1, 0
	s_delay_alu instid0(SALU_CYCLE_1) | instskip(NEXT) | instid1(SALU_CYCLE_1)
	s_or_b32 s5, s4, vcc_lo
	s_and_saveexec_b32 s4, s5
	s_cbranch_execz .LBB164_11
; %bb.10:
	flat_load_b64 v[0:1], v[14:15]
.LBB164_11:
	s_or_b32 exec_lo, exec_lo, s4
	v_lshlrev_b32_e32 v2, 3, v92
	s_waitcnt vmcnt(0) lgkmcnt(0)
	ds_store_b64 v2, v[0:1] offset:9088
.LBB164_12:
	s_or_b32 exec_lo, exec_lo, s3
	v_lshl_add_u32 v22, v93, 6, v92
	v_dual_mov_b32 v1, 0 :: v_dual_and_b32 v0, 31, v92
	s_ashr_i32 s19, s18, 31
	s_mul_i32 s3, s18, s17
	s_delay_alu instid0(VALU_DEP_2)
	v_lshrrev_b32_e32 v11, 5, v22
	s_lshl_b64 s[4:5], s[18:19], 3
	s_mul_hi_u32 s6, s18, s16
	s_add_u32 s8, s8, s4
	s_mul_i32 s7, s19, s16
	v_mad_u64_u32 v[2:3], null, v11, s16, v[0:1]
	s_addc_u32 s9, s9, s5
	s_add_i32 s3, s6, s3
	s_mul_i32 s4, s18, s16
	s_add_i32 s5, s3, s7
	v_cmp_gt_i32_e64 s3, s12, v0
	s_lshl_b64 s[4:5], s[4:5], 3
	s_delay_alu instid0(VALU_DEP_2) | instskip(SKIP_3) | instid1(VALU_DEP_1)
	v_dual_mov_b32 v1, v3 :: v_dual_lshlrev_b32 v18, 3, v0
	s_add_u32 s4, s4, s8
	s_addc_u32 s5, s5, s9
	s_cmp_eq_u32 s12, 0
	v_mad_u64_u32 v[3:4], null, v11, s17, v[1:2]
	s_cselect_b32 s9, -1, 0
	s_cmp_lg_u32 s12, 0
	s_cselect_b32 s26, -1, 0
	s_delay_alu instid0(SALU_CYCLE_1) | instskip(NEXT) | instid1(VALU_DEP_1)
	s_and_b32 vcc_lo, exec_lo, s26
	v_lshlrev_b64 v[12:13], 3, v[2:3]
	s_delay_alu instid0(VALU_DEP_1) | instskip(NEXT) | instid1(VALU_DEP_1)
	v_add_co_u32 v3, s4, s4, v12
	v_add_co_ci_u32_e64 v4, s4, s5, v13, s4
	s_cbranch_vccz .LBB164_22
; %bb.13:
	s_delay_alu instid0(VALU_DEP_2) | instskip(SKIP_1) | instid1(VALU_DEP_2)
	v_sub_co_u32 v1, vcc_lo, v3, v18
	s_ashr_i32 s13, s12, 31
	v_subrev_co_ci_u32_e32 v2, vcc_lo, 0, v4, vcc_lo
	s_lshl_b64 s[4:5], s[12:13], 3
	v_mov_b32_e32 v7, 0
	v_add_co_u32 v1, vcc_lo, v1, s4
	s_delay_alu instid0(VALU_DEP_3) | instskip(SKIP_1) | instid1(VALU_DEP_3)
	v_add_co_ci_u32_e32 v2, vcc_lo, s5, v2, vcc_lo
	v_mov_b32_e32 v8, 0
	v_add_co_u32 v1, vcc_lo, v1, -8
	s_delay_alu instid0(VALU_DEP_3) | instskip(NEXT) | instid1(VALU_DEP_3)
	v_add_co_ci_u32_e32 v2, vcc_lo, -1, v2, vcc_lo
	v_dual_mov_b32 v5, v7 :: v_dual_mov_b32 v6, v8
	s_delay_alu instid0(VALU_DEP_3) | instskip(NEXT) | instid1(VALU_DEP_3)
	v_cndmask_b32_e64 v1, v1, v3, s3
	v_cndmask_b32_e64 v2, v2, v4, s3
	s_mov_b32 s6, exec_lo
	v_cmpx_gt_i32_e64 s12, v11
	s_cbranch_execz .LBB164_15
; %bb.14:
	flat_load_b64 v[5:6], v[1:2]
.LBB164_15:
	s_or_b32 exec_lo, exec_lo, s6
	v_mul_u32_u24_e32 v9, 33, v11
	v_add_nc_u32_e32 v10, 8, v11
	s_mov_b32 s6, exec_lo
	s_delay_alu instid0(VALU_DEP_2)
	v_add_lshl_u32 v16, v9, v0, 3
	s_waitcnt vmcnt(0) lgkmcnt(0)
	ds_store_b64 v16, v[5:6]
	v_cmpx_gt_i32_e64 s12, v10
	s_cbranch_execz .LBB164_17
; %bb.16:
	s_lshl_b64 s[22:23], s[16:17], 6
	s_delay_alu instid0(SALU_CYCLE_1)
	v_add_co_u32 v5, vcc_lo, v1, s22
	v_add_co_ci_u32_e32 v6, vcc_lo, s23, v2, vcc_lo
	flat_load_b64 v[7:8], v[5:6]
.LBB164_17:
	s_or_b32 exec_lo, exec_lo, s6
	v_mov_b32_e32 v5, 0
	v_dual_mov_b32 v6, 0 :: v_dual_add_nc_u32 v9, 16, v11
	s_waitcnt vmcnt(0) lgkmcnt(0)
	ds_store_b64 v16, v[7:8] offset:2112
	v_cmp_gt_i32_e32 vcc_lo, s12, v9
	v_dual_mov_b32 v10, v6 :: v_dual_mov_b32 v9, v5
	s_and_saveexec_b32 s6, vcc_lo
	s_cbranch_execz .LBB164_19
; %bb.18:
	s_lshl_b64 s[22:23], s[16:17], 7
	s_delay_alu instid0(SALU_CYCLE_1)
	v_add_co_u32 v7, vcc_lo, v1, s22
	v_add_co_ci_u32_e32 v8, vcc_lo, s23, v2, vcc_lo
	flat_load_b64 v[9:10], v[7:8]
.LBB164_19:
	s_or_b32 exec_lo, exec_lo, s6
	v_add_nc_u32_e32 v7, 24, v11
	s_mov_b32 s6, exec_lo
	s_waitcnt vmcnt(0) lgkmcnt(0)
	ds_store_b64 v16, v[9:10] offset:4224
	v_cmpx_gt_i32_e64 s12, v7
	s_cbranch_execz .LBB164_21
; %bb.20:
	v_mad_u64_u32 v[5:6], null, 0xc0, s16, v[1:2]
	s_delay_alu instid0(VALU_DEP_1) | instskip(NEXT) | instid1(VALU_DEP_1)
	v_mad_u64_u32 v[7:8], null, 0xc0, s17, v[6:7]
	v_mov_b32_e32 v6, v7
	flat_load_b64 v[5:6], v[5:6]
.LBB164_21:
	s_or_b32 exec_lo, exec_lo, s6
	v_add_co_u32 v1, vcc_lo, v1, v18
	v_add_co_ci_u32_e32 v2, vcc_lo, 0, v2, vcc_lo
	s_waitcnt vmcnt(0) lgkmcnt(0)
	ds_store_b64 v16, v[5:6] offset:6336
	v_sub_co_u32 v1, vcc_lo, v1, s4
	v_subrev_co_ci_u32_e32 v2, vcc_lo, s5, v2, vcc_lo
	s_delay_alu instid0(VALU_DEP_2) | instskip(NEXT) | instid1(VALU_DEP_2)
	v_add_co_u32 v1, vcc_lo, v1, 8
	v_add_co_ci_u32_e32 v2, vcc_lo, 0, v2, vcc_lo
	s_delay_alu instid0(VALU_DEP_2) | instskip(NEXT) | instid1(VALU_DEP_2)
	v_cndmask_b32_e64 v1, v1, v3, s3
	v_cndmask_b32_e64 v2, v2, v4, s3
	v_mul_u32_u24_e32 v20, 33, v11
	s_branch .LBB164_24
.LBB164_22:
                                        ; implicit-def: $vgpr1_vgpr2
	v_mul_u32_u24_e32 v20, 33, v11
	s_cbranch_execz .LBB164_24
; %bb.23:
	flat_load_b64 v[1:2], v[3:4]
	s_lshl_b64 s[4:5], s[16:17], 6
	v_add_lshl_u32 v9, v20, v0, 3
	v_add_co_u32 v5, vcc_lo, v3, s4
	v_add_co_ci_u32_e32 v6, vcc_lo, s5, v4, vcc_lo
	s_waitcnt vmcnt(0) lgkmcnt(0)
	ds_store_b64 v9, v[1:2]
	flat_load_b64 v[1:2], v[5:6]
	v_add_co_u32 v5, vcc_lo, v5, s4
	v_add_co_ci_u32_e32 v6, vcc_lo, s5, v6, vcc_lo
	s_waitcnt vmcnt(0) lgkmcnt(0)
	ds_store_b64 v9, v[1:2] offset:2112
	flat_load_b64 v[1:2], v[5:6]
	v_mad_u64_u32 v[5:6], null, 0xc0, s16, v[3:4]
	s_delay_alu instid0(VALU_DEP_1) | instskip(NEXT) | instid1(VALU_DEP_1)
	v_mad_u64_u32 v[7:8], null, 0xc0, s17, v[6:7]
	v_mov_b32_e32 v6, v7
	s_waitcnt vmcnt(0) lgkmcnt(0)
	ds_store_b64 v9, v[1:2] offset:4224
	flat_load_b64 v[5:6], v[5:6]
	v_dual_mov_b32 v1, v3 :: v_dual_mov_b32 v2, v4
	s_waitcnt vmcnt(0) lgkmcnt(0)
	ds_store_b64 v9, v[5:6] offset:6336
.LBB164_24:
	v_lshlrev_b32_e32 v3, 2, v11
	v_mul_u32_u24_e32 v19, 33, v0
	v_mul_u32_u24_e32 v4, 0x84, v11
	s_waitcnt lgkmcnt(0)
	s_barrier
	v_cmp_gt_u32_e64 s4, v3, v0
	v_add_lshl_u32 v31, v3, v19, 3
	buffer_gl0_inv
	s_and_saveexec_b32 s3, s4
	s_cbranch_execz .LBB164_26
; %bb.25:
	v_add_lshl_u32 v5, v4, v0, 3
	ds_load_b64 v[5:6], v5
	s_waitcnt lgkmcnt(0)
	ds_store_b64 v31, v[5:6]
.LBB164_26:
	s_or_b32 exec_lo, exec_lo, s3
	v_cmp_ge_u32_e64 s5, v3, v0
	s_delay_alu instid0(VALU_DEP_1)
	s_and_saveexec_b32 s3, s5
	s_cbranch_execz .LBB164_28
; %bb.27:
	v_or_b32_e32 v5, 1, v3
	s_delay_alu instid0(VALU_DEP_1) | instskip(NEXT) | instid1(VALU_DEP_1)
	v_mul_u32_u24_e32 v5, 33, v5
	v_add_lshl_u32 v5, v5, v0, 3
	ds_load_b64 v[5:6], v5
	s_waitcnt lgkmcnt(0)
	ds_store_b64 v31, v[5:6] offset:8
.LBB164_28:
	s_or_b32 exec_lo, exec_lo, s3
	v_or_b32_e32 v5, 2, v3
	s_delay_alu instid0(VALU_DEP_1) | instskip(NEXT) | instid1(VALU_DEP_1)
	v_cmp_gt_u32_e64 s6, v5, v0
	s_and_saveexec_b32 s3, s6
	s_cbranch_execz .LBB164_30
; %bb.29:
	v_mul_u32_u24_e32 v5, 33, v5
	s_delay_alu instid0(VALU_DEP_1)
	v_add_lshl_u32 v5, v5, v0, 3
	ds_load_b64 v[5:6], v5
	s_waitcnt lgkmcnt(0)
	ds_store_b64 v31, v[5:6] offset:16
.LBB164_30:
	s_or_b32 exec_lo, exec_lo, s3
	v_or_b32_e32 v5, 3, v3
	s_delay_alu instid0(VALU_DEP_1) | instskip(SKIP_1) | instid1(VALU_DEP_2)
	v_mad_u32_u24 v6, v5, 33, v0
	v_cmp_gt_u32_e64 s7, v5, v0
	v_lshlrev_b32_e32 v21, 3, v6
	s_delay_alu instid0(VALU_DEP_2)
	s_and_saveexec_b32 s3, s7
	s_cbranch_execz .LBB164_32
; %bb.31:
	ds_load_b64 v[5:6], v21
	s_waitcnt lgkmcnt(0)
	ds_store_b64 v31, v[5:6] offset:24
.LBB164_32:
	s_or_b32 exec_lo, exec_lo, s3
	v_add_lshl_u32 v29, v4, v0, 3
	v_lshlrev_b32_e32 v32, 3, v3
	v_dual_mov_b32 v26, 0 :: v_dual_lshlrev_b32 v23, 3, v19
	s_waitcnt lgkmcnt(0)
	s_barrier
	buffer_gl0_inv
	v_mov_b32_e32 v27, 0
	ds_load_b64 v[7:8], v29
	ds_load_b128 v[3:6], v32 offset:9088
	v_add_nc_u32_e32 v30, 0xfffffdf0, v21
	v_add_lshl_u32 v28, v11, v19, 3
	v_cmp_gt_u32_e64 s3, 32, v22
	s_waitcnt lgkmcnt(0)
	v_fma_f64 v[3:4], v[7:8], v[3:4], 0
	ds_load_2addr_b64 v[7:10], v30 offset1:33
	s_waitcnt lgkmcnt(0)
	v_fma_f64 v[7:8], v[7:8], v[5:6], v[3:4]
	ds_load_b128 v[3:6], v32 offset:9104
	ds_load_b64 v[16:17], v21
	s_waitcnt lgkmcnt(0)
	s_barrier
	buffer_gl0_inv
	v_fma_f64 v[3:4], v[9:10], v[3:4], v[7:8]
	s_delay_alu instid0(VALU_DEP_1)
	v_fma_f64 v[3:4], v[16:17], v[5:6], v[3:4]
	ds_store_b64 v28, v[3:4]
	s_waitcnt lgkmcnt(0)
	s_barrier
	buffer_gl0_inv
	s_and_saveexec_b32 s8, s3
	s_cbranch_execz .LBB164_34
; %bb.33:
	ds_load_2addr_b64 v[3:6], v23 offset1:1
	ds_load_2addr_b64 v[7:10], v23 offset0:2 offset1:3
	s_waitcnt lgkmcnt(1)
	v_add_f64 v[3:4], v[3:4], v[5:6]
	s_waitcnt lgkmcnt(0)
	s_delay_alu instid0(VALU_DEP_1) | instskip(NEXT) | instid1(VALU_DEP_1)
	v_add_f64 v[3:4], v[3:4], v[7:8]
	v_add_f64 v[16:17], v[3:4], v[9:10]
	ds_load_2addr_b64 v[3:6], v23 offset0:4 offset1:5
	ds_load_2addr_b64 v[7:10], v23 offset0:6 offset1:7
	s_waitcnt lgkmcnt(1)
	v_add_f64 v[3:4], v[16:17], v[3:4]
	s_delay_alu instid0(VALU_DEP_1) | instskip(SKIP_1) | instid1(VALU_DEP_1)
	v_add_f64 v[3:4], v[3:4], v[5:6]
	s_waitcnt lgkmcnt(0)
	v_add_f64 v[3:4], v[3:4], v[7:8]
	s_delay_alu instid0(VALU_DEP_1)
	v_add_f64 v[26:27], v[3:4], v[9:10]
.LBB164_34:
	s_or_b32 exec_lo, exec_lo, s8
	s_lshl_b64 s[22:23], s[16:17], 8
	s_delay_alu instid0(SALU_CYCLE_1) | instskip(SKIP_2) | instid1(VALU_DEP_2)
	v_add_co_u32 v3, vcc_lo, v1, s22
	v_add_co_ci_u32_e32 v4, vcc_lo, s23, v2, vcc_lo
	s_barrier
	v_add_co_u32 v1, vcc_lo, 0x100, v3
	s_delay_alu instid0(VALU_DEP_2)
	v_add_co_ci_u32_e32 v2, vcc_lo, 0, v4, vcc_lo
	s_and_b32 vcc_lo, exec_lo, s26
	buffer_gl0_inv
	s_cbranch_vccz .LBB164_44
; %bb.35:
	v_or_b32_e32 v5, 32, v0
	s_ashr_i32 s13, s12, 31
	s_mov_b32 s27, exec_lo
	s_lshl_b64 s[22:23], s[12:13], 3
	s_sub_i32 s13, s12, 32
	v_dual_mov_b32 v9, 0 :: v_dual_lshlrev_b32 v6, 3, v5
	s_delay_alu instid0(VALU_DEP_1) | instskip(SKIP_1) | instid1(VALU_DEP_2)
	v_sub_co_u32 v6, vcc_lo, v1, v6
	v_subrev_co_ci_u32_e32 v7, vcc_lo, 0, v2, vcc_lo
	v_add_co_u32 v6, vcc_lo, v6, s22
	s_delay_alu instid0(VALU_DEP_2) | instskip(NEXT) | instid1(VALU_DEP_2)
	v_add_co_ci_u32_e32 v7, vcc_lo, s23, v7, vcc_lo
	v_add_co_u32 v8, vcc_lo, v6, -8
	s_delay_alu instid0(VALU_DEP_2) | instskip(SKIP_1) | instid1(VALU_DEP_3)
	v_add_co_ci_u32_e32 v6, vcc_lo, -1, v7, vcc_lo
	v_cmp_gt_i32_e32 vcc_lo, s12, v5
	v_dual_mov_b32 v10, 0 :: v_dual_cndmask_b32 v5, v8, v1
	s_delay_alu instid0(VALU_DEP_3) | instskip(NEXT) | instid1(VALU_DEP_2)
	v_dual_cndmask_b32 v6, v6, v2 :: v_dual_mov_b32 v7, v9
	v_mov_b32_e32 v8, v10
	v_cmpx_gt_i32_e64 s13, v11
	s_cbranch_execz .LBB164_37
; %bb.36:
	flat_load_b64 v[7:8], v[5:6]
.LBB164_37:
	s_or_b32 exec_lo, exec_lo, s27
	v_add_nc_u32_e32 v16, 8, v11
	v_add_lshl_u32 v33, v20, v0, 3
	s_mov_b32 s27, exec_lo
	s_waitcnt vmcnt(0) lgkmcnt(0)
	ds_store_b64 v33, v[7:8]
	v_cmpx_gt_i32_e64 s13, v16
	s_cbranch_execz .LBB164_39
; %bb.38:
	s_lshl_b64 s[28:29], s[16:17], 6
	s_delay_alu instid0(SALU_CYCLE_1) | instskip(NEXT) | instid1(VALU_DEP_1)
	v_add_co_u32 v7, s8, v5, s28
	v_add_co_ci_u32_e64 v8, s8, s29, v6, s8
	flat_load_b64 v[9:10], v[7:8]
.LBB164_39:
	s_or_b32 exec_lo, exec_lo, s27
	v_dual_mov_b32 v7, 0 :: v_dual_add_nc_u32 v16, 16, v11
	v_mov_b32_e32 v8, 0
	s_waitcnt vmcnt(0) lgkmcnt(0)
	ds_store_b64 v33, v[9:10] offset:2112
	v_cmp_gt_i32_e64 s8, s13, v16
	v_dual_mov_b32 v17, v8 :: v_dual_mov_b32 v16, v7
	s_delay_alu instid0(VALU_DEP_2)
	s_and_saveexec_b32 s27, s8
	s_cbranch_execz .LBB164_41
; %bb.40:
	s_lshl_b64 s[28:29], s[16:17], 7
	s_delay_alu instid0(SALU_CYCLE_1) | instskip(NEXT) | instid1(VALU_DEP_1)
	v_add_co_u32 v9, s8, v5, s28
	v_add_co_ci_u32_e64 v10, s8, s29, v6, s8
	flat_load_b64 v[16:17], v[9:10]
.LBB164_41:
	s_or_b32 exec_lo, exec_lo, s27
	v_add_nc_u32_e32 v9, 24, v11
	s_waitcnt vmcnt(0) lgkmcnt(0)
	ds_store_b64 v33, v[16:17] offset:4224
	v_cmp_gt_i32_e64 s8, s13, v9
	s_delay_alu instid0(VALU_DEP_1)
	s_and_saveexec_b32 s13, s8
	s_cbranch_execz .LBB164_43
; %bb.42:
	v_mad_u64_u32 v[7:8], null, 0xc0, s16, v[5:6]
	s_delay_alu instid0(VALU_DEP_1) | instskip(NEXT) | instid1(VALU_DEP_1)
	v_mad_u64_u32 v[9:10], null, 0xc0, s17, v[8:9]
	v_mov_b32_e32 v8, v9
	flat_load_b64 v[7:8], v[7:8]
.LBB164_43:
	s_or_b32 exec_lo, exec_lo, s13
	v_add_co_u32 v5, s8, v5, v18
	s_delay_alu instid0(VALU_DEP_1) | instskip(SKIP_3) | instid1(VALU_DEP_1)
	v_add_co_ci_u32_e64 v6, s8, 0, v6, s8
	s_waitcnt vmcnt(0) lgkmcnt(0)
	ds_store_b64 v33, v[7:8] offset:6336
	v_sub_co_u32 v5, s8, v5, s22
	v_subrev_co_ci_u32_e64 v6, s8, s23, v6, s8
	s_delay_alu instid0(VALU_DEP_2) | instskip(NEXT) | instid1(VALU_DEP_1)
	v_add_co_u32 v5, s8, 0x108, v5
	v_add_co_ci_u32_e64 v6, s8, 0, v6, s8
	s_delay_alu instid0(VALU_DEP_1)
	v_dual_cndmask_b32 v5, v5, v1 :: v_dual_cndmask_b32 v6, v6, v2
	s_branch .LBB164_46
.LBB164_44:
                                        ; implicit-def: $vgpr5_vgpr6
	s_cbranch_execz .LBB164_46
; %bb.45:
	flat_load_b64 v[5:6], v[3:4] offset:256
	s_lshl_b64 s[22:23], s[16:17], 6
	v_add_lshl_u32 v10, v20, v0, 3
	v_add_co_u32 v7, vcc_lo, v3, s22
	v_add_co_ci_u32_e32 v8, vcc_lo, s23, v4, vcc_lo
	s_waitcnt vmcnt(0) lgkmcnt(0)
	ds_store_b64 v10, v[5:6]
	flat_load_b64 v[5:6], v[7:8] offset:256
	v_add_co_u32 v7, vcc_lo, v7, s22
	v_add_co_ci_u32_e32 v8, vcc_lo, s23, v8, vcc_lo
	s_waitcnt vmcnt(0) lgkmcnt(0)
	ds_store_b64 v10, v[5:6] offset:2112
	flat_load_b64 v[5:6], v[7:8] offset:256
	v_mad_u64_u32 v[7:8], null, 0xc0, s16, v[3:4]
	s_delay_alu instid0(VALU_DEP_1)
	v_mov_b32_e32 v3, v8
	s_waitcnt vmcnt(0) lgkmcnt(0)
	ds_store_b64 v10, v[5:6] offset:4224
	v_mov_b32_e32 v6, v2
	v_mad_u64_u32 v[8:9], null, 0xc0, s17, v[3:4]
	v_mov_b32_e32 v5, v1
	flat_load_b64 v[3:4], v[7:8] offset:256
	s_waitcnt vmcnt(0) lgkmcnt(0)
	ds_store_b64 v10, v[3:4] offset:6336
.LBB164_46:
	s_waitcnt lgkmcnt(0)
	s_barrier
	buffer_gl0_inv
	s_and_saveexec_b32 s8, s4
	s_cbranch_execnz .LBB164_63
; %bb.47:
	s_or_b32 exec_lo, exec_lo, s8
	s_and_saveexec_b32 s4, s5
	s_cbranch_execnz .LBB164_64
.LBB164_48:
	s_or_b32 exec_lo, exec_lo, s4
	s_and_saveexec_b32 s4, s6
	s_cbranch_execnz .LBB164_65
.LBB164_49:
	s_or_b32 exec_lo, exec_lo, s4
	v_add_nc_u32_e32 v32, 0x2380, v32
	s_and_saveexec_b32 s4, s7
	s_cbranch_execz .LBB164_51
.LBB164_50:
	ds_load_b64 v[1:2], v21
	s_waitcnt lgkmcnt(0)
	ds_store_b64 v31, v[1:2] offset:24
.LBB164_51:
	s_or_b32 exec_lo, exec_lo, s4
	s_waitcnt lgkmcnt(0)
	s_barrier
	buffer_gl0_inv
	ds_load_b64 v[7:8], v29
	ds_load_b128 v[1:4], v32 offset:256
	v_cmp_eq_u32_e64 s4, 1, v11
	s_waitcnt lgkmcnt(0)
	v_fma_f64 v[1:2], v[7:8], v[1:2], 0
	ds_load_2addr_b64 v[7:10], v30 offset1:33
	s_waitcnt lgkmcnt(0)
	v_fma_f64 v[7:8], v[7:8], v[3:4], v[1:2]
	ds_load_b128 v[1:4], v32 offset:272
	ds_load_b64 v[16:17], v21
	s_waitcnt lgkmcnt(0)
	s_barrier
	buffer_gl0_inv
	v_fma_f64 v[1:2], v[9:10], v[1:2], v[7:8]
	s_delay_alu instid0(VALU_DEP_1)
	v_fma_f64 v[1:2], v[16:17], v[3:4], v[1:2]
	ds_store_b64 v28, v[1:2]
	s_waitcnt lgkmcnt(0)
	s_barrier
	buffer_gl0_inv
	s_and_saveexec_b32 s5, s4
	s_cbranch_execz .LBB164_53
; %bb.52:
	ds_load_2addr_b64 v[1:4], v23 offset1:1
	ds_load_2addr_b64 v[7:10], v23 offset0:2 offset1:3
	s_waitcnt lgkmcnt(1)
	v_add_f64 v[1:2], v[1:2], v[3:4]
	s_waitcnt lgkmcnt(0)
	s_delay_alu instid0(VALU_DEP_1) | instskip(NEXT) | instid1(VALU_DEP_1)
	v_add_f64 v[1:2], v[1:2], v[7:8]
	v_add_f64 v[16:17], v[1:2], v[9:10]
	ds_load_2addr_b64 v[1:4], v23 offset0:4 offset1:5
	ds_load_2addr_b64 v[7:10], v23 offset0:6 offset1:7
	s_waitcnt lgkmcnt(1)
	v_add_f64 v[1:2], v[16:17], v[1:2]
	s_delay_alu instid0(VALU_DEP_1) | instskip(SKIP_1) | instid1(VALU_DEP_1)
	v_add_f64 v[1:2], v[1:2], v[3:4]
	s_waitcnt lgkmcnt(0)
	v_add_f64 v[1:2], v[1:2], v[7:8]
	s_delay_alu instid0(VALU_DEP_1)
	v_add_f64 v[26:27], v[1:2], v[9:10]
.LBB164_53:
	s_or_b32 exec_lo, exec_lo, s5
	v_add_co_u32 v1, vcc_lo, 0xffffff00, v5
	v_add_co_ci_u32_e32 v2, vcc_lo, -1, v6, vcc_lo
	s_and_b32 vcc_lo, exec_lo, s26
	s_barrier
	buffer_gl0_inv
	s_cbranch_vccz .LBB164_66
; %bb.54:
	v_sub_co_u32 v3, vcc_lo, v1, v18
	s_ashr_i32 s13, s12, 31
	v_subrev_co_ci_u32_e32 v4, vcc_lo, 0, v2, vcc_lo
	s_lshl_b64 s[6:7], s[12:13], 3
	s_sub_i32 s8, s12, 32
	v_add_co_u32 v3, vcc_lo, v3, s6
	s_delay_alu instid0(VALU_DEP_2) | instskip(SKIP_1) | instid1(VALU_DEP_2)
	v_add_co_ci_u32_e32 v4, vcc_lo, s7, v4, vcc_lo
	s_mov_b32 s13, exec_lo
	v_add_co_u32 v3, vcc_lo, v3, -8
	s_delay_alu instid0(VALU_DEP_2) | instskip(SKIP_2) | instid1(VALU_DEP_4)
	v_add_co_ci_u32_e32 v4, vcc_lo, -1, v4, vcc_lo
	v_cmp_gt_i32_e32 vcc_lo, s12, v0
	v_mov_b32_e32 v7, 0
	v_dual_mov_b32 v8, 0 :: v_dual_cndmask_b32 v3, v3, v1
	s_delay_alu instid0(VALU_DEP_2) | instskip(NEXT) | instid1(VALU_DEP_2)
	v_dual_cndmask_b32 v4, v4, v2 :: v_dual_mov_b32 v5, v7
	v_mov_b32_e32 v6, v8
	v_cmpx_gt_i32_e64 s8, v11
	s_cbranch_execz .LBB164_56
; %bb.55:
	flat_load_b64 v[5:6], v[3:4]
.LBB164_56:
	s_or_b32 exec_lo, exec_lo, s13
	v_add_nc_u32_e32 v31, 8, v11
	v_add_lshl_u32 v34, v20, v0, 3
	s_mov_b32 s13, exec_lo
	s_waitcnt vmcnt(0) lgkmcnt(0)
	ds_store_b64 v34, v[5:6]
	v_cmpx_gt_i32_e64 s8, v31
	s_cbranch_execz .LBB164_58
; %bb.57:
	s_lshl_b64 s[22:23], s[16:17], 6
	s_delay_alu instid0(SALU_CYCLE_1) | instskip(NEXT) | instid1(VALU_DEP_1)
	v_add_co_u32 v5, s5, v3, s22
	v_add_co_ci_u32_e64 v6, s5, s23, v4, s5
	flat_load_b64 v[7:8], v[5:6]
.LBB164_58:
	s_or_b32 exec_lo, exec_lo, s13
	v_mov_b32_e32 v5, 0
	v_dual_mov_b32 v6, 0 :: v_dual_add_nc_u32 v33, 16, v11
	s_mov_b32 s13, exec_lo
	s_waitcnt vmcnt(0) lgkmcnt(0)
	ds_store_b64 v34, v[7:8] offset:2112
	v_dual_mov_b32 v10, v6 :: v_dual_mov_b32 v9, v5
	v_cmpx_gt_i32_e64 s8, v33
	s_cbranch_execz .LBB164_60
; %bb.59:
	s_lshl_b64 s[22:23], s[16:17], 7
	s_delay_alu instid0(SALU_CYCLE_1) | instskip(NEXT) | instid1(VALU_DEP_1)
	v_add_co_u32 v7, s5, v3, s22
	v_add_co_ci_u32_e64 v8, s5, s23, v4, s5
	flat_load_b64 v[9:10], v[7:8]
.LBB164_60:
	s_or_b32 exec_lo, exec_lo, s13
	v_add_nc_u32_e32 v7, 24, v11
	s_waitcnt vmcnt(0) lgkmcnt(0)
	ds_store_b64 v34, v[9:10] offset:4224
	v_cmp_gt_i32_e64 s5, s8, v7
	s_delay_alu instid0(VALU_DEP_1)
	s_and_saveexec_b32 s8, s5
	s_cbranch_execz .LBB164_62
; %bb.61:
	v_mad_u64_u32 v[5:6], null, 0xc0, s16, v[3:4]
	s_delay_alu instid0(VALU_DEP_1) | instskip(NEXT) | instid1(VALU_DEP_1)
	v_mad_u64_u32 v[8:9], null, 0xc0, s17, v[6:7]
	v_mov_b32_e32 v6, v8
	flat_load_b64 v[5:6], v[5:6]
.LBB164_62:
	s_or_b32 exec_lo, exec_lo, s8
	v_add_co_u32 v3, s5, v3, v18
	s_delay_alu instid0(VALU_DEP_1) | instskip(SKIP_3) | instid1(VALU_DEP_1)
	v_add_co_ci_u32_e64 v4, s5, 0, v4, s5
	s_waitcnt vmcnt(0) lgkmcnt(0)
	ds_store_b64 v34, v[5:6] offset:6336
	v_sub_co_u32 v3, s5, v3, s6
	v_subrev_co_ci_u32_e64 v4, s5, s7, v4, s5
	s_delay_alu instid0(VALU_DEP_2) | instskip(NEXT) | instid1(VALU_DEP_1)
	v_add_co_u32 v3, s5, v3, 8
	v_add_co_ci_u32_e64 v4, s5, 0, v4, s5
	s_delay_alu instid0(VALU_DEP_1)
	v_dual_cndmask_b32 v16, v3, v1 :: v_dual_cndmask_b32 v17, v4, v2
	s_branch .LBB164_68
.LBB164_63:
	ds_load_b64 v[1:2], v29
	s_waitcnt lgkmcnt(0)
	ds_store_b64 v31, v[1:2]
	s_or_b32 exec_lo, exec_lo, s8
	s_and_saveexec_b32 s4, s5
	s_cbranch_execz .LBB164_48
.LBB164_64:
	ds_load_b64 v[1:2], v30
	s_waitcnt lgkmcnt(0)
	ds_store_b64 v31, v[1:2] offset:8
	s_or_b32 exec_lo, exec_lo, s4
	s_and_saveexec_b32 s4, s6
	s_cbranch_execz .LBB164_49
.LBB164_65:
	ds_load_b64 v[1:2], v30 offset:264
	s_waitcnt lgkmcnt(0)
	ds_store_b64 v31, v[1:2] offset:16
	s_or_b32 exec_lo, exec_lo, s4
	v_add_nc_u32_e32 v32, 0x2380, v32
	s_and_saveexec_b32 s4, s7
	s_cbranch_execnz .LBB164_50
	s_branch .LBB164_51
.LBB164_66:
                                        ; implicit-def: $vgpr16_vgpr17
                                        ; implicit-def: $vgpr31
                                        ; implicit-def: $vgpr33
                                        ; implicit-def: $vgpr7
	s_cbranch_execz .LBB164_68
; %bb.67:
	flat_load_b64 v[3:4], v[1:2]
	s_lshl_b64 s[6:7], s[16:17], 6
	v_add_lshl_u32 v8, v20, v0, 3
	v_add_co_u32 v5, vcc_lo, v1, s6
	v_add_co_ci_u32_e32 v6, vcc_lo, s7, v2, vcc_lo
	v_mov_b32_e32 v17, v2
	v_dual_mov_b32 v16, v1 :: v_dual_add_nc_u32 v33, 16, v11
	v_add_nc_u32_e32 v31, 8, v11
	s_waitcnt vmcnt(0) lgkmcnt(0)
	ds_store_b64 v8, v[3:4]
	flat_load_b64 v[3:4], v[5:6]
	v_add_co_u32 v5, vcc_lo, v5, s6
	v_add_co_ci_u32_e32 v6, vcc_lo, s7, v6, vcc_lo
	s_waitcnt vmcnt(0) lgkmcnt(0)
	ds_store_b64 v8, v[3:4] offset:2112
	flat_load_b64 v[3:4], v[5:6]
	v_mad_u64_u32 v[5:6], null, 0xc0, s16, v[1:2]
	s_delay_alu instid0(VALU_DEP_1) | instskip(NEXT) | instid1(VALU_DEP_1)
	v_mov_b32_e32 v0, v6
	v_mad_u64_u32 v[6:7], null, 0xc0, s17, v[0:1]
	v_add_nc_u32_e32 v7, 24, v11
	s_waitcnt vmcnt(0) lgkmcnt(0)
	ds_store_b64 v8, v[3:4] offset:4224
	flat_load_b64 v[3:4], v[5:6]
	s_waitcnt vmcnt(0) lgkmcnt(0)
	ds_store_b64 v8, v[3:4] offset:6336
.LBB164_68:
	v_lshlrev_b32_e32 v0, 3, v11
	s_waitcnt lgkmcnt(0)
	s_barrier
	buffer_gl0_inv
	v_add_lshl_u32 v6, v31, v19, 3
	ds_load_b64 v[4:5], v0 offset:9088
	ds_load_b64 v[8:9], v28
	v_lshlrev_b32_e32 v18, 3, v31
	v_add_lshl_u32 v20, v33, v19, 3
	ds_load_b128 v[0:3], v32 offset:272
	ds_load_b64 v[10:11], v6
	ds_load_b64 v[34:35], v18 offset:9088
	ds_load_b64 v[36:37], v20
	v_lshlrev_b32_e32 v6, 3, v33
	s_waitcnt lgkmcnt(4)
	v_fma_f64 v[4:5], v[8:9], v[4:5], 0
	ds_load_b64 v[8:9], v6 offset:9088
	v_add_lshl_u32 v6, v7, v19, 3
	s_waitcnt lgkmcnt(2)
	v_fma_f64 v[4:5], v[10:11], v[34:35], v[4:5]
	v_lshlrev_b32_e32 v10, 3, v7
	ds_load_b64 v[6:7], v6
	ds_load_b64 v[10:11], v10 offset:9088
	ds_load_b64 v[18:19], v21
	s_waitcnt lgkmcnt(3)
	v_fma_f64 v[4:5], v[36:37], v[8:9], v[4:5]
	s_waitcnt lgkmcnt(1)
	s_delay_alu instid0(VALU_DEP_1)
	v_fma_f64 v[33:34], v[6:7], v[10:11], v[4:5]
	ds_load_b64 v[20:21], v29
	ds_load_b128 v[8:11], v32 offset:256
	ds_load_2addr_b64 v[4:7], v30 offset1:33
	s_waitcnt lgkmcnt(0)
	s_barrier
	buffer_gl0_inv
	ds_store_b64 v28, v[33:34]
	s_waitcnt lgkmcnt(0)
	s_barrier
	buffer_gl0_inv
	s_and_saveexec_b32 s5, s4
	s_cbranch_execz .LBB164_70
; %bb.69:
	ds_load_2addr_b64 v[29:32], v23 offset1:1
	ds_load_2addr_b64 v[33:36], v23 offset0:2 offset1:3
	s_waitcnt lgkmcnt(1)
	v_add_f64 v[26:27], v[26:27], v[29:30]
	s_delay_alu instid0(VALU_DEP_1) | instskip(SKIP_1) | instid1(VALU_DEP_1)
	v_add_f64 v[26:27], v[26:27], v[31:32]
	s_waitcnt lgkmcnt(0)
	v_add_f64 v[26:27], v[26:27], v[33:34]
	s_delay_alu instid0(VALU_DEP_1) | instskip(SKIP_4) | instid1(VALU_DEP_1)
	v_add_f64 v[26:27], v[26:27], v[35:36]
	ds_load_2addr_b64 v[29:32], v23 offset0:4 offset1:5
	ds_load_2addr_b64 v[33:36], v23 offset0:6 offset1:7
	s_waitcnt lgkmcnt(1)
	v_add_f64 v[26:27], v[26:27], v[29:30]
	v_add_f64 v[26:27], v[26:27], v[31:32]
	s_waitcnt lgkmcnt(0)
	s_delay_alu instid0(VALU_DEP_1) | instskip(NEXT) | instid1(VALU_DEP_1)
	v_add_f64 v[26:27], v[26:27], v[33:34]
	v_add_f64 v[26:27], v[26:27], v[35:36]
.LBB164_70:
	s_or_b32 exec_lo, exec_lo, s5
	v_fma_f64 v[8:9], v[20:21], v[8:9], 0
	s_barrier
	buffer_gl0_inv
	v_fma_f64 v[4:5], v[4:5], v[10:11], v[8:9]
	s_delay_alu instid0(VALU_DEP_1) | instskip(NEXT) | instid1(VALU_DEP_1)
	v_fma_f64 v[0:1], v[6:7], v[0:1], v[4:5]
	v_fma_f64 v[0:1], v[18:19], v[2:3], v[0:1]
	ds_store_b64 v28, v[0:1]
	s_waitcnt lgkmcnt(0)
	s_barrier
	buffer_gl0_inv
	s_and_saveexec_b32 s4, s3
	s_cbranch_execz .LBB164_72
; %bb.71:
	ds_load_2addr_b64 v[0:3], v23 offset1:1
	ds_load_2addr_b64 v[4:7], v23 offset0:2 offset1:3
	s_waitcnt lgkmcnt(1)
	v_add_f64 v[0:1], v[26:27], v[0:1]
	s_delay_alu instid0(VALU_DEP_1) | instskip(SKIP_1) | instid1(VALU_DEP_1)
	v_add_f64 v[0:1], v[0:1], v[2:3]
	s_waitcnt lgkmcnt(0)
	v_add_f64 v[0:1], v[0:1], v[4:5]
	s_delay_alu instid0(VALU_DEP_1) | instskip(SKIP_4) | instid1(VALU_DEP_1)
	v_add_f64 v[8:9], v[0:1], v[6:7]
	ds_load_2addr_b64 v[0:3], v23 offset0:4 offset1:5
	ds_load_2addr_b64 v[4:7], v23 offset0:6 offset1:7
	s_waitcnt lgkmcnt(1)
	v_add_f64 v[0:1], v[8:9], v[0:1]
	v_add_f64 v[0:1], v[0:1], v[2:3]
	s_waitcnt lgkmcnt(0)
	s_delay_alu instid0(VALU_DEP_1) | instskip(NEXT) | instid1(VALU_DEP_1)
	v_add_f64 v[0:1], v[0:1], v[4:5]
	v_add_f64 v[26:27], v[0:1], v[6:7]
.LBB164_72:
	s_or_b32 exec_lo, exec_lo, s4
	s_load_b64 s[0:1], s[0:1], 0x68
	s_mul_hi_u32 s3, s24, s20
	s_mul_i32 s25, s25, s20
	s_mul_i32 s4, s24, s20
	s_add_i32 s3, s3, s25
	s_mul_hi_u32 s5, s4, s15
	s_mul_i32 s3, s3, s15
	s_mul_i32 s4, s4, s15
	s_add_i32 s5, s5, s3
	s_mul_hi_i32 s7, s24, s14
	s_lshl_b64 s[4:5], s[4:5], 3
	s_mul_i32 s6, s24, s14
	v_lshlrev_b32_e32 v94, 3, v92
	s_waitcnt lgkmcnt(0)
	s_barrier
	buffer_gl0_inv
	s_add_u32 s3, s0, s4
	s_addc_u32 s4, s1, s5
	s_lshl_b64 s[0:1], s[6:7], 3
	s_delay_alu instid0(SALU_CYCLE_1) | instskip(SKIP_2) | instid1(SALU_CYCLE_1)
	s_add_u32 s3, s3, s0
	s_addc_u32 s6, s4, s1
	s_add_i32 s0, s14, 1
	s_cmp_ge_u32 s0, s15
	s_cbranch_scc1 .LBB164_129
; %bb.73:
	v_lshrrev_b32_e32 v8, 4, v22
	v_lshlrev_b32_e32 v9, 5, v93
	v_and_b32_e32 v7, 15, v92
	v_or_b32_e32 v1, 0x78, v94
	s_mul_i32 s0, s18, s11
	v_lshlrev_b32_e32 v2, 5, v8
	v_add_nc_u32_e32 v11, 0x110, v9
	v_add_nc_u32_e32 v10, 0x118, v9
	v_mad_u32_u24 v101, 0x218, v7, v1
	s_mul_hi_u32 s1, s18, s10
	v_mad_u32_u24 v102, 0x218, v7, v2
	v_mad_u64_u32 v[2:3], null, s16, v11, 0
	v_and_b32_e32 v6, 48, v92
	s_mul_i32 s4, s19, s10
	s_add_i32 s0, s1, s0
	v_mad_u32_u24 v107, 0x860, v93, v94
	s_add_i32 s1, s0, s4
	v_lshlrev_b32_e32 v0, 3, v6
	s_mul_i32 s0, s18, s10
	s_add_i32 s7, s15, -2
	s_lshl_b64 s[0:1], s[0:1], 3
	s_add_i32 s8, s18, 64
	v_mad_u32_u24 v100, 0x218, v7, v0
	v_mad_u64_u32 v[0:1], null, s16, v10, 0
	v_sub_co_u32 v96, vcc_lo, v14, s0
	v_subrev_co_ci_u32_e32 v97, vcc_lo, s1, v15, vcc_lo
	v_mul_i32_i24_e32 v14, 0xffffffe8, v8
	v_cmp_gt_u32_e64 s0, 64, v22
	v_mad_u64_u32 v[4:5], null, s17, v10, v[1:2]
	v_dual_mov_b32 v1, v3 :: v_dual_add_nc_u32 v10, 0x108, v9
	v_or_b32_e32 v120, v6, v7
	v_add_nc_u32_e32 v98, 0x2180, v94
	v_add_nc_u32_e32 v153, v102, v14
	s_delay_alu instid0(VALU_DEP_4) | instskip(SKIP_3) | instid1(VALU_DEP_4)
	v_mad_u64_u32 v[5:6], null, s16, v10, 0
	v_mov_b32_e32 v7, v4
	v_mad_u64_u32 v[3:4], null, s17, v11, v[1:2]
	v_sub_co_u32 v1, vcc_lo, v0, v12
	v_dual_mov_b32 v0, v6 :: v_dual_lshlrev_b32 v95, 2, v93
	s_delay_alu instid0(VALU_DEP_4) | instskip(NEXT) | instid1(VALU_DEP_3)
	v_sub_co_ci_u32_e32 v4, vcc_lo, v7, v13, vcc_lo
	v_add_co_u32 v121, vcc_lo, v16, v1
	v_mov_b32_e32 v7, v3
	s_delay_alu instid0(VALU_DEP_3)
	v_add_co_ci_u32_e32 v122, vcc_lo, v17, v4, vcc_lo
	v_mad_u64_u32 v[3:4], null, s17, v10, v[0:1]
	v_sub_co_u32 v2, vcc_lo, v2, v12
	v_add_nc_u32_e32 v6, 0x100, v9
	v_sub_co_ci_u32_e32 v4, vcc_lo, v7, v13, vcc_lo
	v_add_nc_u32_e32 v10, 0x198, v9
	s_delay_alu instid0(VALU_DEP_4) | instskip(NEXT) | instid1(VALU_DEP_4)
	v_add_co_u32 v123, vcc_lo, v16, v2
	v_mad_u64_u32 v[0:1], null, s16, v6, 0
	s_delay_alu instid0(VALU_DEP_4) | instskip(SKIP_4) | instid1(VALU_DEP_4)
	v_add_co_ci_u32_e32 v124, vcc_lo, v17, v4, vcc_lo
	v_mov_b32_e32 v4, v3
	v_mad_u64_u32 v[2:3], null, s16, v10, 0
	v_add_nc_u32_e32 v11, 0x190, v9
	v_sub_co_u32 v7, vcc_lo, v5, v12
	v_sub_co_ci_u32_e32 v8, vcc_lo, v4, v13, vcc_lo
	v_or_b32_e32 v103, 1, v95
	v_mad_u64_u32 v[4:5], null, s17, v6, v[1:2]
	v_mad_u64_u32 v[5:6], null, s16, v11, 0
	v_mov_b32_e32 v1, v3
	v_add_co_u32 v125, vcc_lo, v16, v7
	s_delay_alu instid0(VALU_DEP_4) | instskip(SKIP_1) | instid1(VALU_DEP_4)
	v_dual_mov_b32 v3, v4 :: v_dual_add_nc_u32 v108, 16, v95
	v_add_co_ci_u32_e32 v126, vcc_lo, v17, v8, vcc_lo
	v_mad_u64_u32 v[7:8], null, s17, v10, v[1:2]
	v_mov_b32_e32 v1, v6
	v_sub_co_u32 v6, vcc_lo, v0, v12
	v_sub_co_ci_u32_e32 v8, vcc_lo, v3, v13, vcc_lo
	v_add_nc_u32_e32 v10, 0x188, v9
	s_delay_alu instid0(VALU_DEP_4) | instskip(NEXT) | instid1(VALU_DEP_4)
	v_mad_u64_u32 v[3:4], null, s17, v11, v[1:2]
	v_add_co_u32 v127, vcc_lo, v16, v6
	s_delay_alu instid0(VALU_DEP_3)
	v_mad_u64_u32 v[0:1], null, s16, v10, 0
	v_add_co_ci_u32_e32 v128, vcc_lo, v17, v8, vcc_lo
	v_add_nc_u32_e32 v99, 0x2380, v94
	v_sub_co_u32 v6, vcc_lo, v2, v12
	v_mov_b32_e32 v2, v3
	v_add_nc_u32_e32 v8, 0x180, v9
	v_sub_co_ci_u32_e32 v7, vcc_lo, v7, v13, vcc_lo
	v_sub_co_u32 v5, vcc_lo, v5, v12
	s_delay_alu instid0(VALU_DEP_4)
	v_sub_co_ci_u32_e32 v11, vcc_lo, v2, v13, vcc_lo
	v_mad_u64_u32 v[2:3], null, s17, v10, v[1:2]
	v_mad_u64_u32 v[3:4], null, s16, v8, 0
	v_add_co_u32 v129, vcc_lo, v16, v6
	v_add_nc_u32_e32 v10, 0x218, v9
	v_add_co_ci_u32_e32 v130, vcc_lo, v17, v7, vcc_lo
	v_add_co_u32 v131, vcc_lo, v16, v5
	v_add_co_ci_u32_e32 v132, vcc_lo, v17, v11, vcc_lo
	v_dual_mov_b32 v1, v4 :: v_dual_add_nc_u32 v110, 18, v95
	v_sub_co_u32 v0, vcc_lo, v0, v12
	v_mad_u64_u32 v[4:5], null, s16, v10, 0
	v_sub_co_ci_u32_e32 v2, vcc_lo, v2, v13, vcc_lo
	s_delay_alu instid0(VALU_DEP_3) | instskip(SKIP_1) | instid1(VALU_DEP_3)
	v_add_co_u32 v133, vcc_lo, v16, v0
	v_or_b32_e32 v104, 2, v95
	v_mad_u64_u32 v[6:7], null, s17, v8, v[1:2]
	v_dual_mov_b32 v0, v5 :: v_dual_add_nc_u32 v7, 0x210, v9
	v_add_co_ci_u32_e32 v134, vcc_lo, v17, v2, vcc_lo
	v_add_nc_u32_e32 v109, 17, v95
	v_sub_co_u32 v3, vcc_lo, v3, v12
	v_mov_b32_e32 v8, v6
	v_mad_u64_u32 v[1:2], null, s16, v7, 0
	v_add_nc_u32_e32 v111, 19, v95
	v_add_nc_u32_e32 v15, 0x298, v9
	v_or_b32_e32 v105, 3, v95
	v_add_nc_u32_e32 v116, 48, v95
	v_add_nc_u32_e32 v118, 50, v95
	s_lshl_b64 s[4:5], s[16:17], 9
	v_mad_u64_u32 v[5:6], null, s17, v10, v[0:1]
	v_sub_co_ci_u32_e32 v6, vcc_lo, v8, v13, vcc_lo
	v_dual_mov_b32 v0, v2 :: v_dual_add_nc_u32 v113, 33, v95
	v_add_co_u32 v135, vcc_lo, v16, v3
	s_delay_alu instid0(VALU_DEP_4) | instskip(SKIP_4) | instid1(VALU_DEP_4)
	v_mov_b32_e32 v10, v5
	v_add_nc_u32_e32 v8, 0x208, v9
	v_add_co_ci_u32_e32 v136, vcc_lo, v17, v6, vcc_lo
	v_mad_u64_u32 v[2:3], null, s17, v7, v[0:1]
	v_sub_co_u32 v0, vcc_lo, v4, v12
	v_mad_u64_u32 v[5:6], null, s16, v8, 0
	v_sub_co_ci_u32_e32 v3, vcc_lo, v10, v13, vcc_lo
	v_add_nc_u32_e32 v10, 0x200, v9
	s_delay_alu instid0(VALU_DEP_4) | instskip(SKIP_1) | instid1(VALU_DEP_4)
	v_add_co_u32 v137, vcc_lo, v16, v0
	v_dual_mov_b32 v4, v2 :: v_dual_add_nc_u32 v115, 35, v95
	v_add_co_ci_u32_e32 v138, vcc_lo, v17, v3, vcc_lo
	s_delay_alu instid0(VALU_DEP_4) | instskip(SKIP_4) | instid1(VALU_DEP_3)
	v_mad_u64_u32 v[2:3], null, s16, v10, 0
	v_mov_b32_e32 v0, v6
	v_sub_co_u32 v1, vcc_lo, v1, v12
	v_add_nc_u32_e32 v117, 49, v95
	v_sub_co_ci_u32_e32 v11, vcc_lo, v4, v13, vcc_lo
	v_mad_u64_u32 v[6:7], null, s17, v8, v[0:1]
	v_mov_b32_e32 v0, v3
	v_mad_u64_u32 v[3:4], null, s16, v15, 0
	v_add_nc_u32_e32 v106, 0x2180, v9
	v_add_nc_u32_e32 v119, 51, v95
	v_add_co_u32 v139, vcc_lo, v16, v1
	v_mad_u64_u32 v[7:8], null, s17, v10, v[0:1]
	v_dual_mov_b32 v0, v4 :: v_dual_mov_b32 v1, v6
	v_add_nc_u32_e32 v10, 0x290, v9
	v_add_co_ci_u32_e32 v140, vcc_lo, v17, v11, vcc_lo
	v_sub_co_u32 v6, vcc_lo, v5, v12
	s_delay_alu instid0(VALU_DEP_4) | instskip(SKIP_2) | instid1(VALU_DEP_4)
	v_sub_co_ci_u32_e32 v8, vcc_lo, v1, v13, vcc_lo
	v_mad_u64_u32 v[4:5], null, s17, v15, v[0:1]
	v_mad_u64_u32 v[0:1], null, s16, v10, 0
	v_add_co_u32 v141, vcc_lo, v16, v6
	v_add_nc_u32_e32 v15, 0x288, v9
	v_add_nc_u32_e32 v9, 0x280, v9
	v_add_co_ci_u32_e32 v142, vcc_lo, v17, v8, vcc_lo
	v_sub_co_u32 v8, vcc_lo, v2, v12
	v_dual_mov_b32 v11, v4 :: v_dual_add_nc_u32 v112, 32, v95
	v_mad_u64_u32 v[4:5], null, s17, v10, v[1:2]
	v_sub_co_ci_u32_e32 v7, vcc_lo, v7, v13, vcc_lo
	v_mad_u64_u32 v[5:6], null, s16, v9, 0
	v_add_co_u32 v143, vcc_lo, v16, v8
	v_mad_u64_u32 v[1:2], null, s16, v15, 0
	s_delay_alu instid0(VALU_DEP_4)
	v_add_co_ci_u32_e32 v144, vcc_lo, v17, v7, vcc_lo
	v_sub_co_u32 v10, vcc_lo, v3, v12
	v_dual_mov_b32 v3, v6 :: v_dual_add_nc_u32 v114, 34, v95
	v_sub_co_ci_u32_e32 v11, vcc_lo, v11, v13, vcc_lo
	v_sub_co_u32 v0, vcc_lo, v0, v12
	v_sub_co_ci_u32_e32 v4, vcc_lo, v4, v13, vcc_lo
	s_delay_alu instid0(VALU_DEP_4) | instskip(SKIP_1) | instid1(VALU_DEP_3)
	v_mad_u64_u32 v[6:7], null, s17, v15, v[2:3]
	v_add_co_u32 v145, vcc_lo, v16, v10
	v_mad_u64_u32 v[7:8], null, s17, v9, v[3:4]
	v_add_co_ci_u32_e32 v146, vcc_lo, v17, v11, vcc_lo
	v_add_co_u32 v147, vcc_lo, v16, v0
	v_mov_b32_e32 v0, v6
	v_add_co_ci_u32_e32 v148, vcc_lo, v17, v4, vcc_lo
	v_mov_b32_e32 v2, v7
	v_sub_co_u32 v1, vcc_lo, v1, v12
	s_delay_alu instid0(VALU_DEP_4) | instskip(SKIP_1) | instid1(VALU_DEP_4)
	v_sub_co_ci_u32_e32 v0, vcc_lo, v0, v13, vcc_lo
	v_sub_co_u32 v3, vcc_lo, v5, v12
	v_sub_co_ci_u32_e32 v2, vcc_lo, v2, v13, vcc_lo
	s_delay_alu instid0(VALU_DEP_4) | instskip(NEXT) | instid1(VALU_DEP_4)
	v_add_co_u32 v149, vcc_lo, v16, v1
	v_add_co_ci_u32_e32 v150, vcc_lo, v17, v0, vcc_lo
	s_delay_alu instid0(VALU_DEP_4) | instskip(NEXT) | instid1(VALU_DEP_4)
	v_add_co_u32 v151, vcc_lo, v16, v3
	v_add_co_ci_u32_e32 v152, vcc_lo, v17, v2, vcc_lo
	s_cmp_eq_u32 s7, s14
	s_cselect_b32 s13, s21, 0
	s_and_saveexec_b32 s1, s2
	s_cbranch_execz .LBB164_77
.LBB164_74:
	v_cmp_gt_i32_e32 vcc_lo, s13, v92
	s_cmp_eq_u32 s13, 0
	v_mov_b32_e32 v0, 0
	v_mov_b32_e32 v1, 0
	s_cselect_b32 s16, -1, 0
	s_delay_alu instid0(SALU_CYCLE_1) | instskip(NEXT) | instid1(SALU_CYCLE_1)
	s_or_b32 s17, s16, vcc_lo
	s_and_saveexec_b32 s16, s17
	s_cbranch_execz .LBB164_76
; %bb.75:
	s_mul_i32 s17, s8, s11
	s_mul_hi_u32 s18, s8, s10
	s_ashr_i32 s19, s8, 31
	s_add_i32 s17, s18, s17
	s_mul_i32 s19, s19, s10
	s_mul_i32 s18, s8, s10
	s_add_i32 s19, s17, s19
	s_delay_alu instid0(SALU_CYCLE_1) | instskip(NEXT) | instid1(SALU_CYCLE_1)
	s_lshl_b64 s[18:19], s[18:19], 3
	v_add_co_u32 v0, vcc_lo, v96, s18
	v_add_co_ci_u32_e32 v1, vcc_lo, s19, v97, vcc_lo
	flat_load_b64 v[0:1], v[0:1]
.LBB164_76:
	s_or_b32 exec_lo, exec_lo, s16
	s_waitcnt vmcnt(0) lgkmcnt(0)
	ds_store_b64 v98, v[0:1]
.LBB164_77:                             ; =>This Inner Loop Header: Depth=1
	s_or_b32 exec_lo, exec_lo, s1
	s_cmp_eq_u32 s13, 0
	v_add_co_u32 v0, vcc_lo, v127, v94
	s_cselect_b32 s16, -1, 0
	s_cmp_lg_u32 s13, 0
	v_add_co_ci_u32_e32 v1, vcc_lo, 0, v128, vcc_lo
	s_cselect_b32 s1, -1, 0
	s_waitcnt lgkmcnt(0)
	s_and_b32 vcc_lo, exec_lo, s1
	s_barrier
	buffer_gl0_inv
	s_cbranch_vccz .LBB164_125
; %bb.78:                               ;   in Loop: Header=BB164_77 Depth=1
	v_mov_b32_e32 v30, 0
	v_mov_b32_e32 v31, 0
	s_delay_alu instid0(VALU_DEP_2) | instskip(SKIP_1) | instid1(VALU_DEP_2)
	v_mov_b32_e32 v28, v30
	s_mov_b32 s17, exec_lo
	v_mov_b32_e32 v29, v31
	v_cmpx_gt_i32_e64 s13, v95
	s_cbranch_execz .LBB164_80
; %bb.79:                               ;   in Loop: Header=BB164_77 Depth=1
	flat_load_b64 v[28:29], v[0:1]
.LBB164_80:                             ;   in Loop: Header=BB164_77 Depth=1
	s_or_b32 exec_lo, exec_lo, s17
	s_delay_alu instid0(SALU_CYCLE_1)
	s_mov_b32 s17, exec_lo
	v_cmpx_gt_i32_e64 s13, v103
	s_cbranch_execz .LBB164_82
; %bb.81:                               ;   in Loop: Header=BB164_77 Depth=1
	v_add_co_u32 v2, vcc_lo, v125, v94
	v_add_co_ci_u32_e32 v3, vcc_lo, 0, v126, vcc_lo
	flat_load_b64 v[30:31], v[2:3]
.LBB164_82:                             ;   in Loop: Header=BB164_77 Depth=1
	s_or_b32 exec_lo, exec_lo, s17
	v_mov_b32_e32 v32, 0
	v_mov_b32_e32 v33, 0
	s_mov_b32 s17, exec_lo
	s_delay_alu instid0(VALU_DEP_1)
	v_dual_mov_b32 v35, v33 :: v_dual_mov_b32 v34, v32
	v_cmpx_gt_i32_e64 s13, v104
	s_cbranch_execz .LBB164_84
; %bb.83:                               ;   in Loop: Header=BB164_77 Depth=1
	v_add_co_u32 v2, vcc_lo, v123, v94
	v_add_co_ci_u32_e32 v3, vcc_lo, 0, v124, vcc_lo
	flat_load_b64 v[34:35], v[2:3]
.LBB164_84:                             ;   in Loop: Header=BB164_77 Depth=1
	s_or_b32 exec_lo, exec_lo, s17
	s_delay_alu instid0(SALU_CYCLE_1)
	s_mov_b32 s17, exec_lo
	v_cmpx_gt_i32_e64 s13, v105
	s_cbranch_execz .LBB164_86
; %bb.85:                               ;   in Loop: Header=BB164_77 Depth=1
	v_add_co_u32 v2, vcc_lo, v121, v94
	v_add_co_ci_u32_e32 v3, vcc_lo, 0, v122, vcc_lo
	flat_load_b64 v[32:33], v[2:3]
.LBB164_86:                             ;   in Loop: Header=BB164_77 Depth=1
	s_or_b32 exec_lo, exec_lo, s17
	s_branch .LBB164_88
.LBB164_87:                             ;   in Loop: Header=BB164_77 Depth=1
	v_add_co_u32 v2, vcc_lo, v125, v94
	v_add_co_ci_u32_e32 v3, vcc_lo, 0, v126, vcc_lo
	v_add_co_u32 v4, vcc_lo, v123, v94
	v_add_co_ci_u32_e32 v5, vcc_lo, 0, v124, vcc_lo
	;; [unrolled: 2-line block ×3, first 2 shown]
	s_waitcnt vmcnt(0) lgkmcnt(0)
	flat_load_b64 v[28:29], v[0:1]
	flat_load_b64 v[30:31], v[2:3]
	;; [unrolled: 1-line block ×4, first 2 shown]
.LBB164_88:                             ;   in Loop: Header=BB164_77 Depth=1
	ds_load_b64 v[0:1], v99
	ds_load_b64 v[36:37], v106
	v_add_co_u32 v8, vcc_lo, v135, v94
	v_cndmask_b32_e64 v76, 0, 1, s1
	v_add_co_ci_u32_e32 v9, vcc_lo, 0, v136, vcc_lo
	s_and_not1_b32 vcc_lo, exec_lo, s1
	s_waitcnt vmcnt(0) lgkmcnt(1)
	v_mul_f64 v[2:3], v[28:29], v[0:1]
	v_mul_f64 v[4:5], v[30:31], v[0:1]
	;; [unrolled: 1-line block ×4, first 2 shown]
	ds_store_b64 v107, v[2:3]
	ds_load_b64 v[38:39], v106 offset:8
	ds_store_b64 v107, v[4:5] offset:536
	ds_load_b64 v[40:41], v106 offset:16
	ds_store_b64 v107, v[6:7] offset:1072
	;; [unrolled: 2-line block ×3, first 2 shown]
	s_waitcnt lgkmcnt(0)
	s_barrier
	buffer_gl0_inv
	ds_load_2addr_b64 v[4:7], v102 offset1:1
	ds_load_2addr_b64 v[0:3], v102 offset0:2 offset1:3
	s_waitcnt lgkmcnt(0)
	s_barrier
	buffer_gl0_inv
	s_cbranch_vccnz .LBB164_126
; %bb.89:                               ;   in Loop: Header=BB164_77 Depth=1
	v_mov_b32_e32 v46, 0
	v_mov_b32_e32 v47, 0
	s_delay_alu instid0(VALU_DEP_2) | instskip(SKIP_1) | instid1(VALU_DEP_2)
	v_mov_b32_e32 v44, v46
	s_mov_b32 s1, exec_lo
	v_mov_b32_e32 v45, v47
	v_cmpx_gt_i32_e64 s13, v108
	s_cbranch_execz .LBB164_91
; %bb.90:                               ;   in Loop: Header=BB164_77 Depth=1
	flat_load_b64 v[44:45], v[8:9]
.LBB164_91:                             ;   in Loop: Header=BB164_77 Depth=1
	s_or_b32 exec_lo, exec_lo, s1
	s_delay_alu instid0(SALU_CYCLE_1)
	s_mov_b32 s1, exec_lo
	v_cmpx_gt_i32_e64 s13, v109
	s_cbranch_execz .LBB164_93
; %bb.92:                               ;   in Loop: Header=BB164_77 Depth=1
	v_add_co_u32 v10, vcc_lo, v133, v94
	v_add_co_ci_u32_e32 v11, vcc_lo, 0, v134, vcc_lo
	flat_load_b64 v[46:47], v[10:11]
.LBB164_93:                             ;   in Loop: Header=BB164_77 Depth=1
	s_or_b32 exec_lo, exec_lo, s1
	v_mov_b32_e32 v48, 0
	v_mov_b32_e32 v49, 0
	s_mov_b32 s1, exec_lo
	s_delay_alu instid0(VALU_DEP_1)
	v_dual_mov_b32 v51, v49 :: v_dual_mov_b32 v50, v48
	v_cmpx_gt_i32_e64 s13, v110
	s_cbranch_execz .LBB164_95
; %bb.94:                               ;   in Loop: Header=BB164_77 Depth=1
	v_add_co_u32 v10, vcc_lo, v131, v94
	v_add_co_ci_u32_e32 v11, vcc_lo, 0, v132, vcc_lo
	flat_load_b64 v[50:51], v[10:11]
.LBB164_95:                             ;   in Loop: Header=BB164_77 Depth=1
	s_or_b32 exec_lo, exec_lo, s1
	s_delay_alu instid0(SALU_CYCLE_1)
	s_mov_b32 s1, exec_lo
	v_cmpx_gt_i32_e64 s13, v111
	s_cbranch_execz .LBB164_97
; %bb.96:                               ;   in Loop: Header=BB164_77 Depth=1
	v_add_co_u32 v10, vcc_lo, v129, v94
	v_add_co_ci_u32_e32 v11, vcc_lo, 0, v130, vcc_lo
	flat_load_b64 v[48:49], v[10:11]
.LBB164_97:                             ;   in Loop: Header=BB164_77 Depth=1
	s_or_b32 exec_lo, exec_lo, s1
	s_branch .LBB164_99
.LBB164_98:                             ;   in Loop: Header=BB164_77 Depth=1
	v_add_co_u32 v10, vcc_lo, v133, v94
	v_add_co_ci_u32_e32 v11, vcc_lo, 0, v134, vcc_lo
	v_add_co_u32 v12, vcc_lo, v131, v94
	v_add_co_ci_u32_e32 v13, vcc_lo, 0, v132, vcc_lo
	;; [unrolled: 2-line block ×3, first 2 shown]
	s_waitcnt vmcnt(0) lgkmcnt(0)
	flat_load_b64 v[44:45], v[8:9]
	flat_load_b64 v[46:47], v[10:11]
	;; [unrolled: 1-line block ×4, first 2 shown]
.LBB164_99:                             ;   in Loop: Header=BB164_77 Depth=1
	ds_load_b64 v[8:9], v99
	ds_load_b64 v[52:53], v106 offset:128
	v_cmp_ne_u32_e32 vcc_lo, 1, v76
	v_add_co_u32 v16, s1, v143, v94
	s_delay_alu instid0(VALU_DEP_1)
	v_add_co_ci_u32_e64 v17, s1, 0, v144, s1
	s_and_b32 vcc_lo, exec_lo, vcc_lo
	s_waitcnt vmcnt(0) lgkmcnt(1)
	v_mul_f64 v[10:11], v[44:45], v[8:9]
	v_mul_f64 v[12:13], v[46:47], v[8:9]
	;; [unrolled: 1-line block ×4, first 2 shown]
	ds_store_b64 v107, v[10:11]
	ds_load_b64 v[54:55], v106 offset:136
	ds_store_b64 v107, v[12:13] offset:536
	ds_load_b64 v[56:57], v106 offset:144
	ds_store_b64 v107, v[14:15] offset:1072
	;; [unrolled: 2-line block ×3, first 2 shown]
	s_waitcnt lgkmcnt(0)
	s_barrier
	buffer_gl0_inv
	ds_load_2addr_b64 v[12:15], v102 offset1:1
	ds_load_2addr_b64 v[8:11], v102 offset0:2 offset1:3
	s_waitcnt lgkmcnt(0)
	s_barrier
	buffer_gl0_inv
	s_cbranch_vccnz .LBB164_127
; %bb.100:                              ;   in Loop: Header=BB164_77 Depth=1
	v_mov_b32_e32 v62, 0
	v_mov_b32_e32 v63, 0
	s_delay_alu instid0(VALU_DEP_2) | instskip(SKIP_1) | instid1(VALU_DEP_2)
	v_mov_b32_e32 v60, v62
	s_mov_b32 s1, exec_lo
	v_mov_b32_e32 v61, v63
	v_cmpx_gt_i32_e64 s13, v112
	s_cbranch_execz .LBB164_102
; %bb.101:                              ;   in Loop: Header=BB164_77 Depth=1
	flat_load_b64 v[60:61], v[16:17]
.LBB164_102:                            ;   in Loop: Header=BB164_77 Depth=1
	s_or_b32 exec_lo, exec_lo, s1
	s_delay_alu instid0(SALU_CYCLE_1)
	s_mov_b32 s1, exec_lo
	v_cmpx_gt_i32_e64 s13, v113
	s_cbranch_execz .LBB164_104
; %bb.103:                              ;   in Loop: Header=BB164_77 Depth=1
	v_add_co_u32 v18, vcc_lo, v141, v94
	v_add_co_ci_u32_e32 v19, vcc_lo, 0, v142, vcc_lo
	flat_load_b64 v[62:63], v[18:19]
.LBB164_104:                            ;   in Loop: Header=BB164_77 Depth=1
	s_or_b32 exec_lo, exec_lo, s1
	v_mov_b32_e32 v64, 0
	v_mov_b32_e32 v65, 0
	s_mov_b32 s1, exec_lo
	s_delay_alu instid0(VALU_DEP_1)
	v_dual_mov_b32 v67, v65 :: v_dual_mov_b32 v66, v64
	v_cmpx_gt_i32_e64 s13, v114
	s_cbranch_execz .LBB164_106
; %bb.105:                              ;   in Loop: Header=BB164_77 Depth=1
	v_add_co_u32 v18, vcc_lo, v139, v94
	v_add_co_ci_u32_e32 v19, vcc_lo, 0, v140, vcc_lo
	flat_load_b64 v[66:67], v[18:19]
.LBB164_106:                            ;   in Loop: Header=BB164_77 Depth=1
	s_or_b32 exec_lo, exec_lo, s1
	s_delay_alu instid0(SALU_CYCLE_1)
	s_mov_b32 s1, exec_lo
	v_cmpx_gt_i32_e64 s13, v115
	s_cbranch_execz .LBB164_108
; %bb.107:                              ;   in Loop: Header=BB164_77 Depth=1
	v_add_co_u32 v18, vcc_lo, v137, v94
	v_add_co_ci_u32_e32 v19, vcc_lo, 0, v138, vcc_lo
	flat_load_b64 v[64:65], v[18:19]
.LBB164_108:                            ;   in Loop: Header=BB164_77 Depth=1
	s_or_b32 exec_lo, exec_lo, s1
	s_branch .LBB164_110
.LBB164_109:                            ;   in Loop: Header=BB164_77 Depth=1
	v_add_co_u32 v18, vcc_lo, v141, v94
	v_add_co_ci_u32_e32 v19, vcc_lo, 0, v142, vcc_lo
	v_add_co_u32 v20, vcc_lo, v139, v94
	v_add_co_ci_u32_e32 v21, vcc_lo, 0, v140, vcc_lo
	;; [unrolled: 2-line block ×3, first 2 shown]
	s_waitcnt vmcnt(0) lgkmcnt(0)
	flat_load_b64 v[60:61], v[16:17]
	flat_load_b64 v[62:63], v[18:19]
	;; [unrolled: 1-line block ×4, first 2 shown]
.LBB164_110:                            ;   in Loop: Header=BB164_77 Depth=1
	ds_load_b64 v[16:17], v99
	ds_load_b64 v[68:69], v106 offset:256
	v_cmp_ne_u32_e32 vcc_lo, 1, v76
	v_add_co_u32 v84, s1, v151, v94
	s_delay_alu instid0(VALU_DEP_1)
	v_add_co_ci_u32_e64 v85, s1, 0, v152, s1
	s_and_b32 vcc_lo, exec_lo, vcc_lo
	s_waitcnt vmcnt(0) lgkmcnt(1)
	v_mul_f64 v[18:19], v[60:61], v[16:17]
	v_mul_f64 v[20:21], v[62:63], v[16:17]
	;; [unrolled: 1-line block ×4, first 2 shown]
	ds_store_b64 v107, v[18:19]
	ds_load_b64 v[70:71], v106 offset:264
	ds_store_b64 v107, v[20:21] offset:536
	ds_load_b64 v[72:73], v106 offset:272
	ds_store_b64 v107, v[22:23] offset:1072
	;; [unrolled: 2-line block ×3, first 2 shown]
	s_waitcnt lgkmcnt(0)
	s_barrier
	buffer_gl0_inv
	ds_load_2addr_b64 v[20:23], v102 offset1:1
	ds_load_2addr_b64 v[16:19], v102 offset0:2 offset1:3
	s_waitcnt lgkmcnt(0)
	s_barrier
	buffer_gl0_inv
	s_cbranch_vccnz .LBB164_128
; %bb.111:                              ;   in Loop: Header=BB164_77 Depth=1
	v_mov_b32_e32 v78, 0
	v_mov_b32_e32 v79, 0
	s_delay_alu instid0(VALU_DEP_2) | instskip(SKIP_1) | instid1(VALU_DEP_2)
	v_mov_b32_e32 v76, v78
	s_mov_b32 s1, exec_lo
	v_mov_b32_e32 v77, v79
	v_cmpx_gt_i32_e64 s13, v116
	s_cbranch_execz .LBB164_113
; %bb.112:                              ;   in Loop: Header=BB164_77 Depth=1
	flat_load_b64 v[76:77], v[84:85]
.LBB164_113:                            ;   in Loop: Header=BB164_77 Depth=1
	s_or_b32 exec_lo, exec_lo, s1
	s_delay_alu instid0(SALU_CYCLE_1)
	s_mov_b32 s1, exec_lo
	v_cmpx_gt_i32_e64 s13, v117
	s_cbranch_execz .LBB164_115
; %bb.114:                              ;   in Loop: Header=BB164_77 Depth=1
	v_add_co_u32 v78, vcc_lo, v149, v94
	v_add_co_ci_u32_e32 v79, vcc_lo, 0, v150, vcc_lo
	flat_load_b64 v[78:79], v[78:79]
.LBB164_115:                            ;   in Loop: Header=BB164_77 Depth=1
	s_or_b32 exec_lo, exec_lo, s1
	v_mov_b32_e32 v80, 0
	v_mov_b32_e32 v81, 0
	s_mov_b32 s1, exec_lo
	s_delay_alu instid0(VALU_DEP_1)
	v_dual_mov_b32 v83, v81 :: v_dual_mov_b32 v82, v80
	v_cmpx_gt_i32_e64 s13, v118
	s_cbranch_execz .LBB164_117
; %bb.116:                              ;   in Loop: Header=BB164_77 Depth=1
	v_add_co_u32 v82, vcc_lo, v147, v94
	v_add_co_ci_u32_e32 v83, vcc_lo, 0, v148, vcc_lo
	flat_load_b64 v[82:83], v[82:83]
.LBB164_117:                            ;   in Loop: Header=BB164_77 Depth=1
	s_or_b32 exec_lo, exec_lo, s1
	s_delay_alu instid0(SALU_CYCLE_1)
	s_mov_b32 s1, exec_lo
	v_cmpx_gt_i32_e64 s13, v119
	s_cbranch_execz .LBB164_119
; %bb.118:                              ;   in Loop: Header=BB164_77 Depth=1
	v_add_co_u32 v80, vcc_lo, v145, v94
	v_add_co_ci_u32_e32 v81, vcc_lo, 0, v146, vcc_lo
	flat_load_b64 v[80:81], v[80:81]
.LBB164_119:                            ;   in Loop: Header=BB164_77 Depth=1
	s_or_b32 exec_lo, exec_lo, s1
	s_branch .LBB164_121
.LBB164_120:                            ;   in Loop: Header=BB164_77 Depth=1
	s_waitcnt vmcnt(0) lgkmcnt(0)
	v_add_co_u32 v78, vcc_lo, v149, v94
	v_add_co_ci_u32_e32 v79, vcc_lo, 0, v150, vcc_lo
	v_add_co_u32 v80, vcc_lo, v147, v94
	v_add_co_ci_u32_e32 v81, vcc_lo, 0, v148, vcc_lo
	;; [unrolled: 2-line block ×3, first 2 shown]
	flat_load_b64 v[76:77], v[84:85]
	flat_load_b64 v[78:79], v[78:79]
	;; [unrolled: 1-line block ×4, first 2 shown]
.LBB164_121:                            ;   in Loop: Header=BB164_77 Depth=1
	ds_load_b64 v[84:85], v99
	ds_load_b64 v[86:87], v106 offset:384
	v_add_f64 v[12:13], v[12:13], 0
	v_add_f64 v[4:5], v[4:5], 0
	v_add_f64 v[20:21], v[20:21], 0
	v_cmp_gt_i32_e32 vcc_lo, s13, v92
	s_or_b32 s1, s16, vcc_lo
	s_delay_alu instid0(SALU_CYCLE_1)
	s_and_b32 s13, s0, s1
	s_waitcnt vmcnt(0) lgkmcnt(1)
	v_mul_f64 v[88:89], v[76:77], v[84:85]
	v_mul_f64 v[90:91], v[78:79], v[84:85]
	;; [unrolled: 1-line block ×4, first 2 shown]
	v_add_f64 v[12:13], v[12:13], v[14:15]
	v_add_f64 v[4:5], v[4:5], v[6:7]
	;; [unrolled: 1-line block ×3, first 2 shown]
	ds_store_b64 v107, v[88:89]
	ds_load_b64 v[88:89], v106 offset:392
	ds_store_b64 v107, v[90:91] offset:536
	ds_load_b64 v[90:91], v106 offset:400
	ds_store_b64 v107, v[154:155] offset:1072
	;; [unrolled: 2-line block ×3, first 2 shown]
	s_waitcnt lgkmcnt(0)
	s_barrier
	buffer_gl0_inv
	ds_load_2addr_b64 v[154:157], v102 offset1:1
	ds_load_2addr_b64 v[158:161], v102 offset0:2 offset1:3
	s_waitcnt lgkmcnt(0)
	s_barrier
	buffer_gl0_inv
	v_add_f64 v[8:9], v[12:13], v[8:9]
	v_add_f64 v[0:1], v[4:5], v[0:1]
	;; [unrolled: 1-line block ×4, first 2 shown]
	s_delay_alu instid0(VALU_DEP_4) | instskip(NEXT) | instid1(VALU_DEP_4)
	v_add_f64 v[8:9], v[8:9], v[10:11]
	v_add_f64 v[0:1], v[0:1], v[2:3]
	s_delay_alu instid0(VALU_DEP_3) | instskip(NEXT) | instid1(VALU_DEP_1)
	v_add_f64 v[6:7], v[154:155], v[156:157]
	v_add_f64 v[4:5], v[6:7], v[158:159]
	;; [unrolled: 1-line block ×3, first 2 shown]
	s_delay_alu instid0(VALU_DEP_2)
	v_add_f64 v[2:3], v[4:5], v[160:161]
	ds_store_2addr_b64 v153, v[0:1], v[8:9] offset1:16
	ds_store_2addr_b64 v153, v[6:7], v[2:3] offset0:32 offset1:48
	s_waitcnt lgkmcnt(0)
	s_barrier
	buffer_gl0_inv
	s_and_saveexec_b32 s1, s13
	s_cbranch_execz .LBB164_123
; %bb.122:                              ;   in Loop: Header=BB164_77 Depth=1
	ds_load_2addr_b64 v[0:3], v100 offset1:1
	ds_load_2addr_b64 v[4:7], v100 offset0:2 offset1:3
	s_waitcnt lgkmcnt(1)
	v_add_f64 v[0:1], v[0:1], v[2:3]
	s_waitcnt lgkmcnt(0)
	s_delay_alu instid0(VALU_DEP_1) | instskip(NEXT) | instid1(VALU_DEP_1)
	v_add_f64 v[0:1], v[0:1], v[4:5]
	v_add_f64 v[8:9], v[0:1], v[6:7]
	ds_load_2addr_b64 v[0:3], v100 offset0:4 offset1:5
	ds_load_2addr_b64 v[4:7], v100 offset0:6 offset1:7
	s_waitcnt lgkmcnt(1)
	v_add_f64 v[0:1], v[8:9], v[0:1]
	s_delay_alu instid0(VALU_DEP_1) | instskip(SKIP_1) | instid1(VALU_DEP_1)
	v_add_f64 v[0:1], v[0:1], v[2:3]
	s_waitcnt lgkmcnt(0)
	v_add_f64 v[0:1], v[0:1], v[4:5]
	s_delay_alu instid0(VALU_DEP_1) | instskip(SKIP_4) | instid1(VALU_DEP_1)
	v_add_f64 v[8:9], v[0:1], v[6:7]
	ds_load_2addr_b64 v[0:3], v100 offset0:8 offset1:9
	ds_load_2addr_b64 v[4:7], v100 offset0:10 offset1:11
	s_waitcnt lgkmcnt(1)
	v_add_f64 v[0:1], v[8:9], v[0:1]
	v_add_f64 v[0:1], v[0:1], v[2:3]
	s_waitcnt lgkmcnt(0)
	s_delay_alu instid0(VALU_DEP_1) | instskip(NEXT) | instid1(VALU_DEP_1)
	v_add_f64 v[0:1], v[0:1], v[4:5]
	v_add_f64 v[4:5], v[0:1], v[6:7]
	ds_load_2addr_b64 v[0:3], v100 offset0:12 offset1:13
	ds_load_b64 v[6:7], v100 offset:112
	s_waitcnt lgkmcnt(1)
	v_add_f64 v[0:1], v[4:5], v[0:1]
	s_delay_alu instid0(VALU_DEP_1) | instskip(SKIP_4) | instid1(VALU_DEP_1)
	v_add_f64 v[0:1], v[0:1], v[2:3]
	ds_load_b64 v[2:3], v101
	s_waitcnt lgkmcnt(1)
	v_add_f64 v[0:1], v[0:1], v[6:7]
	s_waitcnt lgkmcnt(0)
	v_add_f64 v[0:1], v[0:1], v[2:3]
	v_add_nc_u32_e32 v2, s8, v120
	s_delay_alu instid0(VALU_DEP_1) | instskip(NEXT) | instid1(VALU_DEP_1)
	v_ashrrev_i32_e32 v3, 31, v2
	v_lshlrev_b64 v[2:3], 3, v[2:3]
	s_delay_alu instid0(VALU_DEP_1) | instskip(NEXT) | instid1(VALU_DEP_2)
	v_add_co_u32 v2, vcc_lo, s3, v2
	v_add_co_ci_u32_e32 v3, vcc_lo, s6, v3, vcc_lo
	global_store_b64 v[2:3], v[0:1], off
.LBB164_123:                            ;   in Loop: Header=BB164_77 Depth=1
	s_or_b32 exec_lo, exec_lo, s1
	v_fma_f64 v[0:1], v[28:29], v[36:37], v[26:27]
	v_add_co_u32 v121, vcc_lo, v121, s4
	v_add_co_ci_u32_e32 v122, vcc_lo, s5, v122, vcc_lo
	v_add_co_u32 v123, vcc_lo, v123, s4
	v_add_co_ci_u32_e32 v124, vcc_lo, s5, v124, vcc_lo
	v_add_co_u32 v125, vcc_lo, v125, s4
	v_add_co_ci_u32_e32 v126, vcc_lo, s5, v126, vcc_lo
	v_add_co_u32 v127, vcc_lo, v127, s4
	v_add_co_ci_u32_e32 v128, vcc_lo, s5, v128, vcc_lo
	v_add_co_u32 v129, vcc_lo, v129, s4
	v_add_co_ci_u32_e32 v130, vcc_lo, s5, v130, vcc_lo
	v_add_co_u32 v131, vcc_lo, v131, s4
	v_add_co_ci_u32_e32 v132, vcc_lo, s5, v132, vcc_lo
	v_add_co_u32 v133, vcc_lo, v133, s4
	v_add_co_ci_u32_e32 v134, vcc_lo, s5, v134, vcc_lo
	v_add_co_u32 v135, vcc_lo, v135, s4
	v_add_co_ci_u32_e32 v136, vcc_lo, s5, v136, vcc_lo
	v_add_co_u32 v137, vcc_lo, v137, s4
	v_add_co_ci_u32_e32 v138, vcc_lo, s5, v138, vcc_lo
	v_add_co_u32 v139, vcc_lo, v139, s4
	v_fma_f64 v[0:1], v[30:31], v[38:39], v[0:1]
	v_add_co_ci_u32_e32 v140, vcc_lo, s5, v140, vcc_lo
	v_add_co_u32 v141, vcc_lo, v141, s4
	v_add_co_ci_u32_e32 v142, vcc_lo, s5, v142, vcc_lo
	v_add_co_u32 v143, vcc_lo, v143, s4
	;; [unrolled: 2-line block ×6, first 2 shown]
	v_add_co_ci_u32_e32 v152, vcc_lo, s5, v152, vcc_lo
	s_add_i32 s13, s14, 2
	s_add_i32 s1, s14, 1
	;; [unrolled: 1-line block ×3, first 2 shown]
	s_cmp_ge_u32 s13, s15
	s_waitcnt_vscnt null, 0x0
	s_barrier
	buffer_gl0_inv
	v_fma_f64 v[0:1], v[34:35], v[40:41], v[0:1]
	s_delay_alu instid0(VALU_DEP_1) | instskip(NEXT) | instid1(VALU_DEP_1)
	v_fma_f64 v[0:1], v[32:33], v[42:43], v[0:1]
	v_fma_f64 v[0:1], v[44:45], v[52:53], v[0:1]
	s_delay_alu instid0(VALU_DEP_1) | instskip(NEXT) | instid1(VALU_DEP_1)
	v_fma_f64 v[0:1], v[46:47], v[54:55], v[0:1]
	;; [unrolled: 3-line block ×6, first 2 shown]
	v_fma_f64 v[0:1], v[82:83], v[90:91], v[0:1]
	s_delay_alu instid0(VALU_DEP_1)
	v_fma_f64 v[26:27], v[80:81], v[84:85], v[0:1]
	s_cbranch_scc1 .LBB164_129
; %bb.124:                              ;   in Loop: Header=BB164_77 Depth=1
	s_mov_b32 s14, s1
	s_delay_alu instid0(SALU_CYCLE_1)
	s_cmp_eq_u32 s7, s14
	s_cselect_b32 s13, s21, 0
	s_and_saveexec_b32 s1, s2
	s_cbranch_execnz .LBB164_74
	s_branch .LBB164_77
.LBB164_125:                            ;   in Loop: Header=BB164_77 Depth=1
                                        ; implicit-def: $vgpr32_vgpr33
                                        ; implicit-def: $vgpr34_vgpr35
                                        ; implicit-def: $vgpr30_vgpr31
                                        ; implicit-def: $vgpr28_vgpr29
	s_cbranch_execnz .LBB164_87
	s_branch .LBB164_88
.LBB164_126:                            ;   in Loop: Header=BB164_77 Depth=1
                                        ; implicit-def: $vgpr48_vgpr49
                                        ; implicit-def: $vgpr50_vgpr51
                                        ; implicit-def: $vgpr46_vgpr47
                                        ; implicit-def: $vgpr44_vgpr45
	s_cbranch_execnz .LBB164_98
	s_branch .LBB164_99
.LBB164_127:                            ;   in Loop: Header=BB164_77 Depth=1
                                        ; implicit-def: $vgpr64_vgpr65
                                        ; implicit-def: $vgpr66_vgpr67
                                        ; implicit-def: $vgpr62_vgpr63
                                        ; implicit-def: $vgpr60_vgpr61
	s_cbranch_execnz .LBB164_109
	s_branch .LBB164_110
.LBB164_128:                            ;   in Loop: Header=BB164_77 Depth=1
                                        ; implicit-def: $vgpr80_vgpr81
                                        ; implicit-def: $vgpr82_vgpr83
                                        ; implicit-def: $vgpr78_vgpr79
                                        ; implicit-def: $vgpr76_vgpr77
	s_cbranch_execnz .LBB164_120
	s_branch .LBB164_121
.LBB164_129:
	v_cmp_gt_i32_e32 vcc_lo, s12, v92
	v_mad_u32_u24 v0, 0x218, v93, v94
	s_or_b32 s0, s9, vcc_lo
	ds_store_b64 v0, v[26:27]
	s_and_b32 s0, s2, s0
	s_waitcnt lgkmcnt(0)
	s_barrier
	buffer_gl0_inv
	s_and_saveexec_b32 s1, s0
	s_cbranch_execz .LBB164_6
; %bb.130:
	ds_load_2addr_b64 v[0:3], v94 offset1:67
	s_waitcnt lgkmcnt(0)
	v_add_f64 v[4:5], v[0:1], v[2:3]
	ds_load_2addr_b64 v[0:3], v94 offset0:134 offset1:201
	s_waitcnt lgkmcnt(0)
	v_add_f64 v[0:1], v[4:5], v[0:1]
	s_delay_alu instid0(VALU_DEP_1) | instskip(SKIP_1) | instid1(VALU_DEP_1)
	v_add_f64 v[0:1], v[0:1], v[2:3]
	v_lshlrev_b64 v[2:3], 3, v[24:25]
	v_add_co_u32 v2, vcc_lo, s3, v2
	s_delay_alu instid0(VALU_DEP_2)
	v_add_co_ci_u32_e32 v3, vcc_lo, s6, v3, vcc_lo
	global_store_b64 v[2:3], v[0:1], off
	s_nop 0
	s_sendmsg sendmsg(MSG_DEALLOC_VGPRS)
	s_endpgm
	.section	.rodata,"a",@progbits
	.p2align	6, 0x0
	.amdhsa_kernel _ZL26rocblas_hemvn_kernel_upperILb0ELi64ELi4ELi33ELi32ELi16EldPKPKdPdEviT6_lT7_lT5_lS6_lS7_lS5_lT8_i
		.amdhsa_group_segment_fixed_size 9600
		.amdhsa_private_segment_fixed_size 0
		.amdhsa_kernarg_size 376
		.amdhsa_user_sgpr_count 14
		.amdhsa_user_sgpr_dispatch_ptr 0
		.amdhsa_user_sgpr_queue_ptr 0
		.amdhsa_user_sgpr_kernarg_segment_ptr 1
		.amdhsa_user_sgpr_dispatch_id 0
		.amdhsa_user_sgpr_private_segment_size 0
		.amdhsa_wavefront_size32 1
		.amdhsa_uses_dynamic_stack 0
		.amdhsa_enable_private_segment 0
		.amdhsa_system_sgpr_workgroup_id_x 1
		.amdhsa_system_sgpr_workgroup_id_y 0
		.amdhsa_system_sgpr_workgroup_id_z 1
		.amdhsa_system_sgpr_workgroup_info 0
		.amdhsa_system_vgpr_workitem_id 1
		.amdhsa_next_free_vgpr 162
		.amdhsa_next_free_sgpr 30
		.amdhsa_reserve_vcc 1
		.amdhsa_float_round_mode_32 0
		.amdhsa_float_round_mode_16_64 0
		.amdhsa_float_denorm_mode_32 3
		.amdhsa_float_denorm_mode_16_64 3
		.amdhsa_dx10_clamp 1
		.amdhsa_ieee_mode 1
		.amdhsa_fp16_overflow 0
		.amdhsa_workgroup_processor_mode 1
		.amdhsa_memory_ordered 1
		.amdhsa_forward_progress 0
		.amdhsa_shared_vgpr_count 0
		.amdhsa_exception_fp_ieee_invalid_op 0
		.amdhsa_exception_fp_denorm_src 0
		.amdhsa_exception_fp_ieee_div_zero 0
		.amdhsa_exception_fp_ieee_overflow 0
		.amdhsa_exception_fp_ieee_underflow 0
		.amdhsa_exception_fp_ieee_inexact 0
		.amdhsa_exception_int_div_zero 0
	.end_amdhsa_kernel
	.section	.text._ZL26rocblas_hemvn_kernel_upperILb0ELi64ELi4ELi33ELi32ELi16EldPKPKdPdEviT6_lT7_lT5_lS6_lS7_lS5_lT8_i,"axG",@progbits,_ZL26rocblas_hemvn_kernel_upperILb0ELi64ELi4ELi33ELi32ELi16EldPKPKdPdEviT6_lT7_lT5_lS6_lS7_lS5_lT8_i,comdat
.Lfunc_end164:
	.size	_ZL26rocblas_hemvn_kernel_upperILb0ELi64ELi4ELi33ELi32ELi16EldPKPKdPdEviT6_lT7_lT5_lS6_lS7_lS5_lT8_i, .Lfunc_end164-_ZL26rocblas_hemvn_kernel_upperILb0ELi64ELi4ELi33ELi32ELi16EldPKPKdPdEviT6_lT7_lT5_lS6_lS7_lS5_lT8_i
                                        ; -- End function
	.section	.AMDGPU.csdata,"",@progbits
; Kernel info:
; codeLenInByte = 8680
; NumSgprs: 32
; NumVgprs: 162
; ScratchSize: 0
; MemoryBound: 0
; FloatMode: 240
; IeeeMode: 1
; LDSByteSize: 9600 bytes/workgroup (compile time only)
; SGPRBlocks: 3
; VGPRBlocks: 20
; NumSGPRsForWavesPerEU: 32
; NumVGPRsForWavesPerEU: 162
; Occupancy: 9
; WaveLimiterHint : 1
; COMPUTE_PGM_RSRC2:SCRATCH_EN: 0
; COMPUTE_PGM_RSRC2:USER_SGPR: 14
; COMPUTE_PGM_RSRC2:TRAP_HANDLER: 0
; COMPUTE_PGM_RSRC2:TGID_X_EN: 1
; COMPUTE_PGM_RSRC2:TGID_Y_EN: 0
; COMPUTE_PGM_RSRC2:TGID_Z_EN: 1
; COMPUTE_PGM_RSRC2:TIDIG_COMP_CNT: 1
	.section	.text._ZL36rocblas_hemvn_kernel_upper_block_sumILi64EldPKPddEviT1_lS3_lT2_lT0_lPT3_i,"axG",@progbits,_ZL36rocblas_hemvn_kernel_upper_block_sumILi64EldPKPddEviT1_lS3_lT2_lT0_lPT3_i,comdat
	.globl	_ZL36rocblas_hemvn_kernel_upper_block_sumILi64EldPKPddEviT1_lS3_lT2_lT0_lPT3_i ; -- Begin function _ZL36rocblas_hemvn_kernel_upper_block_sumILi64EldPKPddEviT1_lS3_lT2_lT0_lPT3_i
	.p2align	8
	.type	_ZL36rocblas_hemvn_kernel_upper_block_sumILi64EldPKPddEviT1_lS3_lT2_lT0_lPT3_i,@function
_ZL36rocblas_hemvn_kernel_upper_block_sumILi64EldPKPddEviT1_lS3_lT2_lT0_lPT3_i: ; @_ZL36rocblas_hemvn_kernel_upper_block_sumILi64EldPKPddEviT1_lS3_lT2_lT0_lPT3_i
; %bb.0:
	s_clause 0x1
	s_load_b64 s[10:11], s[0:1], 0x8
	s_load_b64 s[12:13], s[0:1], 0x18
	s_waitcnt lgkmcnt(0)
	v_cmp_eq_f64_e64 s2, s[10:11], 0
	v_cmp_eq_f64_e64 s3, s[12:13], 1.0
	s_delay_alu instid0(VALU_DEP_1) | instskip(NEXT) | instid1(SALU_CYCLE_1)
	s_and_b32 s2, s2, s3
	s_and_b32 vcc_lo, exec_lo, s2
	s_cbranch_vccnz .LBB165_19
; %bb.1:
	s_clause 0x1
	s_load_b64 s[2:3], s[0:1], 0x28
	s_load_b32 s16, s[0:1], 0x0
	s_mov_b32 s8, s15
	v_cmp_neq_f64_e64 s15, s[10:11], 0
	s_mov_b32 s9, 0
	s_load_b128 s[4:7], s[0:1], 0x30
	s_lshl_b64 s[18:19], s[8:9], 3
	v_lshl_or_b32 v0, s14, 6, v0
	s_waitcnt lgkmcnt(0)
	s_add_u32 s2, s2, s18
	s_addc_u32 s3, s3, s19
	s_load_b64 s[18:19], s[2:3], 0x0
	v_cmp_gt_i32_e64 s2, s16, v0
	s_lshl_b64 s[4:5], s[4:5], 3
	s_waitcnt lgkmcnt(0)
	s_add_u32 s3, s18, s4
	s_addc_u32 s4, s19, s5
	s_delay_alu instid0(VALU_DEP_3)
	s_and_b32 vcc_lo, exec_lo, s15
	s_cbranch_vccnz .LBB165_6
; %bb.2:
	s_mov_b32 s5, 0
                                        ; implicit-def: $vgpr3_vgpr4
                                        ; implicit-def: $vgpr1_vgpr2
	s_and_saveexec_b32 s15, s2
	s_cbranch_execz .LBB165_7
; %bb.3:
	v_cmp_eq_f64_e64 s2, s[12:13], 0
	v_ashrrev_i32_e32 v1, 31, v0
	v_mul_lo_u32 v3, v0, s7
	s_delay_alu instid0(VALU_DEP_2) | instskip(SKIP_1) | instid1(VALU_DEP_1)
	v_mul_lo_u32 v4, v1, s6
	v_mad_u64_u32 v[1:2], null, v0, s6, 0
	v_add3_u32 v2, v2, v3, v4
	v_mov_b32_e32 v3, 0
	v_mov_b32_e32 v4, 0
	s_and_b32 vcc_lo, exec_lo, s2
	s_cbranch_vccnz .LBB165_5
; %bb.4:
	s_delay_alu instid0(VALU_DEP_4) | instskip(NEXT) | instid1(VALU_DEP_1)
	v_lshlrev_b64 v[3:4], 3, v[1:2]
	v_add_co_u32 v3, vcc_lo, s3, v3
	s_delay_alu instid0(VALU_DEP_2)
	v_add_co_ci_u32_e32 v4, vcc_lo, s4, v4, vcc_lo
	global_load_b64 v[3:4], v[3:4], off
	s_waitcnt vmcnt(0)
	v_mul_f64 v[3:4], v[3:4], s[12:13]
.LBB165_5:
	s_mov_b32 s9, exec_lo
	s_or_b32 exec_lo, exec_lo, s15
	s_delay_alu instid0(SALU_CYCLE_1)
	s_and_b32 vcc_lo, exec_lo, s5
	s_cbranch_vccnz .LBB165_8
	s_branch .LBB165_17
.LBB165_6:
                                        ; implicit-def: $vgpr3_vgpr4
                                        ; implicit-def: $vgpr1_vgpr2
	s_cbranch_execnz .LBB165_8
	s_branch .LBB165_17
.LBB165_7:
	s_or_b32 exec_lo, exec_lo, s15
	s_delay_alu instid0(SALU_CYCLE_1)
	s_and_b32 vcc_lo, exec_lo, s5
	s_cbranch_vccz .LBB165_17
.LBB165_8:
	s_mov_b32 s2, exec_lo
                                        ; implicit-def: $vgpr3_vgpr4
                                        ; implicit-def: $vgpr1_vgpr2
	v_cmpx_gt_i32_e64 s16, v0
	s_cbranch_execz .LBB165_16
; %bb.9:
	v_mov_b32_e32 v5, 0
	v_mov_b32_e32 v6, 0
	v_ashrrev_i32_e32 v1, 31, v0
	s_cmp_lt_i32 s14, 0
	s_cbranch_scc1 .LBB165_12
; %bb.10:
	s_clause 0x1
	s_load_b32 s5, s[0:1], 0x58
	s_load_b64 s[0:1], s[0:1], 0x48
	s_ashr_i32 s17, s16, 31
	s_mul_hi_u32 s15, s16, s8
	s_mul_i32 s18, s17, s8
	s_mul_i32 s8, s16, s8
	s_add_i32 s15, s15, s18
	v_lshlrev_b64 v[2:3], 3, v[0:1]
	v_mov_b32_e32 v5, 0
	v_mov_b32_e32 v6, 0
	s_waitcnt lgkmcnt(0)
	s_mul_i32 s15, s15, s5
	s_mul_hi_u32 s19, s8, s5
	s_mul_i32 s18, s8, s5
	s_add_i32 s19, s19, s15
	s_delay_alu instid0(SALU_CYCLE_1) | instskip(NEXT) | instid1(SALU_CYCLE_1)
	s_lshl_b64 s[18:19], s[18:19], 3
	s_add_u32 s0, s0, s18
	s_addc_u32 s1, s1, s19
	v_add_co_u32 v2, vcc_lo, s0, v2
	v_add_co_ci_u32_e32 v3, vcc_lo, s1, v3, vcc_lo
	s_add_i32 s5, s14, 1
	s_lshl_b64 s[0:1], s[16:17], 3
.LBB165_11:                             ; =>This Inner Loop Header: Depth=1
	global_load_b64 v[7:8], v[2:3], off
	v_add_co_u32 v2, vcc_lo, v2, s0
	v_add_co_ci_u32_e32 v3, vcc_lo, s1, v3, vcc_lo
	s_add_i32 s5, s5, -1
	s_delay_alu instid0(SALU_CYCLE_1)
	s_cmp_eq_u32 s5, 0
	s_waitcnt vmcnt(0)
	v_add_f64 v[5:6], v[5:6], v[7:8]
	s_cbranch_scc0 .LBB165_11
.LBB165_12:
	v_cmp_eq_f64_e64 s0, s[12:13], 0
	s_delay_alu instid0(VALU_DEP_2) | instskip(SKIP_1) | instid1(VALU_DEP_3)
	v_mul_lo_u32 v7, v1, s6
	v_mul_lo_u32 v8, v0, s7
	s_and_b32 vcc_lo, exec_lo, s0
	s_cbranch_vccz .LBB165_20
; %bb.13:
	v_mad_u64_u32 v[1:2], null, v0, s6, 0
	v_mul_f64 v[3:4], v[5:6], s[10:11]
	s_delay_alu instid0(VALU_DEP_2)
	v_add3_u32 v2, v2, v8, v7
	s_cbranch_execnz .LBB165_15
.LBB165_14:
	v_mad_u64_u32 v[1:2], null, v0, s6, 0
	s_delay_alu instid0(VALU_DEP_1) | instskip(NEXT) | instid1(VALU_DEP_1)
	v_add3_u32 v2, v2, v8, v7
	v_lshlrev_b64 v[3:4], 3, v[1:2]
	s_delay_alu instid0(VALU_DEP_1) | instskip(NEXT) | instid1(VALU_DEP_2)
	v_add_co_u32 v3, vcc_lo, s3, v3
	v_add_co_ci_u32_e32 v4, vcc_lo, s4, v4, vcc_lo
	global_load_b64 v[3:4], v[3:4], off
	s_waitcnt vmcnt(0)
	v_mul_f64 v[3:4], v[3:4], s[12:13]
	s_delay_alu instid0(VALU_DEP_1)
	v_fma_f64 v[3:4], v[5:6], s[10:11], v[3:4]
.LBB165_15:
	s_or_b32 s9, s9, exec_lo
.LBB165_16:
	s_or_b32 exec_lo, exec_lo, s2
.LBB165_17:
	s_and_saveexec_b32 s0, s9
	s_cbranch_execz .LBB165_19
; %bb.18:
	v_lshlrev_b64 v[0:1], 3, v[1:2]
	s_delay_alu instid0(VALU_DEP_1) | instskip(NEXT) | instid1(VALU_DEP_2)
	v_add_co_u32 v0, vcc_lo, s3, v0
	v_add_co_ci_u32_e32 v1, vcc_lo, s4, v1, vcc_lo
	global_store_b64 v[0:1], v[3:4], off
.LBB165_19:
	s_nop 0
	s_sendmsg sendmsg(MSG_DEALLOC_VGPRS)
	s_endpgm
.LBB165_20:
                                        ; implicit-def: $vgpr3_vgpr4
                                        ; implicit-def: $vgpr1_vgpr2
	s_branch .LBB165_14
	.section	.rodata,"a",@progbits
	.p2align	6, 0x0
	.amdhsa_kernel _ZL36rocblas_hemvn_kernel_upper_block_sumILi64EldPKPddEviT1_lS3_lT2_lT0_lPT3_i
		.amdhsa_group_segment_fixed_size 0
		.amdhsa_private_segment_fixed_size 0
		.amdhsa_kernarg_size 344
		.amdhsa_user_sgpr_count 14
		.amdhsa_user_sgpr_dispatch_ptr 0
		.amdhsa_user_sgpr_queue_ptr 0
		.amdhsa_user_sgpr_kernarg_segment_ptr 1
		.amdhsa_user_sgpr_dispatch_id 0
		.amdhsa_user_sgpr_private_segment_size 0
		.amdhsa_wavefront_size32 1
		.amdhsa_uses_dynamic_stack 0
		.amdhsa_enable_private_segment 0
		.amdhsa_system_sgpr_workgroup_id_x 1
		.amdhsa_system_sgpr_workgroup_id_y 0
		.amdhsa_system_sgpr_workgroup_id_z 1
		.amdhsa_system_sgpr_workgroup_info 0
		.amdhsa_system_vgpr_workitem_id 0
		.amdhsa_next_free_vgpr 9
		.amdhsa_next_free_sgpr 20
		.amdhsa_reserve_vcc 1
		.amdhsa_float_round_mode_32 0
		.amdhsa_float_round_mode_16_64 0
		.amdhsa_float_denorm_mode_32 3
		.amdhsa_float_denorm_mode_16_64 3
		.amdhsa_dx10_clamp 1
		.amdhsa_ieee_mode 1
		.amdhsa_fp16_overflow 0
		.amdhsa_workgroup_processor_mode 1
		.amdhsa_memory_ordered 1
		.amdhsa_forward_progress 0
		.amdhsa_shared_vgpr_count 0
		.amdhsa_exception_fp_ieee_invalid_op 0
		.amdhsa_exception_fp_denorm_src 0
		.amdhsa_exception_fp_ieee_div_zero 0
		.amdhsa_exception_fp_ieee_overflow 0
		.amdhsa_exception_fp_ieee_underflow 0
		.amdhsa_exception_fp_ieee_inexact 0
		.amdhsa_exception_int_div_zero 0
	.end_amdhsa_kernel
	.section	.text._ZL36rocblas_hemvn_kernel_upper_block_sumILi64EldPKPddEviT1_lS3_lT2_lT0_lPT3_i,"axG",@progbits,_ZL36rocblas_hemvn_kernel_upper_block_sumILi64EldPKPddEviT1_lS3_lT2_lT0_lPT3_i,comdat
.Lfunc_end165:
	.size	_ZL36rocblas_hemvn_kernel_upper_block_sumILi64EldPKPddEviT1_lS3_lT2_lT0_lPT3_i, .Lfunc_end165-_ZL36rocblas_hemvn_kernel_upper_block_sumILi64EldPKPddEviT1_lS3_lT2_lT0_lPT3_i
                                        ; -- End function
	.section	.AMDGPU.csdata,"",@progbits
; Kernel info:
; codeLenInByte = 744
; NumSgprs: 22
; NumVgprs: 9
; ScratchSize: 0
; MemoryBound: 0
; FloatMode: 240
; IeeeMode: 1
; LDSByteSize: 0 bytes/workgroup (compile time only)
; SGPRBlocks: 2
; VGPRBlocks: 1
; NumSGPRsForWavesPerEU: 22
; NumVGPRsForWavesPerEU: 9
; Occupancy: 16
; WaveLimiterHint : 1
; COMPUTE_PGM_RSRC2:SCRATCH_EN: 0
; COMPUTE_PGM_RSRC2:USER_SGPR: 14
; COMPUTE_PGM_RSRC2:TRAP_HANDLER: 0
; COMPUTE_PGM_RSRC2:TGID_X_EN: 1
; COMPUTE_PGM_RSRC2:TGID_Y_EN: 0
; COMPUTE_PGM_RSRC2:TGID_Z_EN: 1
; COMPUTE_PGM_RSRC2:TIDIG_COMP_CNT: 0
	.section	.text._ZL26rocblas_hemvn_kernel_upperILb0ELi64ELi4ELi33ELi32ELi16EidPKPKdPdEviT6_lT7_lT5_lS6_lS7_lS5_lT8_i,"axG",@progbits,_ZL26rocblas_hemvn_kernel_upperILb0ELi64ELi4ELi33ELi32ELi16EidPKPKdPdEviT6_lT7_lT5_lS6_lS7_lS5_lT8_i,comdat
	.globl	_ZL26rocblas_hemvn_kernel_upperILb0ELi64ELi4ELi33ELi32ELi16EidPKPKdPdEviT6_lT7_lT5_lS6_lS7_lS5_lT8_i ; -- Begin function _ZL26rocblas_hemvn_kernel_upperILb0ELi64ELi4ELi33ELi32ELi16EidPKPKdPdEviT6_lT7_lT5_lS6_lS7_lS5_lT8_i
	.p2align	8
	.type	_ZL26rocblas_hemvn_kernel_upperILb0ELi64ELi4ELi33ELi32ELi16EidPKPKdPdEviT6_lT7_lT5_lS6_lS7_lS5_lT8_i,@function
_ZL26rocblas_hemvn_kernel_upperILb0ELi64ELi4ELi33ELi32ELi16EidPKPKdPdEviT6_lT7_lT5_lS6_lS7_lS5_lT8_i: ; @_ZL26rocblas_hemvn_kernel_upperILb0ELi64ELi4ELi33ELi32ELi16EidPKPKdPdEviT6_lT7_lT5_lS6_lS7_lS5_lT8_i
; %bb.0:
	s_load_b64 s[4:5], s[0:1], 0x84
	s_add_u32 s2, s0, 0x78
	s_addc_u32 s3, s1, 0
	s_waitcnt lgkmcnt(0)
	s_lshr_b32 s6, s4, 16
	s_and_b32 s4, s4, 0xffff
	s_and_b32 s5, s5, 0xffff
	s_mul_i32 s4, s6, s4
	s_delay_alu instid0(SALU_CYCLE_1) | instskip(NEXT) | instid1(SALU_CYCLE_1)
	s_mul_i32 s4, s4, s5
	s_cmpk_lg_i32 s4, 0x100
	s_cbranch_scc1 .LBB166_6
; %bb.1:
	s_clause 0x1
	s_load_b64 s[6:7], s[0:1], 0x8
	s_load_b64 s[4:5], s[0:1], 0x58
	s_waitcnt lgkmcnt(0)
	v_cmp_eq_f64_e64 s8, s[6:7], 0
	v_cmp_eq_f64_e64 s4, s[4:5], 1.0
	s_delay_alu instid0(VALU_DEP_1) | instskip(NEXT) | instid1(SALU_CYCLE_1)
	s_and_b32 s4, s8, s4
	s_and_b32 vcc_lo, exec_lo, s4
	s_mov_b64 s[4:5], 0
	s_cbranch_vccnz .LBB166_6
; %bb.2:
	v_cmp_neq_f64_e64 s6, s[6:7], 0
	s_mov_b32 s18, s15
	s_and_b32 vcc_lo, exec_lo, s8
	s_cbranch_vccnz .LBB166_4
; %bb.3:
	s_load_b128 s[8:11], s[0:1], 0x18
	s_mov_b32 s19, 0
	s_delay_alu instid0(SALU_CYCLE_1)
	s_lshl_b64 s[4:5], s[18:19], 3
	s_waitcnt lgkmcnt(0)
	s_add_u32 s4, s8, s4
	s_addc_u32 s5, s9, s5
	s_lshl_b64 s[8:9], s[10:11], 3
	s_load_b64 s[4:5], s[4:5], 0x0
	s_waitcnt lgkmcnt(0)
	s_add_u32 s4, s4, s8
	s_addc_u32 s5, s5, s9
.LBB166_4:
	s_delay_alu instid0(VALU_DEP_1)
	v_cndmask_b32_e64 v1, 0, 1, s6
	s_and_not1_b32 vcc_lo, exec_lo, s6
	s_cbranch_vccnz .LBB166_7
; %bb.5:
	s_load_b128 s[8:11], s[0:1], 0x38
	s_mov_b32 s19, 0
	s_delay_alu instid0(SALU_CYCLE_1)
	s_lshl_b64 s[6:7], s[18:19], 3
	s_waitcnt lgkmcnt(0)
	s_add_u32 s6, s8, s6
	s_addc_u32 s7, s9, s7
	s_lshl_b64 s[8:9], s[10:11], 3
	s_load_b64 s[6:7], s[6:7], 0x0
	s_waitcnt lgkmcnt(0)
	s_add_u32 s6, s6, s8
	s_addc_u32 s7, s7, s9
	v_cmp_ne_u32_e32 vcc_lo, 1, v1
	s_cbranch_vccz .LBB166_8
.LBB166_6:
	s_endpgm
.LBB166_7:
	s_mov_b64 s[6:7], 0
	s_delay_alu instid0(VALU_DEP_1)
	v_cmp_ne_u32_e32 vcc_lo, 1, v1
	s_cbranch_vccnz .LBB166_6
.LBB166_8:
	s_clause 0x1
	s_load_b32 s19, s[0:1], 0x48
	s_load_b32 s9, s[0:1], 0x0
	v_and_b32_e32 v25, 0x3ff, v0
	s_lshl_b32 s16, s14, 6
	s_load_b32 s15, s[2:3], 0x0
	v_bfe_u32 v94, v0, 10, 10
	s_delay_alu instid0(VALU_DEP_2) | instskip(SKIP_1) | instid1(VALU_DEP_1)
	v_add_nc_u32_e32 v24, s16, v25
	s_waitcnt lgkmcnt(0)
	v_mul_lo_u32 v1, v24, s19
	s_ashr_i32 s26, s9, 31
	s_delay_alu instid0(SALU_CYCLE_1) | instskip(SKIP_2) | instid1(SALU_CYCLE_1)
	s_lshr_b32 s2, s26, 26
	s_add_i32 s3, s15, -1
	s_add_i32 s2, s9, s2
	s_and_not1_b32 s2, s2, 63
	s_delay_alu instid0(VALU_DEP_1)
	v_ashrrev_i32_e32 v2, 31, v1
	s_sub_i32 s28, s9, s2
	v_cmp_eq_u32_e64 s2, 0, v94
	s_cmp_eq_u32 s14, s3
	s_cselect_b32 s10, s28, 0
	v_lshlrev_b64 v[1:2], 3, v[1:2]
	s_delay_alu instid0(VALU_DEP_1) | instskip(NEXT) | instid1(VALU_DEP_2)
	v_add_co_u32 v14, vcc_lo, s6, v1
	v_add_co_ci_u32_e32 v15, vcc_lo, s7, v2, vcc_lo
	s_and_saveexec_b32 s3, s2
	s_cbranch_execz .LBB166_12
; %bb.9:
	v_cmp_gt_i32_e32 vcc_lo, s10, v25
	s_cmp_eq_u32 s10, 0
	v_mov_b32_e32 v0, 0
	v_mov_b32_e32 v1, 0
	s_cselect_b32 s6, -1, 0
	s_delay_alu instid0(SALU_CYCLE_1) | instskip(NEXT) | instid1(SALU_CYCLE_1)
	s_or_b32 s7, s6, vcc_lo
	s_and_saveexec_b32 s6, s7
	s_cbranch_execz .LBB166_11
; %bb.10:
	flat_load_b64 v[0:1], v[14:15]
.LBB166_11:
	s_or_b32 exec_lo, exec_lo, s6
	v_lshlrev_b32_e32 v2, 3, v25
	s_waitcnt vmcnt(0) lgkmcnt(0)
	ds_store_b64 v2, v[0:1] offset:9088
.LBB166_12:
	s_or_b32 exec_lo, exec_lo, s3
	s_load_b32 s12, s[0:1], 0x28
	v_lshl_add_u32 v22, v94, 6, v25
	v_and_b32_e32 v0, 31, v25
	s_ashr_i32 s17, s16, 31
	s_delay_alu instid0(SALU_CYCLE_1) | instskip(NEXT) | instid1(VALU_DEP_2)
	s_lshl_b64 s[6:7], s[16:17], 3
	v_lshrrev_b32_e32 v11, 5, v22
	s_add_u32 s3, s4, s6
	s_addc_u32 s6, s5, s7
	v_lshlrev_b32_e32 v18, 3, v0
	s_waitcnt lgkmcnt(0)
	v_mad_u64_u32 v[1:2], null, v11, s12, v[0:1]
	s_mul_i32 s4, s16, s12
	s_delay_alu instid0(SALU_CYCLE_1) | instskip(NEXT) | instid1(SALU_CYCLE_1)
	s_ashr_i32 s5, s4, 31
	s_lshl_b64 s[4:5], s[4:5], 3
	s_delay_alu instid0(SALU_CYCLE_1) | instskip(NEXT) | instid1(VALU_DEP_1)
	s_add_u32 s4, s4, s3
	v_ashrrev_i32_e32 v2, 31, v1
	s_addc_u32 s5, s5, s6
	s_cmp_eq_u32 s10, 0
	v_cmp_gt_i32_e64 s3, s10, v0
	s_cselect_b32 s29, -1, 0
	v_lshlrev_b64 v[12:13], 3, v[1:2]
	s_cmp_lg_u32 s10, 0
	s_cselect_b32 s17, -1, 0
	s_delay_alu instid0(SALU_CYCLE_1) | instskip(NEXT) | instid1(VALU_DEP_1)
	s_and_b32 vcc_lo, exec_lo, s17
	v_add_co_u32 v3, s4, s4, v12
	s_delay_alu instid0(VALU_DEP_1)
	v_add_co_ci_u32_e64 v4, s4, s5, v13, s4
	s_cbranch_vccz .LBB166_22
; %bb.13:
	s_delay_alu instid0(VALU_DEP_2) | instskip(SKIP_1) | instid1(VALU_DEP_2)
	v_sub_co_u32 v1, vcc_lo, v3, v18
	s_ashr_i32 s11, s10, 31
	v_subrev_co_ci_u32_e32 v2, vcc_lo, 0, v4, vcc_lo
	s_lshl_b64 s[4:5], s[10:11], 3
	v_mov_b32_e32 v7, 0
	v_add_co_u32 v1, vcc_lo, v1, s4
	s_delay_alu instid0(VALU_DEP_3) | instskip(SKIP_1) | instid1(VALU_DEP_3)
	v_add_co_ci_u32_e32 v2, vcc_lo, s5, v2, vcc_lo
	v_mov_b32_e32 v8, 0
	v_add_co_u32 v1, vcc_lo, v1, -8
	s_delay_alu instid0(VALU_DEP_3) | instskip(NEXT) | instid1(VALU_DEP_3)
	v_add_co_ci_u32_e32 v2, vcc_lo, -1, v2, vcc_lo
	v_dual_mov_b32 v5, v7 :: v_dual_mov_b32 v6, v8
	s_delay_alu instid0(VALU_DEP_3) | instskip(NEXT) | instid1(VALU_DEP_3)
	v_cndmask_b32_e64 v1, v1, v3, s3
	v_cndmask_b32_e64 v2, v2, v4, s3
	s_mov_b32 s6, exec_lo
	v_cmpx_gt_i32_e64 s10, v11
	s_cbranch_execz .LBB166_15
; %bb.14:
	flat_load_b64 v[5:6], v[1:2]
.LBB166_15:
	s_or_b32 exec_lo, exec_lo, s6
	v_mul_u32_u24_e32 v9, 33, v11
	v_add_nc_u32_e32 v10, 8, v11
	s_mov_b32 s6, exec_lo
	s_delay_alu instid0(VALU_DEP_2)
	v_add_lshl_u32 v16, v9, v0, 3
	s_waitcnt vmcnt(0) lgkmcnt(0)
	ds_store_b64 v16, v[5:6]
	v_cmpx_gt_i32_e64 s10, v10
	s_cbranch_execz .LBB166_17
; %bb.16:
	s_lshl_b32 s20, s12, 3
	s_delay_alu instid0(SALU_CYCLE_1) | instskip(NEXT) | instid1(SALU_CYCLE_1)
	s_ashr_i32 s21, s20, 31
	s_lshl_b64 s[20:21], s[20:21], 3
	s_delay_alu instid0(SALU_CYCLE_1)
	v_add_co_u32 v5, vcc_lo, v1, s20
	v_add_co_ci_u32_e32 v6, vcc_lo, s21, v2, vcc_lo
	flat_load_b64 v[7:8], v[5:6]
.LBB166_17:
	s_or_b32 exec_lo, exec_lo, s6
	v_mov_b32_e32 v5, 0
	v_dual_mov_b32 v6, 0 :: v_dual_add_nc_u32 v9, 16, v11
	s_waitcnt vmcnt(0) lgkmcnt(0)
	ds_store_b64 v16, v[7:8] offset:2112
	v_cmp_gt_i32_e32 vcc_lo, s10, v9
	v_dual_mov_b32 v10, v6 :: v_dual_mov_b32 v9, v5
	s_and_saveexec_b32 s6, vcc_lo
	s_cbranch_execz .LBB166_19
; %bb.18:
	s_lshl_b32 s20, s12, 4
	s_delay_alu instid0(SALU_CYCLE_1) | instskip(NEXT) | instid1(SALU_CYCLE_1)
	s_ashr_i32 s21, s20, 31
	s_lshl_b64 s[20:21], s[20:21], 3
	s_delay_alu instid0(SALU_CYCLE_1)
	v_add_co_u32 v7, vcc_lo, v1, s20
	v_add_co_ci_u32_e32 v8, vcc_lo, s21, v2, vcc_lo
	flat_load_b64 v[9:10], v[7:8]
.LBB166_19:
	s_or_b32 exec_lo, exec_lo, s6
	v_add_nc_u32_e32 v7, 24, v11
	s_mov_b32 s6, exec_lo
	s_waitcnt vmcnt(0) lgkmcnt(0)
	ds_store_b64 v16, v[9:10] offset:4224
	v_cmpx_gt_i32_e64 s10, v7
	s_cbranch_execz .LBB166_21
; %bb.20:
	s_mul_i32 s20, s12, 24
	s_delay_alu instid0(SALU_CYCLE_1) | instskip(NEXT) | instid1(SALU_CYCLE_1)
	s_ashr_i32 s21, s20, 31
	s_lshl_b64 s[20:21], s[20:21], 3
	s_delay_alu instid0(SALU_CYCLE_1)
	v_add_co_u32 v5, vcc_lo, v1, s20
	v_add_co_ci_u32_e32 v6, vcc_lo, s21, v2, vcc_lo
	flat_load_b64 v[5:6], v[5:6]
.LBB166_21:
	s_or_b32 exec_lo, exec_lo, s6
	v_add_co_u32 v1, vcc_lo, v1, v18
	v_add_co_ci_u32_e32 v2, vcc_lo, 0, v2, vcc_lo
	s_waitcnt vmcnt(0) lgkmcnt(0)
	ds_store_b64 v16, v[5:6] offset:6336
	v_sub_co_u32 v1, vcc_lo, v1, s4
	v_subrev_co_ci_u32_e32 v2, vcc_lo, s5, v2, vcc_lo
	s_delay_alu instid0(VALU_DEP_2) | instskip(NEXT) | instid1(VALU_DEP_2)
	v_add_co_u32 v1, vcc_lo, v1, 8
	v_add_co_ci_u32_e32 v2, vcc_lo, 0, v2, vcc_lo
	s_delay_alu instid0(VALU_DEP_2) | instskip(NEXT) | instid1(VALU_DEP_2)
	v_cndmask_b32_e64 v1, v1, v3, s3
	v_cndmask_b32_e64 v2, v2, v4, s3
	v_mul_u32_u24_e32 v20, 33, v11
	s_branch .LBB166_24
.LBB166_22:
                                        ; implicit-def: $vgpr1_vgpr2
	v_mul_u32_u24_e32 v20, 33, v11
	s_cbranch_execz .LBB166_24
; %bb.23:
	flat_load_b64 v[1:2], v[3:4]
	s_lshl_b32 s4, s12, 3
	v_add_lshl_u32 v7, v20, v0, 3
	s_ashr_i32 s5, s4, 31
	s_ashr_i32 s13, s12, 31
	s_lshl_b64 s[4:5], s[4:5], 3
	s_delay_alu instid0(SALU_CYCLE_1)
	v_add_co_u32 v5, vcc_lo, v3, s4
	v_add_co_ci_u32_e32 v6, vcc_lo, s5, v4, vcc_lo
	s_lshl_b64 s[4:5], s[12:13], 6
	s_waitcnt vmcnt(0) lgkmcnt(0)
	ds_store_b64 v7, v[1:2]
	flat_load_b64 v[1:2], v[5:6]
	v_add_co_u32 v5, vcc_lo, v5, s4
	v_add_co_ci_u32_e32 v6, vcc_lo, s5, v6, vcc_lo
	s_waitcnt vmcnt(0) lgkmcnt(0)
	ds_store_b64 v7, v[1:2] offset:2112
	flat_load_b64 v[1:2], v[5:6]
	v_add_co_u32 v5, vcc_lo, v5, s4
	v_add_co_ci_u32_e32 v6, vcc_lo, s5, v6, vcc_lo
	s_waitcnt vmcnt(0) lgkmcnt(0)
	ds_store_b64 v7, v[1:2] offset:4224
	flat_load_b64 v[5:6], v[5:6]
	v_dual_mov_b32 v1, v3 :: v_dual_mov_b32 v2, v4
	s_waitcnt vmcnt(0) lgkmcnt(0)
	ds_store_b64 v7, v[5:6] offset:6336
.LBB166_24:
	v_lshlrev_b32_e32 v3, 2, v11
	v_mul_u32_u24_e32 v19, 33, v0
	v_mul_u32_u24_e32 v4, 0x84, v11
	s_waitcnt lgkmcnt(0)
	s_barrier
	v_cmp_gt_u32_e64 s4, v3, v0
	v_add_lshl_u32 v31, v3, v19, 3
	buffer_gl0_inv
	s_and_saveexec_b32 s3, s4
	s_cbranch_execz .LBB166_26
; %bb.25:
	v_add_lshl_u32 v5, v4, v0, 3
	ds_load_b64 v[5:6], v5
	s_waitcnt lgkmcnt(0)
	ds_store_b64 v31, v[5:6]
.LBB166_26:
	s_or_b32 exec_lo, exec_lo, s3
	v_cmp_ge_u32_e64 s5, v3, v0
	s_delay_alu instid0(VALU_DEP_1)
	s_and_saveexec_b32 s3, s5
	s_cbranch_execz .LBB166_28
; %bb.27:
	v_or_b32_e32 v5, 1, v3
	s_delay_alu instid0(VALU_DEP_1) | instskip(NEXT) | instid1(VALU_DEP_1)
	v_mul_u32_u24_e32 v5, 33, v5
	v_add_lshl_u32 v5, v5, v0, 3
	ds_load_b64 v[5:6], v5
	s_waitcnt lgkmcnt(0)
	ds_store_b64 v31, v[5:6] offset:8
.LBB166_28:
	s_or_b32 exec_lo, exec_lo, s3
	v_or_b32_e32 v5, 2, v3
	s_delay_alu instid0(VALU_DEP_1) | instskip(NEXT) | instid1(VALU_DEP_1)
	v_cmp_gt_u32_e64 s6, v5, v0
	s_and_saveexec_b32 s3, s6
	s_cbranch_execz .LBB166_30
; %bb.29:
	v_mul_u32_u24_e32 v5, 33, v5
	s_delay_alu instid0(VALU_DEP_1)
	v_add_lshl_u32 v5, v5, v0, 3
	ds_load_b64 v[5:6], v5
	s_waitcnt lgkmcnt(0)
	ds_store_b64 v31, v[5:6] offset:16
.LBB166_30:
	s_or_b32 exec_lo, exec_lo, s3
	v_or_b32_e32 v5, 3, v3
	s_delay_alu instid0(VALU_DEP_1) | instskip(SKIP_1) | instid1(VALU_DEP_2)
	v_mad_u32_u24 v6, v5, 33, v0
	v_cmp_gt_u32_e64 s7, v5, v0
	v_lshlrev_b32_e32 v21, 3, v6
	s_delay_alu instid0(VALU_DEP_2)
	s_and_saveexec_b32 s3, s7
	s_cbranch_execz .LBB166_32
; %bb.31:
	ds_load_b64 v[5:6], v21
	s_waitcnt lgkmcnt(0)
	ds_store_b64 v31, v[5:6] offset:24
.LBB166_32:
	s_or_b32 exec_lo, exec_lo, s3
	v_add_lshl_u32 v29, v4, v0, 3
	v_lshlrev_b32_e32 v32, 3, v3
	v_dual_mov_b32 v26, 0 :: v_dual_lshlrev_b32 v23, 3, v19
	s_waitcnt lgkmcnt(0)
	s_barrier
	buffer_gl0_inv
	v_mov_b32_e32 v27, 0
	ds_load_b64 v[7:8], v29
	ds_load_b128 v[3:6], v32 offset:9088
	v_add_nc_u32_e32 v30, 0xfffffdf0, v21
	v_add_lshl_u32 v28, v11, v19, 3
	v_cmp_gt_u32_e64 s3, 32, v22
	s_waitcnt lgkmcnt(0)
	v_fma_f64 v[3:4], v[7:8], v[3:4], 0
	ds_load_2addr_b64 v[7:10], v30 offset1:33
	s_waitcnt lgkmcnt(0)
	v_fma_f64 v[7:8], v[7:8], v[5:6], v[3:4]
	ds_load_b128 v[3:6], v32 offset:9104
	ds_load_b64 v[16:17], v21
	s_waitcnt lgkmcnt(0)
	s_barrier
	buffer_gl0_inv
	v_fma_f64 v[3:4], v[9:10], v[3:4], v[7:8]
	s_delay_alu instid0(VALU_DEP_1)
	v_fma_f64 v[3:4], v[16:17], v[5:6], v[3:4]
	ds_store_b64 v28, v[3:4]
	s_waitcnt lgkmcnt(0)
	s_barrier
	buffer_gl0_inv
	s_and_saveexec_b32 s8, s3
	s_cbranch_execz .LBB166_34
; %bb.33:
	ds_load_2addr_b64 v[3:6], v23 offset1:1
	ds_load_2addr_b64 v[7:10], v23 offset0:2 offset1:3
	s_waitcnt lgkmcnt(1)
	v_add_f64 v[3:4], v[3:4], v[5:6]
	s_waitcnt lgkmcnt(0)
	s_delay_alu instid0(VALU_DEP_1) | instskip(NEXT) | instid1(VALU_DEP_1)
	v_add_f64 v[3:4], v[3:4], v[7:8]
	v_add_f64 v[16:17], v[3:4], v[9:10]
	ds_load_2addr_b64 v[3:6], v23 offset0:4 offset1:5
	ds_load_2addr_b64 v[7:10], v23 offset0:6 offset1:7
	s_waitcnt lgkmcnt(1)
	v_add_f64 v[3:4], v[16:17], v[3:4]
	s_delay_alu instid0(VALU_DEP_1) | instskip(SKIP_1) | instid1(VALU_DEP_1)
	v_add_f64 v[3:4], v[3:4], v[5:6]
	s_waitcnt lgkmcnt(0)
	v_add_f64 v[3:4], v[3:4], v[7:8]
	s_delay_alu instid0(VALU_DEP_1)
	v_add_f64 v[26:27], v[3:4], v[9:10]
.LBB166_34:
	s_or_b32 exec_lo, exec_lo, s8
	s_lshl_b32 s22, s12, 5
	s_delay_alu instid0(SALU_CYCLE_1)
	s_ashr_i32 s23, s22, 31
	s_barrier
	s_lshl_b64 s[20:21], s[22:23], 3
	buffer_gl0_inv
	v_add_co_u32 v3, vcc_lo, v1, s20
	v_add_co_ci_u32_e32 v4, vcc_lo, s21, v2, vcc_lo
	s_delay_alu instid0(VALU_DEP_2) | instskip(NEXT) | instid1(VALU_DEP_2)
	v_add_co_u32 v1, vcc_lo, 0x100, v3
	v_add_co_ci_u32_e32 v2, vcc_lo, 0, v4, vcc_lo
	s_and_b32 vcc_lo, exec_lo, s17
	s_cbranch_vccz .LBB166_44
; %bb.35:
	v_or_b32_e32 v5, 32, v0
	s_ashr_i32 s11, s10, 31
	s_mov_b32 s13, exec_lo
	s_lshl_b64 s[24:25], s[10:11], 3
	s_sub_i32 s11, s10, 32
	v_dual_mov_b32 v9, 0 :: v_dual_lshlrev_b32 v6, 3, v5
	s_delay_alu instid0(VALU_DEP_1) | instskip(SKIP_1) | instid1(VALU_DEP_2)
	v_sub_co_u32 v6, vcc_lo, v1, v6
	v_subrev_co_ci_u32_e32 v7, vcc_lo, 0, v2, vcc_lo
	v_add_co_u32 v6, vcc_lo, v6, s24
	s_delay_alu instid0(VALU_DEP_2) | instskip(NEXT) | instid1(VALU_DEP_2)
	v_add_co_ci_u32_e32 v7, vcc_lo, s25, v7, vcc_lo
	v_add_co_u32 v8, vcc_lo, v6, -8
	s_delay_alu instid0(VALU_DEP_2) | instskip(SKIP_1) | instid1(VALU_DEP_3)
	v_add_co_ci_u32_e32 v6, vcc_lo, -1, v7, vcc_lo
	v_cmp_gt_i32_e32 vcc_lo, s10, v5
	v_dual_mov_b32 v10, 0 :: v_dual_cndmask_b32 v5, v8, v1
	s_delay_alu instid0(VALU_DEP_3) | instskip(NEXT) | instid1(VALU_DEP_2)
	v_dual_cndmask_b32 v6, v6, v2 :: v_dual_mov_b32 v7, v9
	v_mov_b32_e32 v8, v10
	v_cmpx_gt_i32_e64 s11, v11
	s_cbranch_execz .LBB166_37
; %bb.36:
	flat_load_b64 v[7:8], v[5:6]
.LBB166_37:
	s_or_b32 exec_lo, exec_lo, s13
	v_add_nc_u32_e32 v16, 8, v11
	v_add_lshl_u32 v33, v20, v0, 3
	s_mov_b32 s13, exec_lo
	s_waitcnt vmcnt(0) lgkmcnt(0)
	ds_store_b64 v33, v[7:8]
	v_cmpx_gt_i32_e64 s11, v16
	s_cbranch_execz .LBB166_39
; %bb.38:
	s_lshl_b32 s30, s12, 3
	s_delay_alu instid0(SALU_CYCLE_1) | instskip(NEXT) | instid1(SALU_CYCLE_1)
	s_ashr_i32 s31, s30, 31
	s_lshl_b64 s[30:31], s[30:31], 3
	s_delay_alu instid0(SALU_CYCLE_1) | instskip(NEXT) | instid1(VALU_DEP_1)
	v_add_co_u32 v7, s8, v5, s30
	v_add_co_ci_u32_e64 v8, s8, s31, v6, s8
	flat_load_b64 v[9:10], v[7:8]
.LBB166_39:
	s_or_b32 exec_lo, exec_lo, s13
	v_dual_mov_b32 v7, 0 :: v_dual_add_nc_u32 v16, 16, v11
	v_mov_b32_e32 v8, 0
	s_waitcnt vmcnt(0) lgkmcnt(0)
	ds_store_b64 v33, v[9:10] offset:2112
	v_cmp_gt_i32_e64 s8, s11, v16
	v_dual_mov_b32 v17, v8 :: v_dual_mov_b32 v16, v7
	s_delay_alu instid0(VALU_DEP_2)
	s_and_saveexec_b32 s13, s8
	s_cbranch_execz .LBB166_41
; %bb.40:
	s_lshl_b32 s30, s12, 4
	s_delay_alu instid0(SALU_CYCLE_1) | instskip(NEXT) | instid1(SALU_CYCLE_1)
	s_ashr_i32 s31, s30, 31
	s_lshl_b64 s[30:31], s[30:31], 3
	s_delay_alu instid0(SALU_CYCLE_1) | instskip(NEXT) | instid1(VALU_DEP_1)
	v_add_co_u32 v9, s8, v5, s30
	v_add_co_ci_u32_e64 v10, s8, s31, v6, s8
	flat_load_b64 v[16:17], v[9:10]
.LBB166_41:
	s_or_b32 exec_lo, exec_lo, s13
	v_add_nc_u32_e32 v9, 24, v11
	s_waitcnt vmcnt(0) lgkmcnt(0)
	ds_store_b64 v33, v[16:17] offset:4224
	v_cmp_gt_i32_e64 s8, s11, v9
	s_delay_alu instid0(VALU_DEP_1)
	s_and_saveexec_b32 s11, s8
	s_cbranch_execz .LBB166_43
; %bb.42:
	s_mul_i32 s30, s12, 24
	s_delay_alu instid0(SALU_CYCLE_1) | instskip(NEXT) | instid1(SALU_CYCLE_1)
	s_ashr_i32 s31, s30, 31
	s_lshl_b64 s[30:31], s[30:31], 3
	s_delay_alu instid0(SALU_CYCLE_1) | instskip(NEXT) | instid1(VALU_DEP_1)
	v_add_co_u32 v7, s8, v5, s30
	v_add_co_ci_u32_e64 v8, s8, s31, v6, s8
	flat_load_b64 v[7:8], v[7:8]
.LBB166_43:
	s_or_b32 exec_lo, exec_lo, s11
	v_add_co_u32 v5, s8, v5, v18
	s_delay_alu instid0(VALU_DEP_1) | instskip(SKIP_3) | instid1(VALU_DEP_1)
	v_add_co_ci_u32_e64 v6, s8, 0, v6, s8
	s_waitcnt vmcnt(0) lgkmcnt(0)
	ds_store_b64 v33, v[7:8] offset:6336
	v_sub_co_u32 v5, s8, v5, s24
	v_subrev_co_ci_u32_e64 v6, s8, s25, v6, s8
	s_delay_alu instid0(VALU_DEP_2) | instskip(NEXT) | instid1(VALU_DEP_1)
	v_add_co_u32 v5, s8, 0x108, v5
	v_add_co_ci_u32_e64 v6, s8, 0, v6, s8
	s_delay_alu instid0(VALU_DEP_1)
	v_dual_cndmask_b32 v5, v5, v1 :: v_dual_cndmask_b32 v6, v6, v2
	s_branch .LBB166_46
.LBB166_44:
                                        ; implicit-def: $vgpr5_vgpr6
	s_cbranch_execz .LBB166_46
; %bb.45:
	flat_load_b64 v[5:6], v[3:4] offset:256
	s_lshl_b32 s24, s12, 3
	v_add_lshl_u32 v7, v20, v0, 3
	s_ashr_i32 s25, s24, 31
	s_ashr_i32 s13, s12, 31
	s_lshl_b64 s[24:25], s[24:25], 3
	s_delay_alu instid0(SALU_CYCLE_1)
	v_add_co_u32 v3, vcc_lo, v3, s24
	v_add_co_ci_u32_e32 v4, vcc_lo, s25, v4, vcc_lo
	s_lshl_b64 s[24:25], s[12:13], 6
	s_waitcnt vmcnt(0) lgkmcnt(0)
	ds_store_b64 v7, v[5:6]
	flat_load_b64 v[5:6], v[3:4] offset:256
	v_add_co_u32 v3, vcc_lo, v3, s24
	v_add_co_ci_u32_e32 v4, vcc_lo, s25, v4, vcc_lo
	s_waitcnt vmcnt(0) lgkmcnt(0)
	ds_store_b64 v7, v[5:6] offset:2112
	flat_load_b64 v[5:6], v[3:4] offset:256
	v_add_co_u32 v3, vcc_lo, v3, s24
	v_add_co_ci_u32_e32 v4, vcc_lo, s25, v4, vcc_lo
	s_waitcnt vmcnt(0) lgkmcnt(0)
	ds_store_b64 v7, v[5:6] offset:4224
	flat_load_b64 v[3:4], v[3:4] offset:256
	v_dual_mov_b32 v6, v2 :: v_dual_mov_b32 v5, v1
	s_waitcnt vmcnt(0) lgkmcnt(0)
	ds_store_b64 v7, v[3:4] offset:6336
.LBB166_46:
	s_waitcnt lgkmcnt(0)
	s_barrier
	buffer_gl0_inv
	s_and_saveexec_b32 s8, s4
	s_cbranch_execnz .LBB166_63
; %bb.47:
	s_or_b32 exec_lo, exec_lo, s8
	s_and_saveexec_b32 s4, s5
	s_cbranch_execnz .LBB166_64
.LBB166_48:
	s_or_b32 exec_lo, exec_lo, s4
	s_and_saveexec_b32 s4, s6
	s_cbranch_execnz .LBB166_65
.LBB166_49:
	s_or_b32 exec_lo, exec_lo, s4
	v_add_nc_u32_e32 v32, 0x2380, v32
	s_and_saveexec_b32 s4, s7
	s_cbranch_execz .LBB166_51
.LBB166_50:
	ds_load_b64 v[1:2], v21
	s_waitcnt lgkmcnt(0)
	ds_store_b64 v31, v[1:2] offset:24
.LBB166_51:
	s_or_b32 exec_lo, exec_lo, s4
	s_waitcnt lgkmcnt(0)
	s_barrier
	buffer_gl0_inv
	ds_load_b64 v[7:8], v29
	ds_load_b128 v[1:4], v32 offset:256
	v_cmp_eq_u32_e64 s4, 1, v11
	s_waitcnt lgkmcnt(0)
	v_fma_f64 v[1:2], v[7:8], v[1:2], 0
	ds_load_2addr_b64 v[7:10], v30 offset1:33
	s_waitcnt lgkmcnt(0)
	v_fma_f64 v[7:8], v[7:8], v[3:4], v[1:2]
	ds_load_b128 v[1:4], v32 offset:272
	ds_load_b64 v[16:17], v21
	s_waitcnt lgkmcnt(0)
	s_barrier
	buffer_gl0_inv
	v_fma_f64 v[1:2], v[9:10], v[1:2], v[7:8]
	s_delay_alu instid0(VALU_DEP_1)
	v_fma_f64 v[1:2], v[16:17], v[3:4], v[1:2]
	ds_store_b64 v28, v[1:2]
	s_waitcnt lgkmcnt(0)
	s_barrier
	buffer_gl0_inv
	s_and_saveexec_b32 s5, s4
	s_cbranch_execz .LBB166_53
; %bb.52:
	ds_load_2addr_b64 v[1:4], v23 offset1:1
	ds_load_2addr_b64 v[7:10], v23 offset0:2 offset1:3
	s_waitcnt lgkmcnt(1)
	v_add_f64 v[1:2], v[1:2], v[3:4]
	s_waitcnt lgkmcnt(0)
	s_delay_alu instid0(VALU_DEP_1) | instskip(NEXT) | instid1(VALU_DEP_1)
	v_add_f64 v[1:2], v[1:2], v[7:8]
	v_add_f64 v[16:17], v[1:2], v[9:10]
	ds_load_2addr_b64 v[1:4], v23 offset0:4 offset1:5
	ds_load_2addr_b64 v[7:10], v23 offset0:6 offset1:7
	s_waitcnt lgkmcnt(1)
	v_add_f64 v[1:2], v[16:17], v[1:2]
	s_delay_alu instid0(VALU_DEP_1) | instskip(SKIP_1) | instid1(VALU_DEP_1)
	v_add_f64 v[1:2], v[1:2], v[3:4]
	s_waitcnt lgkmcnt(0)
	v_add_f64 v[1:2], v[1:2], v[7:8]
	s_delay_alu instid0(VALU_DEP_1)
	v_add_f64 v[26:27], v[1:2], v[9:10]
.LBB166_53:
	s_or_b32 exec_lo, exec_lo, s5
	v_add_co_u32 v1, vcc_lo, 0xffffff00, v5
	v_add_co_ci_u32_e32 v2, vcc_lo, -1, v6, vcc_lo
	s_and_b32 vcc_lo, exec_lo, s17
	s_barrier
	buffer_gl0_inv
	s_cbranch_vccz .LBB166_66
; %bb.54:
	v_sub_co_u32 v3, vcc_lo, v1, v18
	s_ashr_i32 s11, s10, 31
	v_subrev_co_ci_u32_e32 v4, vcc_lo, 0, v2, vcc_lo
	s_lshl_b64 s[6:7], s[10:11], 3
	s_sub_i32 s8, s10, 32
	v_add_co_u32 v3, vcc_lo, v3, s6
	s_delay_alu instid0(VALU_DEP_2) | instskip(SKIP_1) | instid1(VALU_DEP_2)
	v_add_co_ci_u32_e32 v4, vcc_lo, s7, v4, vcc_lo
	s_mov_b32 s11, exec_lo
	v_add_co_u32 v3, vcc_lo, v3, -8
	s_delay_alu instid0(VALU_DEP_2) | instskip(SKIP_2) | instid1(VALU_DEP_4)
	v_add_co_ci_u32_e32 v4, vcc_lo, -1, v4, vcc_lo
	v_cmp_gt_i32_e32 vcc_lo, s10, v0
	v_mov_b32_e32 v7, 0
	v_dual_mov_b32 v8, 0 :: v_dual_cndmask_b32 v3, v3, v1
	s_delay_alu instid0(VALU_DEP_2) | instskip(NEXT) | instid1(VALU_DEP_2)
	v_dual_cndmask_b32 v4, v4, v2 :: v_dual_mov_b32 v5, v7
	v_mov_b32_e32 v6, v8
	v_cmpx_gt_i32_e64 s8, v11
	s_cbranch_execz .LBB166_56
; %bb.55:
	flat_load_b64 v[5:6], v[3:4]
.LBB166_56:
	s_or_b32 exec_lo, exec_lo, s11
	v_add_nc_u32_e32 v31, 8, v11
	v_add_lshl_u32 v34, v20, v0, 3
	s_mov_b32 s11, exec_lo
	s_waitcnt vmcnt(0) lgkmcnt(0)
	ds_store_b64 v34, v[5:6]
	v_cmpx_gt_i32_e64 s8, v31
	s_cbranch_execz .LBB166_58
; %bb.57:
	s_lshl_b32 s24, s12, 3
	s_delay_alu instid0(SALU_CYCLE_1) | instskip(NEXT) | instid1(SALU_CYCLE_1)
	s_ashr_i32 s25, s24, 31
	s_lshl_b64 s[24:25], s[24:25], 3
	s_delay_alu instid0(SALU_CYCLE_1) | instskip(NEXT) | instid1(VALU_DEP_1)
	v_add_co_u32 v5, s5, v3, s24
	v_add_co_ci_u32_e64 v6, s5, s25, v4, s5
	flat_load_b64 v[7:8], v[5:6]
.LBB166_58:
	s_or_b32 exec_lo, exec_lo, s11
	v_mov_b32_e32 v5, 0
	v_dual_mov_b32 v6, 0 :: v_dual_add_nc_u32 v33, 16, v11
	s_mov_b32 s11, exec_lo
	s_waitcnt vmcnt(0) lgkmcnt(0)
	ds_store_b64 v34, v[7:8] offset:2112
	v_dual_mov_b32 v10, v6 :: v_dual_mov_b32 v9, v5
	v_cmpx_gt_i32_e64 s8, v33
	s_cbranch_execz .LBB166_60
; %bb.59:
	s_lshl_b32 s24, s12, 4
	s_delay_alu instid0(SALU_CYCLE_1) | instskip(NEXT) | instid1(SALU_CYCLE_1)
	s_ashr_i32 s25, s24, 31
	s_lshl_b64 s[24:25], s[24:25], 3
	s_delay_alu instid0(SALU_CYCLE_1) | instskip(NEXT) | instid1(VALU_DEP_1)
	v_add_co_u32 v7, s5, v3, s24
	v_add_co_ci_u32_e64 v8, s5, s25, v4, s5
	flat_load_b64 v[9:10], v[7:8]
.LBB166_60:
	s_or_b32 exec_lo, exec_lo, s11
	v_add_nc_u32_e32 v7, 24, v11
	s_waitcnt vmcnt(0) lgkmcnt(0)
	ds_store_b64 v34, v[9:10] offset:4224
	v_cmp_gt_i32_e64 s5, s8, v7
	s_delay_alu instid0(VALU_DEP_1)
	s_and_saveexec_b32 s8, s5
	s_cbranch_execz .LBB166_62
; %bb.61:
	s_mul_i32 s24, s12, 24
	s_delay_alu instid0(SALU_CYCLE_1) | instskip(NEXT) | instid1(SALU_CYCLE_1)
	s_ashr_i32 s25, s24, 31
	s_lshl_b64 s[24:25], s[24:25], 3
	s_delay_alu instid0(SALU_CYCLE_1) | instskip(NEXT) | instid1(VALU_DEP_1)
	v_add_co_u32 v5, s5, v3, s24
	v_add_co_ci_u32_e64 v6, s5, s25, v4, s5
	flat_load_b64 v[5:6], v[5:6]
.LBB166_62:
	s_or_b32 exec_lo, exec_lo, s8
	v_add_co_u32 v3, s5, v3, v18
	s_delay_alu instid0(VALU_DEP_1) | instskip(SKIP_3) | instid1(VALU_DEP_1)
	v_add_co_ci_u32_e64 v4, s5, 0, v4, s5
	s_waitcnt vmcnt(0) lgkmcnt(0)
	ds_store_b64 v34, v[5:6] offset:6336
	v_sub_co_u32 v3, s5, v3, s6
	v_subrev_co_ci_u32_e64 v4, s5, s7, v4, s5
	s_delay_alu instid0(VALU_DEP_2) | instskip(NEXT) | instid1(VALU_DEP_1)
	v_add_co_u32 v3, s5, v3, 8
	v_add_co_ci_u32_e64 v4, s5, 0, v4, s5
	s_delay_alu instid0(VALU_DEP_1)
	v_dual_cndmask_b32 v16, v3, v1 :: v_dual_cndmask_b32 v17, v4, v2
	s_branch .LBB166_68
.LBB166_63:
	ds_load_b64 v[1:2], v29
	s_waitcnt lgkmcnt(0)
	ds_store_b64 v31, v[1:2]
	s_or_b32 exec_lo, exec_lo, s8
	s_and_saveexec_b32 s4, s5
	s_cbranch_execz .LBB166_48
.LBB166_64:
	ds_load_b64 v[1:2], v30
	s_waitcnt lgkmcnt(0)
	ds_store_b64 v31, v[1:2] offset:8
	s_or_b32 exec_lo, exec_lo, s4
	s_and_saveexec_b32 s4, s6
	s_cbranch_execz .LBB166_49
.LBB166_65:
	ds_load_b64 v[1:2], v30 offset:264
	s_waitcnt lgkmcnt(0)
	ds_store_b64 v31, v[1:2] offset:16
	s_or_b32 exec_lo, exec_lo, s4
	v_add_nc_u32_e32 v32, 0x2380, v32
	s_and_saveexec_b32 s4, s7
	s_cbranch_execnz .LBB166_50
	s_branch .LBB166_51
.LBB166_66:
                                        ; implicit-def: $vgpr16_vgpr17
                                        ; implicit-def: $vgpr31
                                        ; implicit-def: $vgpr33
                                        ; implicit-def: $vgpr7
	s_cbranch_execz .LBB166_68
; %bb.67:
	flat_load_b64 v[3:4], v[1:2]
	s_lshl_b32 s6, s12, 3
	v_add_lshl_u32 v0, v20, v0, 3
	s_ashr_i32 s7, s6, 31
	s_ashr_i32 s13, s12, 31
	s_lshl_b64 s[6:7], s[6:7], 3
	v_mov_b32_e32 v17, v2
	v_add_co_u32 v5, vcc_lo, v1, s6
	v_add_co_ci_u32_e32 v6, vcc_lo, s7, v2, vcc_lo
	s_lshl_b64 s[6:7], s[12:13], 6
	v_dual_mov_b32 v16, v1 :: v_dual_add_nc_u32 v31, 8, v11
	v_add_nc_u32_e32 v33, 16, v11
	v_add_nc_u32_e32 v7, 24, v11
	s_waitcnt vmcnt(0) lgkmcnt(0)
	ds_store_b64 v0, v[3:4]
	flat_load_b64 v[3:4], v[5:6]
	v_add_co_u32 v5, vcc_lo, v5, s6
	v_add_co_ci_u32_e32 v6, vcc_lo, s7, v6, vcc_lo
	s_waitcnt vmcnt(0) lgkmcnt(0)
	ds_store_b64 v0, v[3:4] offset:2112
	flat_load_b64 v[3:4], v[5:6]
	v_add_co_u32 v5, vcc_lo, v5, s6
	v_add_co_ci_u32_e32 v6, vcc_lo, s7, v6, vcc_lo
	s_waitcnt vmcnt(0) lgkmcnt(0)
	ds_store_b64 v0, v[3:4] offset:4224
	flat_load_b64 v[3:4], v[5:6]
	s_waitcnt vmcnt(0) lgkmcnt(0)
	ds_store_b64 v0, v[3:4] offset:6336
.LBB166_68:
	v_lshlrev_b32_e32 v0, 3, v11
	s_waitcnt lgkmcnt(0)
	s_barrier
	buffer_gl0_inv
	v_add_lshl_u32 v6, v31, v19, 3
	ds_load_b64 v[4:5], v0 offset:9088
	ds_load_b64 v[8:9], v28
	v_lshlrev_b32_e32 v18, 3, v31
	v_add_lshl_u32 v20, v33, v19, 3
	ds_load_b128 v[0:3], v32 offset:272
	ds_load_b64 v[10:11], v6
	ds_load_b64 v[34:35], v18 offset:9088
	ds_load_b64 v[36:37], v20
	v_lshlrev_b32_e32 v6, 3, v33
	s_waitcnt lgkmcnt(4)
	v_fma_f64 v[4:5], v[8:9], v[4:5], 0
	ds_load_b64 v[8:9], v6 offset:9088
	v_add_lshl_u32 v6, v7, v19, 3
	s_waitcnt lgkmcnt(2)
	v_fma_f64 v[4:5], v[10:11], v[34:35], v[4:5]
	v_lshlrev_b32_e32 v10, 3, v7
	ds_load_b64 v[6:7], v6
	ds_load_b64 v[10:11], v10 offset:9088
	ds_load_b64 v[18:19], v21
	s_waitcnt lgkmcnt(3)
	v_fma_f64 v[4:5], v[36:37], v[8:9], v[4:5]
	s_waitcnt lgkmcnt(1)
	s_delay_alu instid0(VALU_DEP_1)
	v_fma_f64 v[33:34], v[6:7], v[10:11], v[4:5]
	ds_load_b64 v[20:21], v29
	ds_load_b128 v[8:11], v32 offset:256
	ds_load_2addr_b64 v[4:7], v30 offset1:33
	s_waitcnt lgkmcnt(0)
	s_barrier
	buffer_gl0_inv
	ds_store_b64 v28, v[33:34]
	s_waitcnt lgkmcnt(0)
	s_barrier
	buffer_gl0_inv
	s_and_saveexec_b32 s5, s4
	s_cbranch_execz .LBB166_70
; %bb.69:
	ds_load_2addr_b64 v[29:32], v23 offset1:1
	ds_load_2addr_b64 v[33:36], v23 offset0:2 offset1:3
	s_waitcnt lgkmcnt(1)
	v_add_f64 v[26:27], v[26:27], v[29:30]
	s_delay_alu instid0(VALU_DEP_1) | instskip(SKIP_1) | instid1(VALU_DEP_1)
	v_add_f64 v[26:27], v[26:27], v[31:32]
	s_waitcnt lgkmcnt(0)
	v_add_f64 v[26:27], v[26:27], v[33:34]
	s_delay_alu instid0(VALU_DEP_1) | instskip(SKIP_4) | instid1(VALU_DEP_1)
	v_add_f64 v[26:27], v[26:27], v[35:36]
	ds_load_2addr_b64 v[29:32], v23 offset0:4 offset1:5
	ds_load_2addr_b64 v[33:36], v23 offset0:6 offset1:7
	s_waitcnt lgkmcnt(1)
	v_add_f64 v[26:27], v[26:27], v[29:30]
	v_add_f64 v[26:27], v[26:27], v[31:32]
	s_waitcnt lgkmcnt(0)
	s_delay_alu instid0(VALU_DEP_1) | instskip(NEXT) | instid1(VALU_DEP_1)
	v_add_f64 v[26:27], v[26:27], v[33:34]
	v_add_f64 v[26:27], v[26:27], v[35:36]
.LBB166_70:
	s_or_b32 exec_lo, exec_lo, s5
	v_fma_f64 v[8:9], v[20:21], v[8:9], 0
	s_barrier
	buffer_gl0_inv
	v_fma_f64 v[4:5], v[4:5], v[10:11], v[8:9]
	s_delay_alu instid0(VALU_DEP_1) | instskip(NEXT) | instid1(VALU_DEP_1)
	v_fma_f64 v[0:1], v[6:7], v[0:1], v[4:5]
	v_fma_f64 v[0:1], v[18:19], v[2:3], v[0:1]
	ds_store_b64 v28, v[0:1]
	s_waitcnt lgkmcnt(0)
	s_barrier
	buffer_gl0_inv
	s_and_saveexec_b32 s4, s3
	s_cbranch_execz .LBB166_72
; %bb.71:
	ds_load_2addr_b64 v[0:3], v23 offset1:1
	ds_load_2addr_b64 v[4:7], v23 offset0:2 offset1:3
	s_waitcnt lgkmcnt(1)
	v_add_f64 v[0:1], v[26:27], v[0:1]
	s_delay_alu instid0(VALU_DEP_1) | instskip(SKIP_1) | instid1(VALU_DEP_1)
	v_add_f64 v[0:1], v[0:1], v[2:3]
	s_waitcnt lgkmcnt(0)
	v_add_f64 v[0:1], v[0:1], v[4:5]
	s_delay_alu instid0(VALU_DEP_1) | instskip(SKIP_4) | instid1(VALU_DEP_1)
	v_add_f64 v[8:9], v[0:1], v[6:7]
	ds_load_2addr_b64 v[0:3], v23 offset0:4 offset1:5
	ds_load_2addr_b64 v[4:7], v23 offset0:6 offset1:7
	s_waitcnt lgkmcnt(1)
	v_add_f64 v[0:1], v[8:9], v[0:1]
	v_add_f64 v[0:1], v[0:1], v[2:3]
	s_waitcnt lgkmcnt(0)
	s_delay_alu instid0(VALU_DEP_1) | instskip(NEXT) | instid1(VALU_DEP_1)
	v_add_f64 v[0:1], v[0:1], v[4:5]
	v_add_f64 v[26:27], v[0:1], v[6:7]
.LBB166_72:
	s_or_b32 exec_lo, exec_lo, s4
	s_load_b64 s[0:1], s[0:1], 0x68
	s_mul_hi_u32 s3, s9, s18
	s_mul_i32 s26, s26, s18
	s_mul_i32 s4, s9, s18
	s_add_i32 s3, s3, s26
	s_mul_hi_u32 s5, s4, s15
	s_mul_i32 s3, s3, s15
	s_mul_i32 s4, s4, s15
	s_add_i32 s5, s5, s3
	s_mul_hi_i32 s7, s9, s14
	s_lshl_b64 s[4:5], s[4:5], 3
	s_mul_i32 s6, s9, s14
	v_lshlrev_b32_e32 v95, 3, v25
	s_waitcnt lgkmcnt(0)
	s_barrier
	buffer_gl0_inv
	s_add_u32 s3, s0, s4
	s_addc_u32 s4, s1, s5
	s_lshl_b64 s[0:1], s[6:7], 3
	s_delay_alu instid0(SALU_CYCLE_1) | instskip(SKIP_2) | instid1(SALU_CYCLE_1)
	s_add_u32 s3, s3, s0
	s_addc_u32 s11, s4, s1
	s_add_i32 s1, s14, 1
	s_cmp_ge_u32 s1, s15
	s_cbranch_scc1 .LBB166_129
; %bb.73:
	v_lshlrev_b32_e32 v96, 2, v94
	s_mul_i32 s4, s16, s19
	v_lshrrev_b32_e32 v3, 4, v22
	s_ashr_i32 s5, s4, 31
	v_and_b32_e32 v4, 48, v25
	s_lshl_b64 s[4:5], s[4:5], 3
	v_mad_u64_u32 v[0:1], null, v96, s12, v[25:26]
	v_sub_co_u32 v97, vcc_lo, v14, s4
	v_subrev_co_ci_u32_e32 v98, vcc_lo, s5, v15, vcc_lo
	v_add_co_u32 v99, vcc_lo, v16, s20
	s_ashr_i32 s13, s12, 31
	s_lshl_b32 s31, s19, 6
	s_lshl_b32 s8, s12, 4
	;; [unrolled: 1-line block ×3, first 2 shown]
	s_mul_i32 s34, s12, 3
	s_mul_i32 s19, s19, s1
	v_add_co_ci_u32_e32 v100, vcc_lo, s21, v17, vcc_lo
	s_lshl_b64 s[26:27], s[12:13], 4
	v_and_b32_e32 v2, 15, v25
	v_ashrrev_i32_e32 v1, 31, v0
	s_add_i32 s30, s15, -2
	v_lshlrev_b32_e32 v5, 3, v4
	v_or_b32_e32 v6, 0x78, v95
	v_lshlrev_b32_e32 v7, 5, v3
	s_ashr_i32 s9, s8, 31
	s_ashr_i32 s25, s24, 31
	;; [unrolled: 1-line block ×3, first 2 shown]
	v_add_nc_u32_e32 v4, s16, v4
	s_lshl_b64 s[16:17], s[12:13], 3
	s_lshl_b32 s4, s19, 6
	v_sub_co_u32 v123, vcc_lo, 0, v12
	s_add_u32 s1, s26, s20
	v_sub_co_ci_u32_e32 v124, vcc_lo, 0, v13, vcc_lo
	s_addc_u32 s5, s27, s21
	v_add_co_u32 v125, vcc_lo, v16, s1
	v_mad_u32_u24 v103, 0x218, v2, v5
	v_mad_u32_u24 v104, 0x218, v2, v6
	;; [unrolled: 1-line block ×3, first 2 shown]
	v_mul_i32_i24_e32 v7, 0xffffffe8, v3
	v_add3_u32 v28, v4, v2, 64
	v_lshlrev_b64 v[2:3], 3, v[0:1]
	v_add_co_ci_u32_e32 v126, vcc_lo, s5, v17, vcc_lo
	v_add_co_u32 v4, vcc_lo, s22, v0
	v_add_co_ci_u32_e32 v5, vcc_lo, s23, v1, vcc_lo
	s_delay_alu instid0(VALU_DEP_4) | instskip(SKIP_1) | instid1(VALU_DEP_3)
	v_sub_co_u32 v127, vcc_lo, v2, v12
	v_sub_co_ci_u32_e32 v128, vcc_lo, v3, v13, vcc_lo
	v_lshlrev_b64 v[2:3], 3, v[4:5]
	s_lshl_b64 s[6:7], s[8:9], 5
	s_mul_i32 s36, s12, 24
	s_add_u32 s37, s16, s20
	s_addc_u32 s38, s17, s21
	s_lshl_b64 s[18:19], s[24:25], 3
	s_mul_hi_i32 s33, s12, 24
	v_add_co_u32 v4, vcc_lo, s36, v2
	s_add_u32 s39, s20, s18
	v_add_co_ci_u32_e32 v5, vcc_lo, s33, v3, vcc_lo
	s_addc_u32 s40, s21, s19
	s_lshl_b64 s[24:25], s[34:35], 3
	v_add_co_u32 v129, vcc_lo, v16, v4
	s_add_u32 s41, s20, s24
	s_addc_u32 s42, s21, s25
	s_lshl_b64 s[34:35], s[8:9], 3
	v_add_co_ci_u32_e32 v130, vcc_lo, v17, v5, vcc_lo
	s_add_u32 s43, s1, s34
	v_add_co_u32 v131, vcc_lo, v16, s37
	s_addc_u32 s44, s5, s35
	s_add_u32 s22, s22, s8
	v_add_co_ci_u32_e32 v132, vcc_lo, s38, v17, vcc_lo
	s_addc_u32 s23, s23, s9
	v_add_co_u32 v0, vcc_lo, s22, v0
	v_add_co_ci_u32_e32 v1, vcc_lo, s23, v1, vcc_lo
	v_add_co_u32 v133, vcc_lo, v16, s39
	v_add_co_ci_u32_e32 v134, vcc_lo, s40, v17, vcc_lo
	s_delay_alu instid0(VALU_DEP_3) | instskip(SKIP_3) | instid1(VALU_DEP_3)
	v_lshlrev_b64 v[0:1], 3, v[0:1]
	v_add_co_u32 v135, vcc_lo, v16, s41
	v_add_co_ci_u32_e32 v136, vcc_lo, s42, v17, vcc_lo
	s_add_u32 s22, s37, s34
	v_add_co_u32 v0, vcc_lo, s36, v0
	s_delay_alu instid0(VALU_DEP_4) | instskip(SKIP_2) | instid1(VALU_DEP_4)
	v_add_co_ci_u32_e32 v1, vcc_lo, s33, v1, vcc_lo
	v_add_co_u32 v137, vcc_lo, v16, s43
	v_add_co_ci_u32_e32 v138, vcc_lo, s44, v17, vcc_lo
	v_add_co_u32 v139, vcc_lo, v16, v0
	s_delay_alu instid0(VALU_DEP_4)
	v_add_co_ci_u32_e32 v140, vcc_lo, v17, v1, vcc_lo
	s_addc_u32 s23, s38, s35
	v_add_co_u32 v141, vcc_lo, v16, s22
	s_add_u32 s22, s20, s34
	v_add_co_ci_u32_e32 v142, vcc_lo, s23, v17, vcc_lo
	s_addc_u32 s23, s21, s35
	v_add_co_u32 v143, vcc_lo, v16, s22
	s_add_u32 s34, s22, s18
	;; [unrolled: 4-line block ×3, first 2 shown]
	v_add_co_ci_u32_e32 v146, vcc_lo, s35, v17, vcc_lo
	s_addc_u32 s35, s23, s25
	s_lshl_b64 s[22:23], s[8:9], 4
	v_add_co_u32 v147, vcc_lo, v16, s34
	s_add_u32 s1, s1, s22
	s_addc_u32 s5, s5, s23
	s_add_u32 s34, s36, s22
	v_add_co_ci_u32_e32 v148, vcc_lo, s35, v17, vcc_lo
	s_addc_u32 s33, s33, s23
	v_add_co_u32 v0, vcc_lo, s34, v2
	v_add_co_ci_u32_e32 v1, vcc_lo, s33, v3, vcc_lo
	v_add_co_u32 v149, vcc_lo, v16, s1
	v_add_co_ci_u32_e32 v150, vcc_lo, s5, v17, vcc_lo
	s_add_u32 s1, s22, s20
	v_add_co_u32 v151, vcc_lo, v16, v0
	s_addc_u32 s5, s23, s21
	s_add_u32 s20, s1, s16
	v_add_co_ci_u32_e32 v152, vcc_lo, v17, v1, vcc_lo
	s_addc_u32 s21, s5, s17
	v_add_co_u32 v153, vcc_lo, v16, s20
	s_add_u32 s20, s1, s18
	v_add_co_ci_u32_e32 v154, vcc_lo, s21, v17, vcc_lo
	s_addc_u32 s21, s5, s19
	s_add_u32 s22, s1, s24
	s_mul_i32 s33, s12, 0x180
	s_addc_u32 s23, s5, s25
	s_mul_hi_i32 s34, s8, 24
	s_add_u32 s26, s33, s26
	s_addc_u32 s27, s34, s27
	s_add_u32 s12, s12, s8
	v_add_co_u32 v155, vcc_lo, v16, s1
	v_mad_u64_u32 v[0:1], null, s12, 24, v[2:3]
	v_add_co_ci_u32_e32 v156, vcc_lo, s5, v17, vcc_lo
	v_add_co_u32 v157, vcc_lo, v16, s20
	s_addc_u32 s1, s13, s9
	v_add_co_ci_u32_e32 v158, vcc_lo, s21, v17, vcc_lo
	v_add_co_u32 v8, vcc_lo, s26, v2
	v_mad_u64_u32 v[4:5], null, s1, 24, v[1:2]
	v_mad_i64_i32 v[5:6], null, s8, 24, v[2:3]
	v_add_co_ci_u32_e32 v9, vcc_lo, s27, v3, vcc_lo
	v_add_co_u32 v159, vcc_lo, v16, s22
	s_delay_alu instid0(VALU_DEP_4)
	v_mov_b32_e32 v1, v4
	v_add_co_ci_u32_e32 v160, vcc_lo, s23, v17, vcc_lo
	v_add_co_u32 v161, vcc_lo, v16, v8
	v_add_co_ci_u32_e32 v162, vcc_lo, v17, v9, vcc_lo
	v_add_co_u32 v2, vcc_lo, v5, s16
	;; [unrolled: 2-line block ×3, first 2 shown]
	v_add_co_ci_u32_e32 v164, vcc_lo, v17, v1, vcc_lo
	s_delay_alu instid0(VALU_DEP_4) | instskip(NEXT) | instid1(VALU_DEP_4)
	v_add_co_u32 v165, vcc_lo, v16, v2
	v_add_co_ci_u32_e32 v166, vcc_lo, v17, v3, vcc_lo
	v_add_co_u32 v167, vcc_lo, v16, v5
	v_add_co_ci_u32_e32 v168, vcc_lo, v17, v6, vcc_lo
	v_add_co_u32 v0, vcc_lo, v5, s18
	v_add_co_ci_u32_e32 v1, vcc_lo, s19, v6, vcc_lo
	v_add_co_u32 v2, vcc_lo, v5, s24
	v_add_co_ci_u32_e32 v3, vcc_lo, s25, v6, vcc_lo
	s_delay_alu instid0(VALU_DEP_4) | instskip(NEXT) | instid1(VALU_DEP_4)
	v_add_co_u32 v169, vcc_lo, v16, v0
	v_add_co_ci_u32_e32 v170, vcc_lo, v17, v1, vcc_lo
	s_delay_alu instid0(VALU_DEP_4)
	v_add_co_u32 v171, vcc_lo, v16, v2
	v_add_nc_u32_e32 v101, 0x2180, v95
	v_add_nc_u32_e32 v102, 0x2380, v95
	v_cmp_gt_u32_e64 s0, 64, v22
	v_or_b32_e32 v106, 1, v96
	v_or_b32_e32 v107, 2, v96
	;; [unrolled: 1-line block ×3, first 2 shown]
	v_lshl_add_u32 v109, v94, 5, 0x2180
	v_mad_u32_u24 v110, 0x860, v94, v95
	v_add_nc_u32_e32 v111, 16, v96
	v_add_nc_u32_e32 v112, 17, v96
	;; [unrolled: 1-line block ×12, first 2 shown]
	v_add_co_ci_u32_e32 v172, vcc_lo, v17, v3, vcc_lo
	v_add_nc_u32_e32 v173, v105, v7
	s_cmp_eq_u32 s30, s14
	s_cselect_b32 s8, s28, 0
	s_and_saveexec_b32 s1, s2
	s_cbranch_execz .LBB166_77
.LBB166_74:
	v_cmp_gt_i32_e32 vcc_lo, s8, v25
	s_cmp_eq_u32 s8, 0
	v_mov_b32_e32 v0, 0
	v_mov_b32_e32 v1, 0
	s_cselect_b32 s5, -1, 0
	s_delay_alu instid0(SALU_CYCLE_1) | instskip(NEXT) | instid1(SALU_CYCLE_1)
	s_or_b32 s5, s5, vcc_lo
	s_and_saveexec_b32 s9, s5
	s_cbranch_execz .LBB166_76
; %bb.75:
	s_ashr_i32 s5, s4, 31
	s_delay_alu instid0(SALU_CYCLE_1) | instskip(NEXT) | instid1(SALU_CYCLE_1)
	s_lshl_b64 s[12:13], s[4:5], 3
	v_add_co_u32 v0, vcc_lo, v97, s12
	v_add_co_ci_u32_e32 v1, vcc_lo, s13, v98, vcc_lo
	flat_load_b64 v[0:1], v[0:1]
.LBB166_76:
	s_or_b32 exec_lo, exec_lo, s9
	s_waitcnt vmcnt(0) lgkmcnt(0)
	ds_store_b64 v101, v[0:1]
.LBB166_77:                             ; =>This Inner Loop Header: Depth=1
	s_or_b32 exec_lo, exec_lo, s1
	s_cmp_eq_u32 s8, 0
	v_add_co_u32 v0, vcc_lo, v99, v127
	s_cselect_b32 s5, -1, 0
	s_cmp_lg_u32 s8, 0
	v_add_co_ci_u32_e32 v1, vcc_lo, v100, v128, vcc_lo
	s_cselect_b32 s1, -1, 0
	s_waitcnt lgkmcnt(0)
	s_and_b32 vcc_lo, exec_lo, s1
	s_barrier
	buffer_gl0_inv
	s_cbranch_vccz .LBB166_125
; %bb.78:                               ;   in Loop: Header=BB166_77 Depth=1
	v_mov_b32_e32 v32, 0
	v_mov_b32_e32 v33, 0
	s_delay_alu instid0(VALU_DEP_2) | instskip(SKIP_1) | instid1(VALU_DEP_2)
	v_mov_b32_e32 v30, v32
	s_mov_b32 s9, exec_lo
	v_mov_b32_e32 v31, v33
	v_cmpx_gt_i32_e64 s8, v96
	s_cbranch_execz .LBB166_80
; %bb.79:                               ;   in Loop: Header=BB166_77 Depth=1
	flat_load_b64 v[30:31], v[0:1]
.LBB166_80:                             ;   in Loop: Header=BB166_77 Depth=1
	s_or_b32 exec_lo, exec_lo, s9
	s_delay_alu instid0(SALU_CYCLE_1)
	s_mov_b32 s9, exec_lo
	v_cmpx_gt_i32_e64 s8, v106
	s_cbranch_execz .LBB166_82
; %bb.81:                               ;   in Loop: Header=BB166_77 Depth=1
	v_add_co_u32 v2, vcc_lo, v131, v127
	v_add_co_ci_u32_e32 v3, vcc_lo, v132, v128, vcc_lo
	flat_load_b64 v[32:33], v[2:3]
.LBB166_82:                             ;   in Loop: Header=BB166_77 Depth=1
	s_or_b32 exec_lo, exec_lo, s9
	v_mov_b32_e32 v34, 0
	v_mov_b32_e32 v35, 0
	s_mov_b32 s9, exec_lo
	s_delay_alu instid0(VALU_DEP_1)
	v_dual_mov_b32 v37, v35 :: v_dual_mov_b32 v36, v34
	v_cmpx_gt_i32_e64 s8, v107
	s_cbranch_execz .LBB166_84
; %bb.83:                               ;   in Loop: Header=BB166_77 Depth=1
	v_add_co_u32 v2, vcc_lo, v133, v127
	v_add_co_ci_u32_e32 v3, vcc_lo, v134, v128, vcc_lo
	flat_load_b64 v[36:37], v[2:3]
.LBB166_84:                             ;   in Loop: Header=BB166_77 Depth=1
	s_or_b32 exec_lo, exec_lo, s9
	s_delay_alu instid0(SALU_CYCLE_1)
	s_mov_b32 s9, exec_lo
	v_cmpx_gt_i32_e64 s8, v108
	s_cbranch_execz .LBB166_86
; %bb.85:                               ;   in Loop: Header=BB166_77 Depth=1
	v_add_co_u32 v2, vcc_lo, v135, v127
	v_add_co_ci_u32_e32 v3, vcc_lo, v136, v128, vcc_lo
	flat_load_b64 v[34:35], v[2:3]
.LBB166_86:                             ;   in Loop: Header=BB166_77 Depth=1
	s_or_b32 exec_lo, exec_lo, s9
	s_branch .LBB166_88
.LBB166_87:                             ;   in Loop: Header=BB166_77 Depth=1
	v_add_co_u32 v2, vcc_lo, v131, v127
	v_add_co_ci_u32_e32 v3, vcc_lo, v132, v128, vcc_lo
	v_add_co_u32 v4, vcc_lo, v125, v127
	v_add_co_ci_u32_e32 v5, vcc_lo, v126, v128, vcc_lo
	v_add_co_u32 v6, vcc_lo, v129, v123
	v_add_co_ci_u32_e32 v7, vcc_lo, v130, v124, vcc_lo
	s_waitcnt vmcnt(0) lgkmcnt(0)
	flat_load_b64 v[30:31], v[0:1]
	flat_load_b64 v[32:33], v[2:3]
	;; [unrolled: 1-line block ×4, first 2 shown]
.LBB166_88:                             ;   in Loop: Header=BB166_77 Depth=1
	ds_load_b64 v[0:1], v102
	ds_load_b64 v[38:39], v109
	v_add_co_u32 v8, vcc_lo, v143, v127
	v_cndmask_b32_e64 v29, 0, 1, s1
	v_add_co_ci_u32_e32 v9, vcc_lo, v144, v128, vcc_lo
	s_and_not1_b32 vcc_lo, exec_lo, s1
	s_waitcnt vmcnt(0) lgkmcnt(1)
	v_mul_f64 v[2:3], v[30:31], v[0:1]
	v_mul_f64 v[4:5], v[32:33], v[0:1]
	;; [unrolled: 1-line block ×4, first 2 shown]
	ds_store_b64 v110, v[2:3]
	ds_load_b64 v[40:41], v109 offset:8
	ds_store_b64 v110, v[4:5] offset:536
	ds_load_b64 v[42:43], v109 offset:16
	ds_store_b64 v110, v[6:7] offset:1072
	;; [unrolled: 2-line block ×3, first 2 shown]
	s_waitcnt lgkmcnt(0)
	s_barrier
	buffer_gl0_inv
	ds_load_2addr_b64 v[4:7], v105 offset1:1
	ds_load_2addr_b64 v[0:3], v105 offset0:2 offset1:3
	s_waitcnt lgkmcnt(0)
	s_barrier
	buffer_gl0_inv
	s_cbranch_vccnz .LBB166_126
; %bb.89:                               ;   in Loop: Header=BB166_77 Depth=1
	v_mov_b32_e32 v48, 0
	v_mov_b32_e32 v49, 0
	s_delay_alu instid0(VALU_DEP_2) | instskip(SKIP_1) | instid1(VALU_DEP_2)
	v_mov_b32_e32 v46, v48
	s_mov_b32 s1, exec_lo
	v_mov_b32_e32 v47, v49
	v_cmpx_gt_i32_e64 s8, v111
	s_cbranch_execz .LBB166_91
; %bb.90:                               ;   in Loop: Header=BB166_77 Depth=1
	flat_load_b64 v[46:47], v[8:9]
.LBB166_91:                             ;   in Loop: Header=BB166_77 Depth=1
	s_or_b32 exec_lo, exec_lo, s1
	s_delay_alu instid0(SALU_CYCLE_1)
	s_mov_b32 s1, exec_lo
	v_cmpx_gt_i32_e64 s8, v112
	s_cbranch_execz .LBB166_93
; %bb.92:                               ;   in Loop: Header=BB166_77 Depth=1
	v_add_co_u32 v10, vcc_lo, v141, v127
	v_add_co_ci_u32_e32 v11, vcc_lo, v142, v128, vcc_lo
	flat_load_b64 v[48:49], v[10:11]
.LBB166_93:                             ;   in Loop: Header=BB166_77 Depth=1
	s_or_b32 exec_lo, exec_lo, s1
	v_mov_b32_e32 v50, 0
	v_mov_b32_e32 v51, 0
	s_mov_b32 s1, exec_lo
	s_delay_alu instid0(VALU_DEP_1)
	v_dual_mov_b32 v53, v51 :: v_dual_mov_b32 v52, v50
	v_cmpx_gt_i32_e64 s8, v113
	s_cbranch_execz .LBB166_95
; %bb.94:                               ;   in Loop: Header=BB166_77 Depth=1
	v_add_co_u32 v10, vcc_lo, v145, v127
	v_add_co_ci_u32_e32 v11, vcc_lo, v146, v128, vcc_lo
	flat_load_b64 v[52:53], v[10:11]
.LBB166_95:                             ;   in Loop: Header=BB166_77 Depth=1
	s_or_b32 exec_lo, exec_lo, s1
	s_delay_alu instid0(SALU_CYCLE_1)
	s_mov_b32 s1, exec_lo
	v_cmpx_gt_i32_e64 s8, v114
	s_cbranch_execz .LBB166_97
; %bb.96:                               ;   in Loop: Header=BB166_77 Depth=1
	v_add_co_u32 v10, vcc_lo, v147, v127
	v_add_co_ci_u32_e32 v11, vcc_lo, v148, v128, vcc_lo
	flat_load_b64 v[50:51], v[10:11]
.LBB166_97:                             ;   in Loop: Header=BB166_77 Depth=1
	s_or_b32 exec_lo, exec_lo, s1
	s_branch .LBB166_99
.LBB166_98:                             ;   in Loop: Header=BB166_77 Depth=1
	v_add_co_u32 v10, vcc_lo, v141, v127
	v_add_co_ci_u32_e32 v11, vcc_lo, v142, v128, vcc_lo
	v_add_co_u32 v12, vcc_lo, v137, v127
	v_add_co_ci_u32_e32 v13, vcc_lo, v138, v128, vcc_lo
	;; [unrolled: 2-line block ×3, first 2 shown]
	s_waitcnt vmcnt(0) lgkmcnt(0)
	flat_load_b64 v[46:47], v[8:9]
	flat_load_b64 v[48:49], v[10:11]
	;; [unrolled: 1-line block ×4, first 2 shown]
.LBB166_99:                             ;   in Loop: Header=BB166_77 Depth=1
	ds_load_b64 v[8:9], v102
	ds_load_b64 v[54:55], v109 offset:128
	v_cmp_ne_u32_e32 vcc_lo, 1, v29
	v_add_co_u32 v16, s1, v155, v127
	s_delay_alu instid0(VALU_DEP_1)
	v_add_co_ci_u32_e64 v17, s1, v156, v128, s1
	s_and_b32 vcc_lo, exec_lo, vcc_lo
	s_waitcnt vmcnt(0) lgkmcnt(1)
	v_mul_f64 v[10:11], v[46:47], v[8:9]
	v_mul_f64 v[12:13], v[48:49], v[8:9]
	;; [unrolled: 1-line block ×4, first 2 shown]
	ds_store_b64 v110, v[10:11]
	ds_load_b64 v[56:57], v109 offset:136
	ds_store_b64 v110, v[12:13] offset:536
	ds_load_b64 v[58:59], v109 offset:144
	ds_store_b64 v110, v[14:15] offset:1072
	;; [unrolled: 2-line block ×3, first 2 shown]
	s_waitcnt lgkmcnt(0)
	s_barrier
	buffer_gl0_inv
	ds_load_2addr_b64 v[12:15], v105 offset1:1
	ds_load_2addr_b64 v[8:11], v105 offset0:2 offset1:3
	s_waitcnt lgkmcnt(0)
	s_barrier
	buffer_gl0_inv
	s_cbranch_vccnz .LBB166_127
; %bb.100:                              ;   in Loop: Header=BB166_77 Depth=1
	v_mov_b32_e32 v64, 0
	v_mov_b32_e32 v65, 0
	s_delay_alu instid0(VALU_DEP_2) | instskip(SKIP_1) | instid1(VALU_DEP_2)
	v_mov_b32_e32 v62, v64
	s_mov_b32 s1, exec_lo
	v_mov_b32_e32 v63, v65
	v_cmpx_gt_i32_e64 s8, v115
	s_cbranch_execz .LBB166_102
; %bb.101:                              ;   in Loop: Header=BB166_77 Depth=1
	flat_load_b64 v[62:63], v[16:17]
.LBB166_102:                            ;   in Loop: Header=BB166_77 Depth=1
	s_or_b32 exec_lo, exec_lo, s1
	s_delay_alu instid0(SALU_CYCLE_1)
	s_mov_b32 s1, exec_lo
	v_cmpx_gt_i32_e64 s8, v116
	s_cbranch_execz .LBB166_104
; %bb.103:                              ;   in Loop: Header=BB166_77 Depth=1
	v_add_co_u32 v18, vcc_lo, v153, v127
	v_add_co_ci_u32_e32 v19, vcc_lo, v154, v128, vcc_lo
	flat_load_b64 v[64:65], v[18:19]
.LBB166_104:                            ;   in Loop: Header=BB166_77 Depth=1
	s_or_b32 exec_lo, exec_lo, s1
	v_mov_b32_e32 v66, 0
	v_mov_b32_e32 v67, 0
	s_mov_b32 s1, exec_lo
	s_delay_alu instid0(VALU_DEP_1)
	v_dual_mov_b32 v69, v67 :: v_dual_mov_b32 v68, v66
	v_cmpx_gt_i32_e64 s8, v117
	s_cbranch_execz .LBB166_106
; %bb.105:                              ;   in Loop: Header=BB166_77 Depth=1
	v_add_co_u32 v18, vcc_lo, v157, v127
	v_add_co_ci_u32_e32 v19, vcc_lo, v158, v128, vcc_lo
	flat_load_b64 v[68:69], v[18:19]
.LBB166_106:                            ;   in Loop: Header=BB166_77 Depth=1
	s_or_b32 exec_lo, exec_lo, s1
	s_delay_alu instid0(SALU_CYCLE_1)
	s_mov_b32 s1, exec_lo
	v_cmpx_gt_i32_e64 s8, v118
	s_cbranch_execz .LBB166_108
; %bb.107:                              ;   in Loop: Header=BB166_77 Depth=1
	v_add_co_u32 v18, vcc_lo, v159, v127
	v_add_co_ci_u32_e32 v19, vcc_lo, v160, v128, vcc_lo
	flat_load_b64 v[66:67], v[18:19]
.LBB166_108:                            ;   in Loop: Header=BB166_77 Depth=1
	s_or_b32 exec_lo, exec_lo, s1
	s_branch .LBB166_110
.LBB166_109:                            ;   in Loop: Header=BB166_77 Depth=1
	v_add_co_u32 v18, vcc_lo, v153, v127
	v_add_co_ci_u32_e32 v19, vcc_lo, v154, v128, vcc_lo
	v_add_co_u32 v20, vcc_lo, v149, v127
	v_add_co_ci_u32_e32 v21, vcc_lo, v150, v128, vcc_lo
	;; [unrolled: 2-line block ×3, first 2 shown]
	s_waitcnt vmcnt(0) lgkmcnt(0)
	flat_load_b64 v[62:63], v[16:17]
	flat_load_b64 v[64:65], v[18:19]
	;; [unrolled: 1-line block ×4, first 2 shown]
.LBB166_110:                            ;   in Loop: Header=BB166_77 Depth=1
	ds_load_b64 v[16:17], v102
	ds_load_b64 v[70:71], v109 offset:256
	v_cmp_ne_u32_e32 vcc_lo, 1, v29
	v_add_co_u32 v86, s1, v167, v123
	s_delay_alu instid0(VALU_DEP_1)
	v_add_co_ci_u32_e64 v87, s1, v168, v124, s1
	s_and_b32 vcc_lo, exec_lo, vcc_lo
	s_waitcnt vmcnt(0) lgkmcnt(1)
	v_mul_f64 v[18:19], v[62:63], v[16:17]
	v_mul_f64 v[20:21], v[64:65], v[16:17]
	;; [unrolled: 1-line block ×4, first 2 shown]
	ds_store_b64 v110, v[18:19]
	ds_load_b64 v[72:73], v109 offset:264
	ds_store_b64 v110, v[20:21] offset:536
	ds_load_b64 v[74:75], v109 offset:272
	ds_store_b64 v110, v[22:23] offset:1072
	ds_load_b64 v[76:77], v109 offset:280
	ds_store_b64 v110, v[16:17] offset:1608
	s_waitcnt lgkmcnt(0)
	s_barrier
	buffer_gl0_inv
	ds_load_2addr_b64 v[20:23], v105 offset1:1
	ds_load_2addr_b64 v[16:19], v105 offset0:2 offset1:3
	s_waitcnt lgkmcnt(0)
	s_barrier
	buffer_gl0_inv
	s_cbranch_vccnz .LBB166_128
; %bb.111:                              ;   in Loop: Header=BB166_77 Depth=1
	v_mov_b32_e32 v82, 0
	v_mov_b32_e32 v83, 0
	s_delay_alu instid0(VALU_DEP_2) | instskip(SKIP_1) | instid1(VALU_DEP_2)
	v_mov_b32_e32 v80, v82
	s_mov_b32 s1, exec_lo
	v_mov_b32_e32 v81, v83
	v_cmpx_gt_i32_e64 s8, v119
	s_cbranch_execz .LBB166_113
; %bb.112:                              ;   in Loop: Header=BB166_77 Depth=1
	flat_load_b64 v[80:81], v[86:87]
.LBB166_113:                            ;   in Loop: Header=BB166_77 Depth=1
	s_or_b32 exec_lo, exec_lo, s1
	s_delay_alu instid0(SALU_CYCLE_1)
	s_mov_b32 s1, exec_lo
	v_cmpx_gt_i32_e64 s8, v120
	s_cbranch_execz .LBB166_115
; %bb.114:                              ;   in Loop: Header=BB166_77 Depth=1
	v_add_co_u32 v78, vcc_lo, v165, v123
	v_add_co_ci_u32_e32 v79, vcc_lo, v166, v124, vcc_lo
	flat_load_b64 v[82:83], v[78:79]
.LBB166_115:                            ;   in Loop: Header=BB166_77 Depth=1
	s_or_b32 exec_lo, exec_lo, s1
	v_mov_b32_e32 v78, 0
	v_mov_b32_e32 v79, 0
	s_mov_b32 s1, exec_lo
	s_delay_alu instid0(VALU_DEP_1)
	v_dual_mov_b32 v85, v79 :: v_dual_mov_b32 v84, v78
	v_cmpx_gt_i32_e64 s8, v121
	s_cbranch_execz .LBB166_117
; %bb.116:                              ;   in Loop: Header=BB166_77 Depth=1
	v_add_co_u32 v84, vcc_lo, v169, v123
	v_add_co_ci_u32_e32 v85, vcc_lo, v170, v124, vcc_lo
	flat_load_b64 v[84:85], v[84:85]
.LBB166_117:                            ;   in Loop: Header=BB166_77 Depth=1
	s_or_b32 exec_lo, exec_lo, s1
	s_delay_alu instid0(SALU_CYCLE_1)
	s_mov_b32 s1, exec_lo
	v_cmpx_gt_i32_e64 s8, v122
	s_cbranch_execz .LBB166_119
; %bb.118:                              ;   in Loop: Header=BB166_77 Depth=1
	v_add_co_u32 v78, vcc_lo, v171, v123
	v_add_co_ci_u32_e32 v79, vcc_lo, v172, v124, vcc_lo
	flat_load_b64 v[78:79], v[78:79]
.LBB166_119:                            ;   in Loop: Header=BB166_77 Depth=1
	s_or_b32 exec_lo, exec_lo, s1
	s_branch .LBB166_121
.LBB166_120:                            ;   in Loop: Header=BB166_77 Depth=1
	s_waitcnt vmcnt(0) lgkmcnt(0)
	v_add_co_u32 v78, vcc_lo, v165, v123
	v_add_co_ci_u32_e32 v79, vcc_lo, v166, v124, vcc_lo
	v_add_co_u32 v84, vcc_lo, v161, v123
	v_add_co_ci_u32_e32 v85, vcc_lo, v162, v124, vcc_lo
	;; [unrolled: 2-line block ×3, first 2 shown]
	flat_load_b64 v[80:81], v[86:87]
	flat_load_b64 v[82:83], v[78:79]
	;; [unrolled: 1-line block ×4, first 2 shown]
.LBB166_121:                            ;   in Loop: Header=BB166_77 Depth=1
	ds_load_b64 v[86:87], v102
	ds_load_b64 v[90:91], v109 offset:384
	v_add_f64 v[12:13], v[12:13], 0
	v_add_f64 v[4:5], v[4:5], 0
	;; [unrolled: 1-line block ×3, first 2 shown]
	v_cmp_gt_i32_e32 vcc_lo, s8, v25
	s_or_b32 s1, s5, vcc_lo
	s_delay_alu instid0(SALU_CYCLE_1)
	s_and_b32 s5, s0, s1
	s_waitcnt vmcnt(0) lgkmcnt(1)
	v_mul_f64 v[88:89], v[80:81], v[86:87]
	v_mul_f64 v[174:175], v[82:83], v[86:87]
	;; [unrolled: 1-line block ×4, first 2 shown]
	v_add_f64 v[12:13], v[12:13], v[14:15]
	v_add_f64 v[4:5], v[4:5], v[6:7]
	;; [unrolled: 1-line block ×3, first 2 shown]
	ds_store_b64 v110, v[88:89]
	ds_load_b64 v[92:93], v109 offset:392
	ds_store_b64 v110, v[174:175] offset:536
	ds_load_b64 v[88:89], v109 offset:400
	ds_store_b64 v110, v[176:177] offset:1072
	;; [unrolled: 2-line block ×3, first 2 shown]
	s_waitcnt lgkmcnt(0)
	s_barrier
	buffer_gl0_inv
	ds_load_2addr_b64 v[174:177], v105 offset1:1
	ds_load_2addr_b64 v[178:181], v105 offset0:2 offset1:3
	s_waitcnt lgkmcnt(0)
	s_barrier
	buffer_gl0_inv
	v_add_f64 v[8:9], v[12:13], v[8:9]
	v_add_f64 v[0:1], v[4:5], v[0:1]
	;; [unrolled: 1-line block ×4, first 2 shown]
	s_delay_alu instid0(VALU_DEP_4) | instskip(NEXT) | instid1(VALU_DEP_4)
	v_add_f64 v[8:9], v[8:9], v[10:11]
	v_add_f64 v[0:1], v[0:1], v[2:3]
	s_delay_alu instid0(VALU_DEP_3) | instskip(NEXT) | instid1(VALU_DEP_1)
	v_add_f64 v[6:7], v[174:175], v[176:177]
	v_add_f64 v[4:5], v[6:7], v[178:179]
	v_add_f64 v[6:7], v[14:15], v[18:19]
	s_delay_alu instid0(VALU_DEP_2)
	v_add_f64 v[2:3], v[4:5], v[180:181]
	ds_store_2addr_b64 v173, v[0:1], v[8:9] offset1:16
	ds_store_2addr_b64 v173, v[6:7], v[2:3] offset0:32 offset1:48
	s_waitcnt lgkmcnt(0)
	s_barrier
	buffer_gl0_inv
	s_and_saveexec_b32 s1, s5
	s_cbranch_execz .LBB166_123
; %bb.122:                              ;   in Loop: Header=BB166_77 Depth=1
	ds_load_2addr_b64 v[0:3], v103 offset1:1
	ds_load_2addr_b64 v[4:7], v103 offset0:2 offset1:3
	v_ashrrev_i32_e32 v29, 31, v28
	s_waitcnt lgkmcnt(1)
	v_add_f64 v[0:1], v[0:1], v[2:3]
	s_waitcnt lgkmcnt(0)
	s_delay_alu instid0(VALU_DEP_1) | instskip(NEXT) | instid1(VALU_DEP_1)
	v_add_f64 v[0:1], v[0:1], v[4:5]
	v_add_f64 v[8:9], v[0:1], v[6:7]
	ds_load_2addr_b64 v[0:3], v103 offset0:4 offset1:5
	ds_load_2addr_b64 v[4:7], v103 offset0:6 offset1:7
	s_waitcnt lgkmcnt(1)
	v_add_f64 v[0:1], v[8:9], v[0:1]
	s_delay_alu instid0(VALU_DEP_1) | instskip(SKIP_1) | instid1(VALU_DEP_1)
	v_add_f64 v[0:1], v[0:1], v[2:3]
	s_waitcnt lgkmcnt(0)
	v_add_f64 v[0:1], v[0:1], v[4:5]
	s_delay_alu instid0(VALU_DEP_1) | instskip(SKIP_4) | instid1(VALU_DEP_1)
	v_add_f64 v[8:9], v[0:1], v[6:7]
	ds_load_2addr_b64 v[0:3], v103 offset0:8 offset1:9
	ds_load_2addr_b64 v[4:7], v103 offset0:10 offset1:11
	s_waitcnt lgkmcnt(1)
	v_add_f64 v[0:1], v[8:9], v[0:1]
	v_add_f64 v[0:1], v[0:1], v[2:3]
	s_waitcnt lgkmcnt(0)
	s_delay_alu instid0(VALU_DEP_1) | instskip(NEXT) | instid1(VALU_DEP_1)
	v_add_f64 v[0:1], v[0:1], v[4:5]
	v_add_f64 v[4:5], v[0:1], v[6:7]
	ds_load_2addr_b64 v[0:3], v103 offset0:12 offset1:13
	ds_load_b64 v[6:7], v103 offset:112
	s_waitcnt lgkmcnt(1)
	v_add_f64 v[0:1], v[4:5], v[0:1]
	s_delay_alu instid0(VALU_DEP_1) | instskip(SKIP_4) | instid1(VALU_DEP_1)
	v_add_f64 v[0:1], v[0:1], v[2:3]
	ds_load_b64 v[2:3], v104
	s_waitcnt lgkmcnt(1)
	v_add_f64 v[0:1], v[0:1], v[6:7]
	s_waitcnt lgkmcnt(0)
	v_add_f64 v[0:1], v[0:1], v[2:3]
	v_lshlrev_b64 v[2:3], 3, v[28:29]
	s_delay_alu instid0(VALU_DEP_1) | instskip(NEXT) | instid1(VALU_DEP_2)
	v_add_co_u32 v2, vcc_lo, s3, v2
	v_add_co_ci_u32_e32 v3, vcc_lo, s11, v3, vcc_lo
	global_store_b64 v[2:3], v[0:1], off
.LBB166_123:                            ;   in Loop: Header=BB166_77 Depth=1
	s_or_b32 exec_lo, exec_lo, s1
	v_fma_f64 v[0:1], v[30:31], v[38:39], v[26:27]
	v_add_co_u32 v125, vcc_lo, v125, s6
	v_add_co_ci_u32_e32 v126, vcc_lo, s7, v126, vcc_lo
	v_add_co_u32 v129, vcc_lo, v129, s6
	v_add_co_ci_u32_e32 v130, vcc_lo, s7, v130, vcc_lo
	;; [unrolled: 2-line block ×9, first 2 shown]
	v_add_co_u32 v143, vcc_lo, v143, s6
	v_fma_f64 v[0:1], v[32:33], v[40:41], v[0:1]
	v_add_co_ci_u32_e32 v144, vcc_lo, s7, v144, vcc_lo
	v_add_co_u32 v145, vcc_lo, v145, s6
	v_add_co_ci_u32_e32 v146, vcc_lo, s7, v146, vcc_lo
	v_add_co_u32 v147, vcc_lo, v147, s6
	;; [unrolled: 2-line block ×9, first 2 shown]
	v_add_co_ci_u32_e32 v162, vcc_lo, s7, v162, vcc_lo
	v_fma_f64 v[0:1], v[36:37], v[42:43], v[0:1]
	v_add_co_u32 v163, vcc_lo, v163, s6
	v_add_co_ci_u32_e32 v164, vcc_lo, s7, v164, vcc_lo
	v_add_co_u32 v165, vcc_lo, v165, s6
	v_add_co_ci_u32_e32 v166, vcc_lo, s7, v166, vcc_lo
	;; [unrolled: 2-line block ×4, first 2 shown]
	v_add_co_u32 v171, vcc_lo, v171, s6
	v_add_nc_u32_e32 v28, 64, v28
	v_add_co_ci_u32_e32 v172, vcc_lo, s7, v172, vcc_lo
	s_add_i32 s5, s14, 2
	s_add_i32 s1, s14, 1
	;; [unrolled: 1-line block ×3, first 2 shown]
	s_cmp_ge_u32 s5, s15
	s_waitcnt_vscnt null, 0x0
	s_barrier
	buffer_gl0_inv
	v_fma_f64 v[0:1], v[34:35], v[44:45], v[0:1]
	s_delay_alu instid0(VALU_DEP_1) | instskip(NEXT) | instid1(VALU_DEP_1)
	v_fma_f64 v[0:1], v[46:47], v[54:55], v[0:1]
	v_fma_f64 v[0:1], v[48:49], v[56:57], v[0:1]
	s_delay_alu instid0(VALU_DEP_1) | instskip(NEXT) | instid1(VALU_DEP_1)
	v_fma_f64 v[0:1], v[52:53], v[58:59], v[0:1]
	;; [unrolled: 3-line block ×6, first 2 shown]
	v_fma_f64 v[26:27], v[78:79], v[86:87], v[0:1]
	s_cbranch_scc1 .LBB166_129
; %bb.124:                              ;   in Loop: Header=BB166_77 Depth=1
	s_mov_b32 s14, s1
	s_delay_alu instid0(SALU_CYCLE_1)
	s_cmp_eq_u32 s30, s14
	s_cselect_b32 s8, s28, 0
	s_and_saveexec_b32 s1, s2
	s_cbranch_execnz .LBB166_74
	s_branch .LBB166_77
.LBB166_125:                            ;   in Loop: Header=BB166_77 Depth=1
                                        ; implicit-def: $vgpr34_vgpr35
                                        ; implicit-def: $vgpr36_vgpr37
                                        ; implicit-def: $vgpr32_vgpr33
                                        ; implicit-def: $vgpr30_vgpr31
	s_cbranch_execnz .LBB166_87
	s_branch .LBB166_88
.LBB166_126:                            ;   in Loop: Header=BB166_77 Depth=1
                                        ; implicit-def: $vgpr50_vgpr51
                                        ; implicit-def: $vgpr52_vgpr53
                                        ; implicit-def: $vgpr48_vgpr49
                                        ; implicit-def: $vgpr46_vgpr47
	s_cbranch_execnz .LBB166_98
	s_branch .LBB166_99
.LBB166_127:                            ;   in Loop: Header=BB166_77 Depth=1
                                        ; implicit-def: $vgpr66_vgpr67
                                        ; implicit-def: $vgpr68_vgpr69
                                        ; implicit-def: $vgpr64_vgpr65
                                        ; implicit-def: $vgpr62_vgpr63
	s_cbranch_execnz .LBB166_109
	s_branch .LBB166_110
.LBB166_128:                            ;   in Loop: Header=BB166_77 Depth=1
                                        ; implicit-def: $vgpr78_vgpr79
                                        ; implicit-def: $vgpr84_vgpr85
                                        ; implicit-def: $vgpr82_vgpr83
                                        ; implicit-def: $vgpr80_vgpr81
	s_cbranch_execnz .LBB166_120
	s_branch .LBB166_121
.LBB166_129:
	v_cmp_gt_i32_e32 vcc_lo, s10, v25
	v_mad_u32_u24 v0, 0x218, v94, v95
	s_or_b32 s0, s29, vcc_lo
	ds_store_b64 v0, v[26:27]
	s_and_b32 s0, s2, s0
	s_waitcnt lgkmcnt(0)
	s_barrier
	buffer_gl0_inv
	s_and_saveexec_b32 s1, s0
	s_cbranch_execz .LBB166_6
; %bb.130:
	ds_load_2addr_b64 v[0:3], v95 offset1:67
	v_ashrrev_i32_e32 v25, 31, v24
	s_waitcnt lgkmcnt(0)
	v_add_f64 v[4:5], v[0:1], v[2:3]
	ds_load_2addr_b64 v[0:3], v95 offset0:134 offset1:201
	s_waitcnt lgkmcnt(0)
	v_add_f64 v[0:1], v[4:5], v[0:1]
	s_delay_alu instid0(VALU_DEP_1) | instskip(SKIP_1) | instid1(VALU_DEP_1)
	v_add_f64 v[0:1], v[0:1], v[2:3]
	v_lshlrev_b64 v[2:3], 3, v[24:25]
	v_add_co_u32 v2, vcc_lo, s3, v2
	s_delay_alu instid0(VALU_DEP_2)
	v_add_co_ci_u32_e32 v3, vcc_lo, s11, v3, vcc_lo
	global_store_b64 v[2:3], v[0:1], off
	s_nop 0
	s_sendmsg sendmsg(MSG_DEALLOC_VGPRS)
	s_endpgm
	.section	.rodata,"a",@progbits
	.p2align	6, 0x0
	.amdhsa_kernel _ZL26rocblas_hemvn_kernel_upperILb0ELi64ELi4ELi33ELi32ELi16EidPKPKdPdEviT6_lT7_lT5_lS6_lS7_lS5_lT8_i
		.amdhsa_group_segment_fixed_size 9600
		.amdhsa_private_segment_fixed_size 0
		.amdhsa_kernarg_size 376
		.amdhsa_user_sgpr_count 14
		.amdhsa_user_sgpr_dispatch_ptr 0
		.amdhsa_user_sgpr_queue_ptr 0
		.amdhsa_user_sgpr_kernarg_segment_ptr 1
		.amdhsa_user_sgpr_dispatch_id 0
		.amdhsa_user_sgpr_private_segment_size 0
		.amdhsa_wavefront_size32 1
		.amdhsa_uses_dynamic_stack 0
		.amdhsa_enable_private_segment 0
		.amdhsa_system_sgpr_workgroup_id_x 1
		.amdhsa_system_sgpr_workgroup_id_y 0
		.amdhsa_system_sgpr_workgroup_id_z 1
		.amdhsa_system_sgpr_workgroup_info 0
		.amdhsa_system_vgpr_workitem_id 1
		.amdhsa_next_free_vgpr 182
		.amdhsa_next_free_sgpr 45
		.amdhsa_reserve_vcc 1
		.amdhsa_float_round_mode_32 0
		.amdhsa_float_round_mode_16_64 0
		.amdhsa_float_denorm_mode_32 3
		.amdhsa_float_denorm_mode_16_64 3
		.amdhsa_dx10_clamp 1
		.amdhsa_ieee_mode 1
		.amdhsa_fp16_overflow 0
		.amdhsa_workgroup_processor_mode 1
		.amdhsa_memory_ordered 1
		.amdhsa_forward_progress 0
		.amdhsa_shared_vgpr_count 0
		.amdhsa_exception_fp_ieee_invalid_op 0
		.amdhsa_exception_fp_denorm_src 0
		.amdhsa_exception_fp_ieee_div_zero 0
		.amdhsa_exception_fp_ieee_overflow 0
		.amdhsa_exception_fp_ieee_underflow 0
		.amdhsa_exception_fp_ieee_inexact 0
		.amdhsa_exception_int_div_zero 0
	.end_amdhsa_kernel
	.section	.text._ZL26rocblas_hemvn_kernel_upperILb0ELi64ELi4ELi33ELi32ELi16EidPKPKdPdEviT6_lT7_lT5_lS6_lS7_lS5_lT8_i,"axG",@progbits,_ZL26rocblas_hemvn_kernel_upperILb0ELi64ELi4ELi33ELi32ELi16EidPKPKdPdEviT6_lT7_lT5_lS6_lS7_lS5_lT8_i,comdat
.Lfunc_end166:
	.size	_ZL26rocblas_hemvn_kernel_upperILb0ELi64ELi4ELi33ELi32ELi16EidPKPKdPdEviT6_lT7_lT5_lS6_lS7_lS5_lT8_i, .Lfunc_end166-_ZL26rocblas_hemvn_kernel_upperILb0ELi64ELi4ELi33ELi32ELi16EidPKPKdPdEviT6_lT7_lT5_lS6_lS7_lS5_lT8_i
                                        ; -- End function
	.section	.AMDGPU.csdata,"",@progbits
; Kernel info:
; codeLenInByte = 8580
; NumSgprs: 47
; NumVgprs: 182
; ScratchSize: 0
; MemoryBound: 0
; FloatMode: 240
; IeeeMode: 1
; LDSByteSize: 9600 bytes/workgroup (compile time only)
; SGPRBlocks: 5
; VGPRBlocks: 22
; NumSGPRsForWavesPerEU: 47
; NumVGPRsForWavesPerEU: 182
; Occupancy: 8
; WaveLimiterHint : 1
; COMPUTE_PGM_RSRC2:SCRATCH_EN: 0
; COMPUTE_PGM_RSRC2:USER_SGPR: 14
; COMPUTE_PGM_RSRC2:TRAP_HANDLER: 0
; COMPUTE_PGM_RSRC2:TGID_X_EN: 1
; COMPUTE_PGM_RSRC2:TGID_Y_EN: 0
; COMPUTE_PGM_RSRC2:TGID_Z_EN: 1
; COMPUTE_PGM_RSRC2:TIDIG_COMP_CNT: 1
	.section	.text._ZL36rocblas_hemvn_kernel_upper_block_sumILi64EidPKPddEviT1_lS3_lT2_lT0_lPT3_i,"axG",@progbits,_ZL36rocblas_hemvn_kernel_upper_block_sumILi64EidPKPddEviT1_lS3_lT2_lT0_lPT3_i,comdat
	.globl	_ZL36rocblas_hemvn_kernel_upper_block_sumILi64EidPKPddEviT1_lS3_lT2_lT0_lPT3_i ; -- Begin function _ZL36rocblas_hemvn_kernel_upper_block_sumILi64EidPKPddEviT1_lS3_lT2_lT0_lPT3_i
	.p2align	8
	.type	_ZL36rocblas_hemvn_kernel_upper_block_sumILi64EidPKPddEviT1_lS3_lT2_lT0_lPT3_i,@function
_ZL36rocblas_hemvn_kernel_upper_block_sumILi64EidPKPddEviT1_lS3_lT2_lT0_lPT3_i: ; @_ZL36rocblas_hemvn_kernel_upper_block_sumILi64EidPKPddEviT1_lS3_lT2_lT0_lPT3_i
; %bb.0:
	s_clause 0x1
	s_load_b64 s[6:7], s[0:1], 0x8
	s_load_b64 s[8:9], s[0:1], 0x18
	s_waitcnt lgkmcnt(0)
	v_cmp_eq_f64_e64 s2, s[6:7], 0
	v_cmp_eq_f64_e64 s3, s[8:9], 1.0
	s_delay_alu instid0(VALU_DEP_1) | instskip(NEXT) | instid1(SALU_CYCLE_1)
	s_and_b32 s2, s2, s3
	s_and_b32 vcc_lo, exec_lo, s2
	s_cbranch_vccnz .LBB167_19
; %bb.1:
	s_clause 0x1
	s_load_b128 s[16:19], s[0:1], 0x28
	s_load_b32 s13, s[0:1], 0x38
	v_cmp_neq_f64_e64 s11, s[6:7], 0
	s_mov_b32 s4, s15
	s_mov_b32 s5, 0
	s_load_b32 s10, s[0:1], 0x0
	s_lshl_b64 s[2:3], s[4:5], 3
	v_lshl_or_b32 v0, s14, 6, v0
	s_waitcnt lgkmcnt(0)
	s_add_u32 s2, s16, s2
	s_addc_u32 s3, s17, s3
	s_lshl_b64 s[18:19], s[18:19], 3
	s_load_b64 s[16:17], s[2:3], 0x0
	v_cmp_gt_i32_e64 s2, s10, v0
	s_waitcnt lgkmcnt(0)
	s_add_u32 s3, s16, s18
	s_addc_u32 s12, s17, s19
	s_delay_alu instid0(VALU_DEP_3)
	s_and_b32 vcc_lo, exec_lo, s11
	s_cbranch_vccnz .LBB167_6
; %bb.2:
	s_mov_b32 s11, 0
                                        ; implicit-def: $vgpr3_vgpr4
                                        ; implicit-def: $vgpr1_vgpr2
	s_and_saveexec_b32 s15, s2
	s_cbranch_execz .LBB167_7
; %bb.3:
	v_cmp_eq_f64_e64 s2, s[8:9], 0
	v_mul_lo_u32 v1, v0, s13
	v_mov_b32_e32 v3, 0
	v_mov_b32_e32 v4, 0
	s_delay_alu instid0(VALU_DEP_3)
	v_ashrrev_i32_e32 v2, 31, v1
	s_and_b32 vcc_lo, exec_lo, s2
	s_cbranch_vccnz .LBB167_5
; %bb.4:
	s_delay_alu instid0(VALU_DEP_1) | instskip(NEXT) | instid1(VALU_DEP_1)
	v_lshlrev_b64 v[3:4], 3, v[1:2]
	v_add_co_u32 v3, vcc_lo, s3, v3
	s_delay_alu instid0(VALU_DEP_2)
	v_add_co_ci_u32_e32 v4, vcc_lo, s12, v4, vcc_lo
	global_load_b64 v[3:4], v[3:4], off
	s_waitcnt vmcnt(0)
	v_mul_f64 v[3:4], v[3:4], s[8:9]
.LBB167_5:
	s_mov_b32 s5, exec_lo
	s_or_b32 exec_lo, exec_lo, s15
	s_delay_alu instid0(SALU_CYCLE_1)
	s_and_b32 vcc_lo, exec_lo, s11
	s_cbranch_vccnz .LBB167_8
	s_branch .LBB167_17
.LBB167_6:
                                        ; implicit-def: $vgpr3_vgpr4
                                        ; implicit-def: $vgpr1_vgpr2
	s_cbranch_execnz .LBB167_8
	s_branch .LBB167_17
.LBB167_7:
	s_or_b32 exec_lo, exec_lo, s15
	s_delay_alu instid0(SALU_CYCLE_1)
	s_and_b32 vcc_lo, exec_lo, s11
	s_cbranch_vccz .LBB167_17
.LBB167_8:
	s_mov_b32 s2, exec_lo
                                        ; implicit-def: $vgpr3_vgpr4
                                        ; implicit-def: $vgpr1_vgpr2
	v_cmpx_gt_i32_e64 s10, v0
	s_cbranch_execz .LBB167_16
; %bb.9:
	v_mov_b32_e32 v5, 0
	v_mov_b32_e32 v6, 0
	s_cmp_lt_i32 s14, 0
	s_cbranch_scc1 .LBB167_12
; %bb.10:
	s_clause 0x1
	s_load_b32 s15, s[0:1], 0x58
	s_load_b64 s[0:1], s[0:1], 0x48
	s_ashr_i32 s11, s10, 31
	s_mul_hi_u32 s16, s10, s4
	s_mul_i32 s17, s11, s4
	v_mov_b32_e32 v1, 0
	s_mul_i32 s4, s10, s4
	s_add_i32 s16, s16, s17
	v_mov_b32_e32 v5, 0
	v_mov_b32_e32 v6, 0
	v_lshlrev_b64 v[1:2], 3, v[0:1]
	s_waitcnt lgkmcnt(0)
	s_mul_i32 s17, s16, s15
	s_mul_hi_u32 s18, s4, s15
	s_mul_i32 s16, s4, s15
	s_add_i32 s17, s18, s17
	s_delay_alu instid0(SALU_CYCLE_1) | instskip(NEXT) | instid1(SALU_CYCLE_1)
	s_lshl_b64 s[16:17], s[16:17], 3
	s_add_u32 s0, s0, s16
	s_addc_u32 s1, s1, s17
	v_add_co_u32 v1, vcc_lo, s0, v1
	v_add_co_ci_u32_e32 v2, vcc_lo, s1, v2, vcc_lo
	s_add_i32 s4, s14, 1
	s_lshl_b64 s[0:1], s[10:11], 3
.LBB167_11:                             ; =>This Inner Loop Header: Depth=1
	global_load_b64 v[3:4], v[1:2], off
	v_add_co_u32 v1, vcc_lo, v1, s0
	v_add_co_ci_u32_e32 v2, vcc_lo, s1, v2, vcc_lo
	s_add_i32 s4, s4, -1
	s_delay_alu instid0(SALU_CYCLE_1)
	s_cmp_eq_u32 s4, 0
	s_waitcnt vmcnt(0)
	v_add_f64 v[5:6], v[5:6], v[3:4]
	s_cbranch_scc0 .LBB167_11
.LBB167_12:
	v_cmp_eq_f64_e64 s0, s[8:9], 0
	v_mul_lo_u32 v1, v0, s13
	s_delay_alu instid0(VALU_DEP_1) | instskip(NEXT) | instid1(VALU_DEP_3)
	v_ashrrev_i32_e32 v2, 31, v1
	s_and_b32 vcc_lo, exec_lo, s0
	s_cbranch_vccz .LBB167_20
; %bb.13:
	s_delay_alu instid0(VALU_DEP_4)
	v_mul_f64 v[3:4], v[5:6], s[6:7]
	s_cbranch_execnz .LBB167_15
.LBB167_14:
	s_delay_alu instid0(VALU_DEP_1) | instskip(NEXT) | instid1(VALU_DEP_1)
	v_lshlrev_b64 v[3:4], 3, v[1:2]
	v_add_co_u32 v3, vcc_lo, s3, v3
	s_delay_alu instid0(VALU_DEP_2) | instskip(SKIP_3) | instid1(VALU_DEP_1)
	v_add_co_ci_u32_e32 v4, vcc_lo, s12, v4, vcc_lo
	global_load_b64 v[3:4], v[3:4], off
	s_waitcnt vmcnt(0)
	v_mul_f64 v[3:4], v[3:4], s[8:9]
	v_fma_f64 v[3:4], v[5:6], s[6:7], v[3:4]
.LBB167_15:
	s_or_b32 s5, s5, exec_lo
.LBB167_16:
	s_or_b32 exec_lo, exec_lo, s2
.LBB167_17:
	s_and_saveexec_b32 s0, s5
	s_cbranch_execz .LBB167_19
; %bb.18:
	v_lshlrev_b64 v[0:1], 3, v[1:2]
	s_delay_alu instid0(VALU_DEP_1) | instskip(NEXT) | instid1(VALU_DEP_2)
	v_add_co_u32 v0, vcc_lo, s3, v0
	v_add_co_ci_u32_e32 v1, vcc_lo, s12, v1, vcc_lo
	global_store_b64 v[0:1], v[3:4], off
.LBB167_19:
	s_nop 0
	s_sendmsg sendmsg(MSG_DEALLOC_VGPRS)
	s_endpgm
.LBB167_20:
                                        ; implicit-def: $vgpr3_vgpr4
	s_branch .LBB167_14
	.section	.rodata,"a",@progbits
	.p2align	6, 0x0
	.amdhsa_kernel _ZL36rocblas_hemvn_kernel_upper_block_sumILi64EidPKPddEviT1_lS3_lT2_lT0_lPT3_i
		.amdhsa_group_segment_fixed_size 0
		.amdhsa_private_segment_fixed_size 0
		.amdhsa_kernarg_size 344
		.amdhsa_user_sgpr_count 14
		.amdhsa_user_sgpr_dispatch_ptr 0
		.amdhsa_user_sgpr_queue_ptr 0
		.amdhsa_user_sgpr_kernarg_segment_ptr 1
		.amdhsa_user_sgpr_dispatch_id 0
		.amdhsa_user_sgpr_private_segment_size 0
		.amdhsa_wavefront_size32 1
		.amdhsa_uses_dynamic_stack 0
		.amdhsa_enable_private_segment 0
		.amdhsa_system_sgpr_workgroup_id_x 1
		.amdhsa_system_sgpr_workgroup_id_y 0
		.amdhsa_system_sgpr_workgroup_id_z 1
		.amdhsa_system_sgpr_workgroup_info 0
		.amdhsa_system_vgpr_workitem_id 0
		.amdhsa_next_free_vgpr 7
		.amdhsa_next_free_sgpr 20
		.amdhsa_reserve_vcc 1
		.amdhsa_float_round_mode_32 0
		.amdhsa_float_round_mode_16_64 0
		.amdhsa_float_denorm_mode_32 3
		.amdhsa_float_denorm_mode_16_64 3
		.amdhsa_dx10_clamp 1
		.amdhsa_ieee_mode 1
		.amdhsa_fp16_overflow 0
		.amdhsa_workgroup_processor_mode 1
		.amdhsa_memory_ordered 1
		.amdhsa_forward_progress 0
		.amdhsa_shared_vgpr_count 0
		.amdhsa_exception_fp_ieee_invalid_op 0
		.amdhsa_exception_fp_denorm_src 0
		.amdhsa_exception_fp_ieee_div_zero 0
		.amdhsa_exception_fp_ieee_overflow 0
		.amdhsa_exception_fp_ieee_underflow 0
		.amdhsa_exception_fp_ieee_inexact 0
		.amdhsa_exception_int_div_zero 0
	.end_amdhsa_kernel
	.section	.text._ZL36rocblas_hemvn_kernel_upper_block_sumILi64EidPKPddEviT1_lS3_lT2_lT0_lPT3_i,"axG",@progbits,_ZL36rocblas_hemvn_kernel_upper_block_sumILi64EidPKPddEviT1_lS3_lT2_lT0_lPT3_i,comdat
.Lfunc_end167:
	.size	_ZL36rocblas_hemvn_kernel_upper_block_sumILi64EidPKPddEviT1_lS3_lT2_lT0_lPT3_i, .Lfunc_end167-_ZL36rocblas_hemvn_kernel_upper_block_sumILi64EidPKPddEviT1_lS3_lT2_lT0_lPT3_i
                                        ; -- End function
	.section	.AMDGPU.csdata,"",@progbits
; Kernel info:
; codeLenInByte = 680
; NumSgprs: 22
; NumVgprs: 7
; ScratchSize: 0
; MemoryBound: 0
; FloatMode: 240
; IeeeMode: 1
; LDSByteSize: 0 bytes/workgroup (compile time only)
; SGPRBlocks: 2
; VGPRBlocks: 0
; NumSGPRsForWavesPerEU: 22
; NumVGPRsForWavesPerEU: 7
; Occupancy: 16
; WaveLimiterHint : 1
; COMPUTE_PGM_RSRC2:SCRATCH_EN: 0
; COMPUTE_PGM_RSRC2:USER_SGPR: 14
; COMPUTE_PGM_RSRC2:TRAP_HANDLER: 0
; COMPUTE_PGM_RSRC2:TGID_X_EN: 1
; COMPUTE_PGM_RSRC2:TGID_Y_EN: 0
; COMPUTE_PGM_RSRC2:TGID_Z_EN: 1
; COMPUTE_PGM_RSRC2:TIDIG_COMP_CNT: 0
	.section	.text._ZL50rocblas_symv_kernel_lower_double_buffered_diagonalILi32ELi4E24rocblas_internal_val_ptrIdEPKPKdPKPdEvbiT1_lT2_lllSA_lllS9_lT3_llli,"axG",@progbits,_ZL50rocblas_symv_kernel_lower_double_buffered_diagonalILi32ELi4E24rocblas_internal_val_ptrIdEPKPKdPKPdEvbiT1_lT2_lllSA_lllS9_lT3_llli,comdat
	.globl	_ZL50rocblas_symv_kernel_lower_double_buffered_diagonalILi32ELi4E24rocblas_internal_val_ptrIdEPKPKdPKPdEvbiT1_lT2_lllSA_lllS9_lT3_llli ; -- Begin function _ZL50rocblas_symv_kernel_lower_double_buffered_diagonalILi32ELi4E24rocblas_internal_val_ptrIdEPKPKdPKPdEvbiT1_lT2_lllSA_lllS9_lT3_llli
	.p2align	8
	.type	_ZL50rocblas_symv_kernel_lower_double_buffered_diagonalILi32ELi4E24rocblas_internal_val_ptrIdEPKPKdPKPdEvbiT1_lT2_lllSA_lllS9_lT3_llli,@function
_ZL50rocblas_symv_kernel_lower_double_buffered_diagonalILi32ELi4E24rocblas_internal_val_ptrIdEPKPKdPKPdEvbiT1_lT2_lllSA_lllS9_lT3_llli: ; @_ZL50rocblas_symv_kernel_lower_double_buffered_diagonalILi32ELi4E24rocblas_internal_val_ptrIdEPKPKdPKPdEvbiT1_lT2_lllSA_lllS9_lT3_llli
; %bb.0:
	s_clause 0x3
	s_load_b32 s2, s[0:1], 0x0
	s_load_b256 s[4:11], s[0:1], 0x8
	s_load_b64 s[12:13], s[0:1], 0x28
	s_load_b128 s[16:19], s[0:1], 0x58
	s_mov_b32 s20, s15
	s_waitcnt lgkmcnt(0)
	s_bitcmp1_b32 s2, 0
	v_dual_mov_b32 v1, s4 :: v_dual_mov_b32 v2, s5
	s_cselect_b32 s2, -1, 0
	s_delay_alu instid0(SALU_CYCLE_1)
	s_and_b32 vcc_lo, exec_lo, s2
	s_xor_b32 s2, s2, -1
	s_cbranch_vccnz .LBB168_2
; %bb.1:
	s_mul_i32 s3, s20, s7
	s_mul_hi_u32 s7, s20, s6
	s_mul_i32 s6, s20, s6
	s_add_i32 s7, s7, s3
	s_delay_alu instid0(SALU_CYCLE_1) | instskip(NEXT) | instid1(SALU_CYCLE_1)
	s_lshl_b64 s[6:7], s[6:7], 3
	s_add_u32 s4, s4, s6
	s_addc_u32 s5, s5, s7
	s_delay_alu instid0(SALU_CYCLE_1)
	v_dual_mov_b32 v1, s4 :: v_dual_mov_b32 v2, s5
	flat_load_b64 v[1:2], v[1:2]
.LBB168_2:
	v_dual_mov_b32 v3, s16 :: v_dual_mov_b32 v4, s17
	s_and_not1_b32 vcc_lo, exec_lo, s2
	s_cbranch_vccnz .LBB168_4
; %bb.3:
	s_mul_i32 s2, s20, s19
	s_mul_hi_u32 s3, s20, s18
	s_delay_alu instid0(SALU_CYCLE_1) | instskip(SKIP_1) | instid1(SALU_CYCLE_1)
	s_add_i32 s3, s3, s2
	s_mul_i32 s2, s20, s18
	s_lshl_b64 s[2:3], s[2:3], 3
	s_delay_alu instid0(SALU_CYCLE_1) | instskip(SKIP_1) | instid1(SALU_CYCLE_1)
	s_add_u32 s2, s16, s2
	s_addc_u32 s3, s17, s3
	v_dual_mov_b32 v4, s3 :: v_dual_mov_b32 v3, s2
	flat_load_b64 v[3:4], v[3:4]
.LBB168_4:
	s_waitcnt vmcnt(0) lgkmcnt(0)
	v_cmp_neq_f64_e32 vcc_lo, 0, v[1:2]
	v_cmp_neq_f64_e64 s2, 1.0, v[3:4]
	s_delay_alu instid0(VALU_DEP_1) | instskip(NEXT) | instid1(SALU_CYCLE_1)
	s_or_b32 s2, vcc_lo, s2
	s_and_saveexec_b32 s3, s2
	s_cbranch_execz .LBB168_42
; %bb.5:
	v_cmp_neq_f64_e64 s2, 0, v[1:2]
	v_cmp_eq_f64_e32 vcc_lo, 0, v[1:2]
                                        ; implicit-def: $sgpr4_sgpr5
	s_and_saveexec_b32 s3, vcc_lo
	s_delay_alu instid0(SALU_CYCLE_1)
	s_xor_b32 s3, exec_lo, s3
; %bb.6:
	s_mov_b32 s21, 0
	s_mov_b64 s[4:5], 0
; %bb.7:
	s_or_saveexec_b32 s3, s3
	s_load_b64 s[16:17], s[0:1], 0x68
	v_dual_mov_b32 v5, s20 :: v_dual_mov_b32 v6, s21
	v_dual_mov_b32 v8, s5 :: v_dual_mov_b32 v7, s4
	s_xor_b32 exec_lo, exec_lo, s3
	s_cbranch_execz .LBB168_9
; %bb.8:
	s_mov_b32 s21, 0
	s_delay_alu instid0(SALU_CYCLE_1) | instskip(SKIP_1) | instid1(SALU_CYCLE_1)
	v_dual_mov_b32 v5, s20 :: v_dual_mov_b32 v6, s21
	s_lshl_b64 s[4:5], s[20:21], 3
	s_add_u32 s4, s8, s4
	s_addc_u32 s5, s9, s5
	s_lshl_b64 s[6:7], s[10:11], 3
	s_load_b64 s[4:5], s[4:5], 0x0
	s_waitcnt lgkmcnt(0)
	s_add_u32 s4, s4, s6
	s_addc_u32 s5, s5, s7
	s_delay_alu instid0(SALU_CYCLE_1)
	v_dual_mov_b32 v8, s5 :: v_dual_mov_b32 v7, s4
.LBB168_9:
	s_or_b32 exec_lo, exec_lo, s3
	s_clause 0x1
	s_load_b128 s[4:7], s[0:1], 0x38
	s_load_b64 s[8:9], s[0:1], 0x48
	v_mov_b32_e32 v9, 0
	v_lshlrev_b64 v[5:6], 3, v[5:6]
	v_mov_b32_e32 v10, 0
	s_and_saveexec_b32 s3, s2
	s_cbranch_execz .LBB168_11
; %bb.10:
	s_waitcnt lgkmcnt(0)
	s_delay_alu instid0(VALU_DEP_2) | instskip(NEXT) | instid1(VALU_DEP_1)
	v_add_co_u32 v9, s2, s4, v5
	v_add_co_ci_u32_e64 v10, s2, s5, v6, s2
	s_lshl_b64 s[4:5], s[6:7], 3
	global_load_b64 v[9:10], v[9:10], off
	s_waitcnt vmcnt(0)
	v_add_co_u32 v9, s2, v9, s4
	s_delay_alu instid0(VALU_DEP_1)
	v_add_co_ci_u32_e64 v10, s2, s5, v10, s2
.LBB168_11:
	s_or_b32 exec_lo, exec_lo, s3
	s_waitcnt lgkmcnt(0)
	v_add_co_u32 v5, s2, s16, v5
	s_delay_alu instid0(VALU_DEP_1)
	v_add_co_ci_u32_e64 v6, s2, s17, v6, s2
	s_load_b128 s[0:3], s[0:1], 0x70
	s_lshl_b32 s4, s14, 5
	v_and_b32_e32 v11, 0x3ff, v0
	global_load_b64 v[5:6], v[5:6], off
	s_ashr_i32 s5, s4, 31
	v_bfe_u32 v13, v0, 10, 10
	s_waitcnt lgkmcnt(0)
	s_mul_i32 s6, s4, s3
	s_mul_hi_u32 s7, s4, s2
	s_mul_i32 s10, s5, s2
	s_add_i32 s7, s7, s6
	s_mul_i32 s6, s4, s2
	s_add_i32 s7, s7, s10
	s_lshl_b64 s[0:1], s[0:1], 3
	s_lshl_b64 s[6:7], s[6:7], 3
	s_delay_alu instid0(SALU_CYCLE_1) | instskip(SKIP_3) | instid1(VALU_DEP_1)
	s_add_u32 s0, s6, s0
	s_addc_u32 s1, s7, s1
	s_waitcnt vmcnt(0)
	v_add_co_u32 v0, s0, s0, v5
	v_add_co_ci_u32_e64 v12, s0, s1, v6, s0
	s_and_saveexec_b32 s0, vcc_lo
	s_delay_alu instid0(SALU_CYCLE_1)
	s_xor_b32 s0, exec_lo, s0
	s_cbranch_execz .LBB168_15
; %bb.12:
	s_mov_b32 s1, exec_lo
	v_cmpx_eq_u32_e32 0, v13
	s_cbranch_execz .LBB168_14
; %bb.13:
	v_mad_u64_u32 v[1:2], null, v11, s2, 0
	s_delay_alu instid0(VALU_DEP_1) | instskip(NEXT) | instid1(VALU_DEP_1)
	v_mad_u64_u32 v[5:6], null, v11, s3, v[2:3]
	v_mov_b32_e32 v2, v5
	s_delay_alu instid0(VALU_DEP_1) | instskip(NEXT) | instid1(VALU_DEP_1)
	v_lshlrev_b64 v[1:2], 3, v[1:2]
	v_add_co_u32 v0, vcc_lo, v0, v1
	s_delay_alu instid0(VALU_DEP_2)
	v_add_co_ci_u32_e32 v1, vcc_lo, v12, v2, vcc_lo
	global_load_b64 v[5:6], v[0:1], off
	s_waitcnt vmcnt(0)
	v_mul_f64 v[2:3], v[3:4], v[5:6]
	global_store_b64 v[0:1], v[2:3], off
.LBB168_14:
	s_or_b32 exec_lo, exec_lo, s1
                                        ; implicit-def: $vgpr13
                                        ; implicit-def: $vgpr11
                                        ; implicit-def: $vgpr1_vgpr2
                                        ; implicit-def: $vgpr3_vgpr4
                                        ; implicit-def: $vgpr0
                                        ; implicit-def: $vgpr12
                                        ; implicit-def: $vgpr7_vgpr8
                                        ; implicit-def: $vgpr9_vgpr10
.LBB168_15:
	s_and_not1_saveexec_b32 s0, s0
	s_cbranch_execz .LBB168_42
; %bb.16:
	v_mov_b32_e32 v5, 0
	v_mov_b32_e32 v6, 0
	v_cmp_eq_u32_e32 vcc_lo, 0, v13
	s_and_saveexec_b32 s1, vcc_lo
	s_cbranch_execz .LBB168_20
; %bb.17:
	v_mov_b32_e32 v5, 0
	v_mov_b32_e32 v6, 0
	s_mov_b32 s6, exec_lo
	v_cmpx_neq_f64_e32 0, v[3:4]
	s_cbranch_execz .LBB168_19
; %bb.18:
	v_mad_u64_u32 v[5:6], null, v11, s2, 0
	s_delay_alu instid0(VALU_DEP_1) | instskip(NEXT) | instid1(VALU_DEP_1)
	v_mad_u64_u32 v[14:15], null, v11, s3, v[6:7]
	v_mov_b32_e32 v6, v14
	s_delay_alu instid0(VALU_DEP_1) | instskip(NEXT) | instid1(VALU_DEP_1)
	v_lshlrev_b64 v[5:6], 3, v[5:6]
	v_add_co_u32 v5, s0, v0, v5
	s_delay_alu instid0(VALU_DEP_1)
	v_add_co_ci_u32_e64 v6, s0, v12, v6, s0
	global_load_b64 v[5:6], v[5:6], off
	s_waitcnt vmcnt(0)
	v_mul_f64 v[5:6], v[3:4], v[5:6]
.LBB168_19:
	s_or_b32 exec_lo, exec_lo, s6
	v_mad_u64_u32 v[14:15], null, v11, s8, 0
	s_mul_i32 s0, s4, s9
	s_mul_hi_u32 s6, s4, s8
	s_mul_i32 s7, s5, s8
	s_add_i32 s0, s6, s0
	s_mul_i32 s6, s4, s8
	s_add_i32 s7, s0, s7
	s_delay_alu instid0(VALU_DEP_1) | instskip(SKIP_1) | instid1(SALU_CYCLE_1)
	v_mad_u64_u32 v[16:17], null, v11, s9, v[15:16]
	s_lshl_b64 s[6:7], s[6:7], 3
	v_add_co_u32 v9, s0, v9, s6
	s_delay_alu instid0(VALU_DEP_1) | instskip(NEXT) | instid1(VALU_DEP_3)
	v_add_co_ci_u32_e64 v10, s0, s7, v10, s0
	v_mov_b32_e32 v15, v16
	s_delay_alu instid0(VALU_DEP_1) | instskip(NEXT) | instid1(VALU_DEP_1)
	v_lshlrev_b64 v[14:15], 3, v[14:15]
	v_add_co_u32 v9, s0, v9, v14
	v_lshlrev_b32_e32 v14, 3, v11
	s_delay_alu instid0(VALU_DEP_3)
	v_add_co_ci_u32_e64 v10, s0, v10, v15, s0
	flat_load_b64 v[9:10], v[9:10]
	s_waitcnt vmcnt(0) lgkmcnt(0)
	ds_store_b64 v14, v[9:10] offset:10240
.LBB168_20:
	s_or_b32 exec_lo, exec_lo, s1
	v_mad_u64_u32 v[9:10], null, v13, s12, 0
	s_add_u32 s0, s12, 1
	s_addc_u32 s1, s13, 0
	s_mul_i32 s5, s0, s5
	s_mul_hi_u32 s6, s0, s4
	s_mul_i32 s1, s1, s4
	s_add_i32 s5, s6, s5
	s_delay_alu instid0(VALU_DEP_1)
	v_mad_u64_u32 v[14:15], null, v13, s13, v[10:11]
	s_mul_i32 s0, s0, s4
	s_add_i32 s1, s5, s1
	s_lshl_b64 s[4:5], s[12:13], 5
	s_lshl_b64 s[0:1], s[0:1], 3
	v_add_nc_u32_e32 v19, 4, v13
	v_add_co_u32 v7, s0, v7, s0
	s_delay_alu instid0(VALU_DEP_3) | instskip(SKIP_3) | instid1(VALU_DEP_3)
	v_mov_b32_e32 v10, v14
	v_add_co_ci_u32_e64 v8, s0, s1, v8, s0
	v_add_nc_u32_e32 v18, 8, v13
	s_mov_b32 s1, exec_lo
	v_lshlrev_b64 v[14:15], 3, v[9:10]
	v_lshlrev_b32_e32 v9, 3, v11
	v_lshl_add_u32 v10, v13, 5, v11
	s_delay_alu instid0(VALU_DEP_3) | instskip(NEXT) | instid1(VALU_DEP_1)
	v_add_co_u32 v7, s0, v7, v14
	v_add_co_ci_u32_e64 v8, s0, v8, v15, s0
	s_delay_alu instid0(VALU_DEP_3) | instskip(NEXT) | instid1(VALU_DEP_3)
	v_lshlrev_b32_e32 v10, 3, v10
	v_add_co_u32 v7, s0, v7, v9
	s_delay_alu instid0(VALU_DEP_1) | instskip(SKIP_2) | instid1(VALU_DEP_1)
	v_add_co_ci_u32_e64 v8, s0, 0, v8, s0
	flat_load_b64 v[14:15], v[7:8]
	v_add_co_u32 v7, s0, v7, s4
	v_add_co_ci_u32_e64 v8, s0, s5, v8, s0
	s_waitcnt vmcnt(0) lgkmcnt(0)
	ds_store_b64 v10, v[14:15]
	flat_load_b64 v[15:16], v[7:8]
	v_lshlrev_b32_e32 v14, 5, v19
	v_add_co_u32 v7, s0, v7, s4
	s_delay_alu instid0(VALU_DEP_1) | instskip(NEXT) | instid1(VALU_DEP_3)
	v_add_co_ci_u32_e64 v8, s0, s5, v8, s0
	v_add_lshl_u32 v14, v14, v11, 3
	s_waitcnt vmcnt(0) lgkmcnt(0)
	ds_store_b64 v14, v[15:16]
	flat_load_b64 v[16:17], v[7:8]
	v_lshlrev_b32_e32 v15, 5, v18
	v_add_co_u32 v7, s0, v7, s4
	s_delay_alu instid0(VALU_DEP_1) | instskip(NEXT) | instid1(VALU_DEP_3)
	v_add_co_ci_u32_e64 v8, s0, s5, v8, s0
	v_add_lshl_u32 v15, v15, v11, 3
	s_waitcnt vmcnt(0) lgkmcnt(0)
	ds_store_b64 v15, v[16:17]
	flat_load_b64 v[20:21], v[7:8]
	v_add_nc_u32_e32 v17, 12, v13
	s_delay_alu instid0(VALU_DEP_1) | instskip(NEXT) | instid1(VALU_DEP_1)
	v_lshlrev_b32_e32 v16, 5, v17
	v_add_lshl_u32 v16, v16, v11, 3
	s_waitcnt vmcnt(0) lgkmcnt(0)
	ds_store_b64 v16, v[20:21]
	v_cmpx_lt_u32_e32 15, v11
	s_cbranch_execz .LBB168_22
; %bb.21:
	v_add_co_u32 v7, s0, v7, s4
	s_delay_alu instid0(VALU_DEP_1) | instskip(SKIP_1) | instid1(SALU_CYCLE_1)
	v_add_co_ci_u32_e64 v8, s0, s5, v8, s0
	s_lshl_b64 s[6:7], s[12:13], 2
	s_lshl_b64 s[6:7], s[6:7], 3
	flat_load_b64 v[20:21], v[7:8]
	v_add_co_u32 v7, s0, v7, s6
	s_delay_alu instid0(VALU_DEP_1) | instskip(SKIP_4) | instid1(VALU_DEP_1)
	v_add_co_ci_u32_e64 v8, s0, s7, v8, s0
	s_waitcnt vmcnt(0) lgkmcnt(0)
	ds_store_b64 v10, v[20:21] offset:4096
	flat_load_b64 v[20:21], v[7:8]
	v_add_co_u32 v7, s0, v7, s4
	v_add_co_ci_u32_e64 v8, s0, s5, v8, s0
	s_waitcnt vmcnt(0) lgkmcnt(0)
	ds_store_b64 v10, v[20:21] offset:5120
	flat_load_b64 v[20:21], v[7:8]
	v_add_co_u32 v7, s0, v7, s4
	s_delay_alu instid0(VALU_DEP_1)
	v_add_co_ci_u32_e64 v8, s0, s5, v8, s0
	s_waitcnt vmcnt(0) lgkmcnt(0)
	ds_store_b64 v10, v[20:21] offset:6144
	flat_load_b64 v[7:8], v[7:8]
	s_waitcnt vmcnt(0) lgkmcnt(0)
	ds_store_b64 v10, v[7:8] offset:7168
.LBB168_22:
	s_or_b32 exec_lo, exec_lo, s1
	v_lshlrev_b32_e32 v7, 5, v11
	s_mov_b32 s1, exec_lo
	s_waitcnt lgkmcnt(0)
	s_waitcnt_vscnt null, 0x0
	s_barrier
	buffer_gl0_inv
	v_cmpx_lt_u32_e64 v11, v13
	s_cbranch_execz .LBB168_24
; %bb.23:
	v_add_lshl_u32 v8, v7, v13, 3
	ds_load_b64 v[20:21], v8
	s_waitcnt lgkmcnt(0)
	ds_store_b64 v10, v[20:21]
.LBB168_24:
	s_or_b32 exec_lo, exec_lo, s1
	v_sub_nc_u32_e32 v8, v11, v13
	v_add_lshl_u32 v21, v13, v7, 3
	s_mov_b32 s1, exec_lo
	s_delay_alu instid0(VALU_DEP_2) | instskip(NEXT) | instid1(VALU_DEP_1)
	v_sub_nc_u32_e32 v20, 0, v8
	v_max_i32_e32 v20, v8, v20
	s_delay_alu instid0(VALU_DEP_1)
	v_cmpx_gt_u32_e32 4, v20
	s_cbranch_execz .LBB168_26
; %bb.25:
	ds_load_b64 v[22:23], v21 offset:32
	s_waitcnt lgkmcnt(0)
	ds_store_b64 v14, v[22:23]
.LBB168_26:
	s_or_b32 exec_lo, exec_lo, s1
	s_delay_alu instid0(SALU_CYCLE_1)
	s_mov_b32 s1, exec_lo
	v_cmpx_gt_u32_e32 8, v20
	s_cbranch_execz .LBB168_28
; %bb.27:
	ds_load_b64 v[22:23], v21 offset:64
	s_waitcnt lgkmcnt(0)
	ds_store_b64 v15, v[22:23]
.LBB168_28:
	s_or_b32 exec_lo, exec_lo, s1
	s_delay_alu instid0(SALU_CYCLE_1)
	s_mov_b32 s1, exec_lo
	v_cmpx_gt_u32_e32 12, v20
	s_cbranch_execz .LBB168_30
; %bb.29:
	ds_load_b64 v[22:23], v21 offset:96
	s_waitcnt lgkmcnt(0)
	ds_store_b64 v16, v[22:23]
.LBB168_30:
	s_or_b32 exec_lo, exec_lo, s1
	v_add_nc_u32_e32 v8, 16, v13
	s_mov_b32 s1, exec_lo
	s_delay_alu instid0(VALU_DEP_1)
	v_lshlrev_b32_e32 v8, 5, v8
	v_cmpx_gt_u32_e32 16, v20
	s_cbranch_execz .LBB168_32
; %bb.31:
	ds_load_b64 v[21:22], v21 offset:128
	v_add_lshl_u32 v23, v8, v11, 3
	s_waitcnt lgkmcnt(0)
	ds_store_b64 v23, v[21:22]
.LBB168_32:
	s_or_b32 exec_lo, exec_lo, s1
	s_delay_alu instid0(SALU_CYCLE_1)
	s_mov_b32 s1, exec_lo
	v_cmpx_gt_u32_e32 20, v20
	s_cbranch_execz .LBB168_34
; %bb.33:
	v_add_lshl_u32 v19, v19, v7, 3
	ds_load_b64 v[21:22], v19 offset:128
	s_waitcnt lgkmcnt(0)
	ds_store_b64 v10, v[21:22] offset:5120
.LBB168_34:
	s_or_b32 exec_lo, exec_lo, s1
	s_delay_alu instid0(SALU_CYCLE_1)
	s_mov_b32 s1, exec_lo
	v_cmpx_gt_u32_e32 24, v20
	s_cbranch_execz .LBB168_36
; %bb.35:
	v_add_lshl_u32 v18, v18, v7, 3
	ds_load_b64 v[18:19], v18 offset:128
	s_waitcnt lgkmcnt(0)
	ds_store_b64 v10, v[18:19] offset:6144
.LBB168_36:
	s_or_b32 exec_lo, exec_lo, s1
	v_cmp_lt_u32_e64 s0, 27, v20
	v_add_nc_u32_e32 v18, 28, v13
                                        ; implicit-def: $vgpr19
	s_delay_alu instid0(VALU_DEP_2) | instskip(NEXT) | instid1(SALU_CYCLE_1)
	s_and_saveexec_b32 s1, s0
	s_xor_b32 s0, exec_lo, s1
; %bb.37:
	v_add_nc_u32_e32 v18, 28, v13
                                        ; implicit-def: $vgpr17
                                        ; implicit-def: $vgpr7
	s_delay_alu instid0(VALU_DEP_1)
	v_lshl_add_u32 v19, v18, 5, v11
; %bb.38:
	s_and_not1_saveexec_b32 s0, s0
	s_cbranch_execz .LBB168_40
; %bb.39:
	v_add_lshl_u32 v7, v17, v7, 3
	v_lshl_add_u32 v19, v18, 5, v11
	ds_load_b64 v[20:21], v7 offset:128
	v_lshlrev_b32_e32 v7, 3, v19
	s_waitcnt lgkmcnt(0)
	ds_store_b64 v7, v[20:21]
.LBB168_40:
	s_or_b32 exec_lo, exec_lo, s0
	v_lshlrev_b32_e32 v32, 3, v13
	s_waitcnt lgkmcnt(0)
	s_barrier
	buffer_gl0_inv
	v_add_lshl_u32 v8, v8, v11, 3
	v_add_nc_u32_e32 v7, 0x2800, v32
	v_lshlrev_b32_e32 v13, 5, v13
	v_lshlrev_b32_e32 v19, 3, v19
	;; [unrolled: 1-line block ×3, first 2 shown]
	ds_load_2addr_b64 v[20:23], v7 offset1:4
	ds_load_b64 v[24:25], v10
	ds_load_b64 v[26:27], v14
	;; [unrolled: 1-line block ×4, first 2 shown]
	v_add_lshl_u32 v13, v13, v11, 3
	s_waitcnt lgkmcnt(3)
	v_fma_f64 v[14:15], v[24:25], v[20:21], 0
	s_waitcnt lgkmcnt(2)
	s_delay_alu instid0(VALU_DEP_1) | instskip(SKIP_3) | instid1(VALU_DEP_1)
	v_fma_f64 v[20:21], v[26:27], v[22:23], v[14:15]
	ds_load_2addr_b64 v[14:17], v7 offset0:8 offset1:12
	s_waitcnt lgkmcnt(0)
	v_fma_f64 v[14:15], v[28:29], v[14:15], v[20:21]
	v_fma_f64 v[20:21], v[30:31], v[16:17], v[14:15]
	ds_load_2addr_b64 v[14:17], v7 offset0:16 offset1:20
	ds_load_b64 v[7:8], v8
	ds_load_b64 v[22:23], v19
	ds_load_b64 v[24:25], v18 offset:10240
	ds_load_b64 v[26:27], v32 offset:10432
	s_waitcnt lgkmcnt(3)
	v_fma_f64 v[7:8], v[7:8], v[14:15], v[20:21]
	ds_load_2addr_stride64_b64 v[18:21], v13 offset0:10 offset1:12
	s_waitcnt lgkmcnt(0)
	v_fma_f64 v[7:8], v[18:19], v[16:17], v[7:8]
	s_delay_alu instid0(VALU_DEP_1) | instskip(NEXT) | instid1(VALU_DEP_1)
	v_fma_f64 v[7:8], v[20:21], v[26:27], v[7:8]
	v_fma_f64 v[7:8], v[22:23], v[24:25], v[7:8]
	ds_store_b64 v10, v[7:8] offset:8192
	s_waitcnt lgkmcnt(0)
	s_barrier
	buffer_gl0_inv
	s_and_saveexec_b32 s0, vcc_lo
	s_cbranch_execz .LBB168_42
; %bb.41:
	v_add_nc_u32_e32 v15, 0x2000, v9
	v_cmp_neq_f64_e32 vcc_lo, 0, v[3:4]
	v_mad_u64_u32 v[3:4], null, v11, s2, 0
	ds_load_2addr_b64 v[7:10], v15 offset1:32
	s_waitcnt lgkmcnt(0)
	v_add_f64 v[7:8], v[7:8], 0
	s_delay_alu instid0(VALU_DEP_1) | instskip(SKIP_3) | instid1(VALU_DEP_1)
	v_add_f64 v[13:14], v[7:8], v[9:10]
	ds_load_2addr_b64 v[7:10], v15 offset0:64 offset1:96
	s_waitcnt lgkmcnt(0)
	v_add_f64 v[7:8], v[13:14], v[7:8]
	v_add_f64 v[7:8], v[7:8], v[9:10]
	s_delay_alu instid0(VALU_DEP_1) | instskip(SKIP_2) | instid1(VALU_DEP_1)
	v_mul_f64 v[9:10], v[1:2], v[7:8]
	v_fma_f64 v[1:2], v[1:2], v[7:8], v[5:6]
	v_mad_u64_u32 v[5:6], null, v11, s3, v[4:5]
	v_mov_b32_e32 v4, v5
	s_delay_alu instid0(VALU_DEP_1) | instskip(NEXT) | instid1(VALU_DEP_4)
	v_lshlrev_b64 v[3:4], 3, v[3:4]
	v_dual_cndmask_b32 v2, v10, v2 :: v_dual_cndmask_b32 v1, v9, v1
	s_delay_alu instid0(VALU_DEP_2) | instskip(NEXT) | instid1(VALU_DEP_3)
	v_add_co_u32 v3, vcc_lo, v0, v3
	v_add_co_ci_u32_e32 v4, vcc_lo, v12, v4, vcc_lo
	global_store_b64 v[3:4], v[1:2], off
.LBB168_42:
	s_nop 0
	s_sendmsg sendmsg(MSG_DEALLOC_VGPRS)
	s_endpgm
	.section	.rodata,"a",@progbits
	.p2align	6, 0x0
	.amdhsa_kernel _ZL50rocblas_symv_kernel_lower_double_buffered_diagonalILi32ELi4E24rocblas_internal_val_ptrIdEPKPKdPKPdEvbiT1_lT2_lllSA_lllS9_lT3_llli
		.amdhsa_group_segment_fixed_size 10496
		.amdhsa_private_segment_fixed_size 0
		.amdhsa_kernarg_size 140
		.amdhsa_user_sgpr_count 14
		.amdhsa_user_sgpr_dispatch_ptr 0
		.amdhsa_user_sgpr_queue_ptr 0
		.amdhsa_user_sgpr_kernarg_segment_ptr 1
		.amdhsa_user_sgpr_dispatch_id 0
		.amdhsa_user_sgpr_private_segment_size 0
		.amdhsa_wavefront_size32 1
		.amdhsa_uses_dynamic_stack 0
		.amdhsa_enable_private_segment 0
		.amdhsa_system_sgpr_workgroup_id_x 1
		.amdhsa_system_sgpr_workgroup_id_y 0
		.amdhsa_system_sgpr_workgroup_id_z 1
		.amdhsa_system_sgpr_workgroup_info 0
		.amdhsa_system_vgpr_workitem_id 1
		.amdhsa_next_free_vgpr 33
		.amdhsa_next_free_sgpr 22
		.amdhsa_reserve_vcc 1
		.amdhsa_float_round_mode_32 0
		.amdhsa_float_round_mode_16_64 0
		.amdhsa_float_denorm_mode_32 3
		.amdhsa_float_denorm_mode_16_64 3
		.amdhsa_dx10_clamp 1
		.amdhsa_ieee_mode 1
		.amdhsa_fp16_overflow 0
		.amdhsa_workgroup_processor_mode 1
		.amdhsa_memory_ordered 1
		.amdhsa_forward_progress 0
		.amdhsa_shared_vgpr_count 0
		.amdhsa_exception_fp_ieee_invalid_op 0
		.amdhsa_exception_fp_denorm_src 0
		.amdhsa_exception_fp_ieee_div_zero 0
		.amdhsa_exception_fp_ieee_overflow 0
		.amdhsa_exception_fp_ieee_underflow 0
		.amdhsa_exception_fp_ieee_inexact 0
		.amdhsa_exception_int_div_zero 0
	.end_amdhsa_kernel
	.section	.text._ZL50rocblas_symv_kernel_lower_double_buffered_diagonalILi32ELi4E24rocblas_internal_val_ptrIdEPKPKdPKPdEvbiT1_lT2_lllSA_lllS9_lT3_llli,"axG",@progbits,_ZL50rocblas_symv_kernel_lower_double_buffered_diagonalILi32ELi4E24rocblas_internal_val_ptrIdEPKPKdPKPdEvbiT1_lT2_lllSA_lllS9_lT3_llli,comdat
.Lfunc_end168:
	.size	_ZL50rocblas_symv_kernel_lower_double_buffered_diagonalILi32ELi4E24rocblas_internal_val_ptrIdEPKPKdPKPdEvbiT1_lT2_lllSA_lllS9_lT3_llli, .Lfunc_end168-_ZL50rocblas_symv_kernel_lower_double_buffered_diagonalILi32ELi4E24rocblas_internal_val_ptrIdEPKPKdPKPdEvbiT1_lT2_lllSA_lllS9_lT3_llli
                                        ; -- End function
	.section	.AMDGPU.csdata,"",@progbits
; Kernel info:
; codeLenInByte = 2400
; NumSgprs: 24
; NumVgprs: 33
; ScratchSize: 0
; MemoryBound: 0
; FloatMode: 240
; IeeeMode: 1
; LDSByteSize: 10496 bytes/workgroup (compile time only)
; SGPRBlocks: 2
; VGPRBlocks: 4
; NumSGPRsForWavesPerEU: 24
; NumVGPRsForWavesPerEU: 33
; Occupancy: 12
; WaveLimiterHint : 1
; COMPUTE_PGM_RSRC2:SCRATCH_EN: 0
; COMPUTE_PGM_RSRC2:USER_SGPR: 14
; COMPUTE_PGM_RSRC2:TRAP_HANDLER: 0
; COMPUTE_PGM_RSRC2:TGID_X_EN: 1
; COMPUTE_PGM_RSRC2:TGID_Y_EN: 0
; COMPUTE_PGM_RSRC2:TGID_Z_EN: 1
; COMPUTE_PGM_RSRC2:TIDIG_COMP_CNT: 1
	.section	.text._ZL54rocblas_symv_kernel_lower_double_buffered_non_diagonalILi32ELi4ELi4E24rocblas_internal_val_ptrIdEPKPKdPKPdEvbiT2_lT3_lllSA_lllT4_llli,"axG",@progbits,_ZL54rocblas_symv_kernel_lower_double_buffered_non_diagonalILi32ELi4ELi4E24rocblas_internal_val_ptrIdEPKPKdPKPdEvbiT2_lT3_lllSA_lllT4_llli,comdat
	.globl	_ZL54rocblas_symv_kernel_lower_double_buffered_non_diagonalILi32ELi4ELi4E24rocblas_internal_val_ptrIdEPKPKdPKPdEvbiT2_lT3_lllSA_lllT4_llli ; -- Begin function _ZL54rocblas_symv_kernel_lower_double_buffered_non_diagonalILi32ELi4ELi4E24rocblas_internal_val_ptrIdEPKPKdPKPdEvbiT2_lT3_lllSA_lllT4_llli
	.p2align	8
	.type	_ZL54rocblas_symv_kernel_lower_double_buffered_non_diagonalILi32ELi4ELi4E24rocblas_internal_val_ptrIdEPKPKdPKPdEvbiT2_lT3_lllSA_lllT4_llli,@function
_ZL54rocblas_symv_kernel_lower_double_buffered_non_diagonalILi32ELi4ELi4E24rocblas_internal_val_ptrIdEPKPKdPKPdEvbiT2_lT3_lllSA_lllT4_llli: ; @_ZL54rocblas_symv_kernel_lower_double_buffered_non_diagonalILi32ELi4ELi4E24rocblas_internal_val_ptrIdEPKPKdPKPdEvbiT2_lT3_lllSA_lllT4_llli
; %bb.0:
	s_clause 0x2
	s_load_b32 s2, s[0:1], 0x0
	s_load_b256 s[4:11], s[0:1], 0x8
	s_load_b64 s[16:17], s[0:1], 0x28
	s_mov_b32 s20, s15
	s_waitcnt lgkmcnt(0)
	s_bitcmp1_b32 s2, 0
	v_dual_mov_b32 v9, s5 :: v_dual_mov_b32 v8, s4
	s_cselect_b32 s2, -1, 0
	s_delay_alu instid0(SALU_CYCLE_1)
	s_and_b32 vcc_lo, exec_lo, s2
	s_cbranch_vccnz .LBB169_2
; %bb.1:
	s_mul_i32 s2, s20, s7
	s_mul_hi_u32 s3, s20, s6
	s_delay_alu instid0(SALU_CYCLE_1) | instskip(SKIP_1) | instid1(SALU_CYCLE_1)
	s_add_i32 s3, s3, s2
	s_mul_i32 s2, s20, s6
	s_lshl_b64 s[2:3], s[2:3], 3
	s_delay_alu instid0(SALU_CYCLE_1) | instskip(SKIP_1) | instid1(SALU_CYCLE_1)
	s_add_u32 s2, s4, s2
	s_addc_u32 s3, s5, s3
	v_dual_mov_b32 v1, s2 :: v_dual_mov_b32 v2, s3
	flat_load_b64 v[8:9], v[1:2]
.LBB169_2:
	s_mov_b32 s2, exec_lo
	s_waitcnt vmcnt(0) lgkmcnt(0)
	v_cmpx_neq_f64_e32 0, v[8:9]
	s_cbranch_execz .LBB169_22
; %bb.3:
	s_load_b64 s[2:3], s[0:1], 0x80
	s_waitcnt lgkmcnt(0)
	v_cvt_f32_u32_e32 v1, s3
	s_add_i32 s5, s2, -1
	s_delay_alu instid0(SALU_CYCLE_1) | instskip(NEXT) | instid1(VALU_DEP_1)
	s_cmp_eq_u32 s13, s5
	v_rcp_iflag_f32_e32 v1, v1
	s_waitcnt_depctr 0xfff
	v_mul_f32_e32 v1, 0x4f7ffffe, v1
	s_delay_alu instid0(VALU_DEP_1) | instskip(NEXT) | instid1(VALU_DEP_1)
	v_cvt_u32_f32_e32 v1, v1
	v_readfirstlane_b32 s4, v1
	s_cbranch_scc1 .LBB169_22
; %bb.4:
	s_clause 0x1
	s_load_b128 s[24:27], s[0:1], 0x38
	s_load_b64 s[6:7], s[0:1], 0x58
	s_sub_i32 s12, 0, s3
	s_not_b32 s5, s13
	s_mul_i32 s15, s12, s4
	s_mov_b32 s21, 0
	s_add_i32 s12, s2, s5
	s_mul_hi_u32 s2, s4, s15
	s_lshl_b64 s[20:21], s[20:21], 3
	s_add_i32 s2, s4, s2
	s_add_u32 s4, s8, s20
	s_addc_u32 s5, s9, s21
	s_load_b64 s[18:19], s[0:1], 0x48
	v_bfe_u32 v1, v0, 10, 10
	v_and_b32_e32 v65, 0x3ff, v0
	s_delay_alu instid0(VALU_DEP_2)
	v_cmp_eq_u32_e32 vcc_lo, 0, v1
	s_waitcnt lgkmcnt(0)
	s_add_u32 s8, s24, s20
	s_addc_u32 s9, s25, s21
	s_add_u32 s6, s6, s20
	s_load_b64 s[8:9], s[8:9], 0x0
	s_addc_u32 s7, s7, s21
	s_lshl_b64 s[20:21], s[26:27], 3
	s_waitcnt lgkmcnt(0)
	s_add_u32 s15, s8, s20
	s_addc_u32 s20, s9, s21
	s_lshl_b32 s21, s13, 5
	s_delay_alu instid0(SALU_CYCLE_1)
	s_mul_i32 s8, s21, s19
	s_mul_hi_u32 s9, s21, s18
	s_ashr_i32 s22, s21, 31
	s_add_i32 s9, s9, s8
	s_mul_i32 s13, s22, s18
	s_mul_i32 s8, s21, s18
	s_add_i32 s9, s9, s13
	s_delay_alu instid0(SALU_CYCLE_1)
	s_lshl_b64 s[24:25], s[8:9], 3
	s_mul_hi_u32 s8, s12, s2
	s_add_u32 s15, s15, s24
	s_addc_u32 s20, s20, s25
	s_and_saveexec_b32 s9, vcc_lo
	s_cbranch_execz .LBB169_6
; %bb.5:
	v_mad_u64_u32 v[2:3], null, v65, s18, 0
	s_delay_alu instid0(VALU_DEP_1) | instskip(NEXT) | instid1(VALU_DEP_1)
	v_mov_b32_e32 v0, v3
	v_mad_u64_u32 v[3:4], null, v65, s19, v[0:1]
	v_lshlrev_b32_e32 v0, 3, v65
	s_delay_alu instid0(VALU_DEP_2) | instskip(NEXT) | instid1(VALU_DEP_1)
	v_lshlrev_b64 v[2:3], 3, v[2:3]
	v_add_co_u32 v2, s2, s15, v2
	s_delay_alu instid0(VALU_DEP_1)
	v_add_co_ci_u32_e64 v3, s2, s20, v3, s2
	global_load_b64 v[2:3], v[2:3], off
	s_waitcnt vmcnt(0)
	ds_store_b64 v0, v[2:3] offset:6144
.LBB169_6:
	s_or_b32 exec_lo, exec_lo, s9
	s_mul_i32 s2, s8, s3
	s_add_i32 s9, s8, 1
	s_sub_i32 s2, s12, s2
	s_delay_alu instid0(SALU_CYCLE_1)
	s_sub_i32 s13, s2, s3
	s_cmp_ge_u32 s2, s3
	s_cselect_b32 s8, s9, s8
	s_cselect_b32 s2, s13, s2
	s_add_i32 s9, s8, 1
	s_cmp_ge_u32 s2, s3
	s_cselect_b32 s8, s9, s8
	s_add_i32 s2, s3, -1
	s_mov_b32 s13, s8
	s_cmp_lg_u32 s14, s2
	s_cbranch_scc1 .LBB169_8
; %bb.7:
	s_mul_i32 s2, s8, s3
	s_delay_alu instid0(SALU_CYCLE_1) | instskip(NEXT) | instid1(SALU_CYCLE_1)
	s_sub_i32 s2, s12, s2
	s_add_i32 s13, s2, s8
.LBB169_8:
	s_delay_alu instid0(SALU_CYCLE_1)
	s_cmp_eq_u32 s13, 0
	s_cbranch_scc1 .LBB169_22
; %bb.9:
	s_load_b128 s[0:3], s[0:1], 0x60
	s_load_b64 s[6:7], s[6:7], 0x0
	v_dual_mov_b32 v13, 0 :: v_dual_and_b32 v10, 15, v65
	v_lshl_add_u32 v0, v1, 5, v65
	v_mov_b32_e32 v14, 0
	s_waitcnt lgkmcnt(0)
	s_barrier
	buffer_gl0_inv
	v_lshrrev_b32_e32 v66, 4, v0
	v_dual_mov_b32 v16, v14 :: v_dual_mov_b32 v15, v13
	v_dual_mov_b32 v26, v14 :: v_dual_mov_b32 v25, v13
	;; [unrolled: 1-line block ×3, first 2 shown]
	s_lshl_b64 s[0:1], s[0:1], 3
	s_mul_i32 s9, s21, s3
	s_mul_hi_u32 s12, s21, s2
	s_add_u32 s24, s6, s0
	s_mul_i32 s23, s22, s2
	s_addc_u32 s25, s7, s1
	s_add_i32 s1, s12, s9
	s_mul_i32 s0, s21, s2
	s_add_i32 s1, s1, s23
	s_delay_alu instid0(SALU_CYCLE_1) | instskip(NEXT) | instid1(SALU_CYCLE_1)
	s_lshl_b64 s[6:7], s[0:1], 3
	s_add_u32 s1, s24, s6
	s_addc_u32 s12, s25, s7
	s_cmp_lt_i32 s13, 1
	s_cbranch_scc1 .LBB169_19
; %bb.10:
	s_load_b64 s[6:7], s[4:5], 0x0
	s_mul_i32 s14, s14, s8
	v_dual_mov_b32 v11, 0 :: v_dual_lshlrev_b32 v4, 2, v66
	s_lshl_b32 s24, s14, 5
	v_or_b32_e32 v15, 16, v10
	s_mul_i32 s0, s24, s3
	s_mul_hi_u32 s4, s24, s2
	s_ashr_i32 s25, s24, 31
	s_add_i32 s0, s4, s0
	s_mul_i32 s4, s25, s2
	s_mul_i32 s8, s24, s2
	s_add_i32 s9, s0, s4
	s_lshl_b64 s[4:5], s[18:19], 8
	s_lshl_b64 s[8:9], s[8:9], 3
	v_mad_u64_u32 v[0:1], null, v4, s16, v[10:11]
	s_add_u32 s8, s1, s8
	s_addc_u32 s9, s12, s9
	s_lshl_b64 s[10:11], s[10:11], 3
	v_lshl_add_u32 v69, v65, 3, 0x1000
	s_waitcnt lgkmcnt(0)
	s_add_u32 s0, s6, s10
	s_addc_u32 s10, s7, s11
	s_add_u32 s6, s16, 1
	s_addc_u32 s14, s17, 0
	s_mul_i32 s7, s6, s22
	s_mul_hi_u32 s11, s6, s21
	s_mul_i32 s14, s14, s21
	s_add_i32 s7, s11, s7
	v_mad_u64_u32 v[2:3], null, v4, s17, v[1:2]
	s_mul_i32 s6, s6, s21
	s_add_i32 s7, s7, s14
	s_mul_hi_u32 s11, s24, s18
	s_lshl_b64 s[6:7], s[6:7], 3
	v_mov_b32_e32 v30, s9
	s_add_u32 s0, s0, s6
	s_addc_u32 s10, s10, s7
	s_lshl_b64 s[6:7], s[24:25], 3
	v_mov_b32_e32 v1, v2
	s_add_u32 s0, s0, s6
	s_mul_i32 s6, s24, s19
	s_addc_u32 s21, s10, s7
	s_add_i32 s6, s11, s6
	s_mul_i32 s7, s25, s18
	v_lshlrev_b64 v[11:12], 3, v[0:1]
	s_add_i32 s7, s6, s7
	s_mul_i32 s6, s24, s18
	s_delay_alu instid0(SALU_CYCLE_1) | instskip(NEXT) | instid1(SALU_CYCLE_1)
	s_lshl_b64 s[6:7], s[6:7], 3
	s_add_u32 s10, s15, s6
	s_addc_u32 s11, s20, s7
	s_add_u32 s14, s0, 0x100
	v_add_co_u32 v0, s0, s0, v11
	s_delay_alu instid0(VALU_DEP_1) | instskip(SKIP_4) | instid1(VALU_DEP_1)
	v_add_co_ci_u32_e64 v1, s0, s21, v12, s0
	s_addc_u32 s15, s21, 0
	s_lshl_b64 s[6:7], s[16:17], 3
	s_add_i32 s16, s13, -1
	v_add_co_u32 v2, s0, v0, s6
	v_add_co_ci_u32_e64 v3, s0, s7, v1, s0
	s_mov_b32 s17, 0
	s_delay_alu instid0(VALU_DEP_2) | instskip(NEXT) | instid1(VALU_DEP_1)
	v_add_co_u32 v4, s0, v2, s6
	v_add_co_ci_u32_e64 v5, s0, s7, v3, s0
	s_delay_alu instid0(VALU_DEP_2) | instskip(NEXT) | instid1(VALU_DEP_1)
	v_add_co_u32 v6, s0, v4, s6
	v_add_co_ci_u32_e64 v7, s0, s7, v5, s0
	global_load_b64 v[19:20], v[0:1], off offset:256
	global_load_b64 v[21:22], v[2:3], off offset:256
	;; [unrolled: 1-line block ×4, first 2 shown]
	v_mad_u64_u32 v[0:1], null, v10, s18, 0
	v_mad_u64_u32 v[2:3], null, v15, s18, 0
	v_mad_u64_u32 v[4:5], null, v65, s2, 0
	v_mov_b32_e32 v17, 0
	v_dual_mov_b32 v18, 0 :: v_dual_mov_b32 v29, s8
	s_lshl_b64 s[8:9], s[2:3], 8
	s_delay_alu instid0(VALU_DEP_4) | instskip(NEXT) | instid1(VALU_DEP_4)
	v_mad_u64_u32 v[6:7], null, v10, s19, v[1:2]
	v_mov_b32_e32 v1, v5
	v_lshlrev_b32_e32 v7, 5, v66
	v_mad_u64_u32 v[13:14], null, v15, s19, v[3:4]
	v_mov_b32_e32 v26, v18
	s_delay_alu instid0(VALU_DEP_4) | instskip(NEXT) | instid1(VALU_DEP_4)
	v_mad_u64_u32 v[14:15], null, v65, s3, v[1:2]
	v_or_b32_e32 v5, v7, v10
	v_mov_b32_e32 v1, v6
	v_mov_b32_e32 v15, v17
	v_dual_mov_b32 v3, v13 :: v_dual_add_nc_u32 v68, 0x1800, v7
	s_delay_alu instid0(VALU_DEP_4) | instskip(SKIP_2) | instid1(VALU_DEP_4)
	v_lshl_add_u32 v67, v5, 3, 0x1000
	v_mov_b32_e32 v5, v14
	v_mov_b32_e32 v13, v17
	v_lshlrev_b64 v[33:34], 3, v[2:3]
	v_dual_mov_b32 v25, v17 :: v_dual_mov_b32 v14, v18
	v_mov_b32_e32 v16, v18
	s_waitcnt vmcnt(3)
	v_mov_b32_e32 v38, v20
	v_lshlrev_b64 v[31:32], 3, v[0:1]
	s_waitcnt vmcnt(2)
	v_mov_b32_e32 v40, v22
	s_waitcnt vmcnt(1)
	v_mov_b32_e32 v42, v24
	v_lshlrev_b64 v[35:36], 3, v[4:5]
	s_waitcnt vmcnt(0)
	v_dual_mov_b32 v44, v28 :: v_dual_mov_b32 v37, v19
	v_mov_b32_e32 v39, v21
	v_mov_b32_e32 v41, v23
	;; [unrolled: 1-line block ×3, first 2 shown]
.LBB169_11:                             ; =>This Loop Header: Depth=1
                                        ;     Child Loop BB169_15 Depth 2
	v_add_co_u32 v57, s0, s14, v11
	s_delay_alu instid0(VALU_DEP_1) | instskip(SKIP_1) | instid1(VALU_DEP_2)
	v_add_co_ci_u32_e64 v58, s0, s15, v12, s0
	s_add_u32 s10, s10, s4
	v_add_co_u32 v59, s0, v57, s6
	s_delay_alu instid0(VALU_DEP_1) | instskip(SKIP_2) | instid1(VALU_DEP_1)
	v_add_co_ci_u32_e64 v60, s0, s7, v58, s0
	s_addc_u32 s11, s11, s5
	v_add_co_u32 v0, s0, s10, v31
	v_add_co_ci_u32_e64 v1, s0, s11, v32, s0
	v_add_co_u32 v61, s0, v59, s6
	s_delay_alu instid0(VALU_DEP_1) | instskip(SKIP_1) | instid1(VALU_DEP_1)
	v_add_co_ci_u32_e64 v62, s0, s7, v60, s0
	v_add_co_u32 v2, s0, s10, v33
	v_add_co_ci_u32_e64 v3, s0, s11, v34, s0
	s_delay_alu instid0(VALU_DEP_4) | instskip(NEXT) | instid1(VALU_DEP_1)
	v_add_co_u32 v63, s0, v61, s6
	v_add_co_ci_u32_e64 v64, s0, s7, v62, s0
	s_clause 0x1
	global_load_b64 v[47:48], v[0:1], off
	global_load_b64 v[45:46], v[2:3], off
	s_clause 0x3
	global_load_b64 v[49:50], v[57:58], off offset:128
	global_load_b64 v[51:52], v[59:60], off offset:128
	;; [unrolled: 1-line block ×4, first 2 shown]
	ds_load_b128 v[4:7], v68
	ds_load_b128 v[0:3], v68 offset:16
	s_cmp_eq_u32 s17, s16
	s_cbranch_scc1 .LBB169_13
; %bb.12:                               ;   in Loop: Header=BB169_11 Depth=1
	s_clause 0x3
	global_load_b64 v[37:38], v[57:58], off offset:256
	global_load_b64 v[39:40], v[59:60], off offset:256
	;; [unrolled: 1-line block ×4, first 2 shown]
.LBB169_13:                             ;   in Loop: Header=BB169_11 Depth=1
	s_waitcnt lgkmcnt(1)
	v_fma_f64 v[57:58], v[19:20], v[4:5], 0
	s_waitcnt vmcnt(3)
	v_fma_f64 v[4:5], v[49:50], v[4:5], 0
	s_waitcnt vmcnt(0) lgkmcnt(0)
	s_barrier
	buffer_gl0_inv
	v_fma_f64 v[57:58], v[21:22], v[6:7], v[57:58]
	v_fma_f64 v[4:5], v[51:52], v[6:7], v[4:5]
	s_delay_alu instid0(VALU_DEP_2) | instskip(NEXT) | instid1(VALU_DEP_2)
	v_fma_f64 v[6:7], v[23:24], v[0:1], v[57:58]
	v_fma_f64 v[0:1], v[53:54], v[0:1], v[4:5]
	s_delay_alu instid0(VALU_DEP_2) | instskip(NEXT) | instid1(VALU_DEP_2)
	v_fma_f64 v[4:5], v[27:28], v[2:3], v[6:7]
	v_fma_f64 v[0:1], v[55:56], v[2:3], v[0:1]
	ds_store_2addr_b64 v67, v[4:5], v[0:1] offset1:16
	s_waitcnt lgkmcnt(0)
	s_barrier
	buffer_gl0_inv
	s_and_saveexec_b32 s18, vcc_lo
	s_cbranch_execz .LBB169_17
; %bb.14:                               ;   in Loop: Header=BB169_11 Depth=1
	ds_load_2addr_b64 v[4:7], v69 offset1:32
	v_add_co_u32 v29, s0, v29, s8
	s_delay_alu instid0(VALU_DEP_1)
	v_add_co_ci_u32_e64 v30, s0, s9, v30, s0
	ds_load_2addr_b64 v[57:60], v69 offset0:64 offset1:96
	s_mov_b32 s19, 0
	s_waitcnt lgkmcnt(1)
	v_add_f64 v[0:1], v[4:5], 0
	v_add_co_u32 v4, s0, v29, v35
	s_delay_alu instid0(VALU_DEP_1) | instskip(SKIP_3) | instid1(VALU_DEP_1)
	v_add_co_ci_u32_e64 v5, s0, v30, v36, s0
	global_load_b64 v[2:3], v[4:5], off
	v_add_f64 v[0:1], v[0:1], v[6:7]
	s_waitcnt lgkmcnt(0)
	v_add_f64 v[0:1], v[0:1], v[57:58]
	s_delay_alu instid0(VALU_DEP_1) | instskip(SKIP_3) | instid1(VALU_DEP_1)
	v_add_f64 v[0:1], v[0:1], v[59:60]
	ds_load_2addr_b64 v[57:60], v69 offset0:128 offset1:160
	s_waitcnt lgkmcnt(0)
	v_add_f64 v[0:1], v[0:1], v[57:58]
	v_add_f64 v[0:1], v[0:1], v[59:60]
	ds_load_2addr_b64 v[57:60], v69 offset0:192 offset1:224
	s_waitcnt lgkmcnt(0)
	v_add_f64 v[0:1], v[0:1], v[57:58]
	s_delay_alu instid0(VALU_DEP_1) | instskip(NEXT) | instid1(VALU_DEP_1)
	v_add_f64 v[0:1], v[0:1], v[59:60]
	v_mul_f64 v[6:7], v[8:9], v[0:1]
.LBB169_15:                             ;   Parent Loop BB169_11 Depth=1
                                        ; =>  This Inner Loop Header: Depth=2
	s_waitcnt vmcnt(0)
	s_delay_alu instid0(VALU_DEP_1) | instskip(SKIP_4) | instid1(VALU_DEP_2)
	v_add_f64 v[0:1], v[2:3], v[6:7]
	global_atomic_cmpswap_b64 v[0:1], v[4:5], v[0:3], off glc
	s_waitcnt vmcnt(0)
	v_cmp_eq_u64_e64 s0, v[0:1], v[2:3]
	v_dual_mov_b32 v3, v1 :: v_dual_mov_b32 v2, v0
	s_or_b32 s19, s0, s19
	s_delay_alu instid0(SALU_CYCLE_1)
	s_and_not1_b32 exec_lo, exec_lo, s19
	s_cbranch_execnz .LBB169_15
; %bb.16:                               ;   in Loop: Header=BB169_11 Depth=1
	s_or_b32 exec_lo, exec_lo, s19
.LBB169_17:                             ;   in Loop: Header=BB169_11 Depth=1
	s_delay_alu instid0(SALU_CYCLE_1)
	s_or_b32 exec_lo, exec_lo, s18
	v_fma_f64 v[0:1], v[47:48], v[19:20], v[17:18]
	v_fma_f64 v[2:3], v[47:48], v[21:22], v[25:26]
	;; [unrolled: 1-line block ×4, first 2 shown]
	s_add_u32 s14, s14, 0x100
	s_addc_u32 s15, s15, 0
	s_add_i32 s17, s17, 1
	s_delay_alu instid0(SALU_CYCLE_1) | instskip(NEXT) | instid1(VALU_DEP_4)
	s_cmp_eq_u32 s17, s13
	v_fma_f64 v[17:18], v[45:46], v[49:50], v[0:1]
	s_delay_alu instid0(VALU_DEP_4) | instskip(NEXT) | instid1(VALU_DEP_4)
	v_fma_f64 v[25:26], v[45:46], v[51:52], v[2:3]
	v_fma_f64 v[15:16], v[45:46], v[53:54], v[4:5]
	s_delay_alu instid0(VALU_DEP_4)
	v_fma_f64 v[13:14], v[45:46], v[55:56], v[6:7]
	s_cbranch_scc1 .LBB169_19
; %bb.18:                               ;   in Loop: Header=BB169_11 Depth=1
	v_dual_mov_b32 v19, v37 :: v_dual_mov_b32 v20, v38
	v_dual_mov_b32 v21, v39 :: v_dual_mov_b32 v22, v40
	;; [unrolled: 1-line block ×4, first 2 shown]
	s_branch .LBB169_11
.LBB169_19:
	v_lshlrev_b32_e32 v0, 3, v10
	s_delay_alu instid0(VALU_DEP_1)
	v_lshl_or_b32 v0, v66, 9, v0
	ds_store_2addr_b64 v0, v[17:18], v[25:26] offset1:16
	ds_store_2addr_b64 v0, v[15:16], v[13:14] offset0:32 offset1:48
	s_waitcnt lgkmcnt(0)
	s_barrier
	buffer_gl0_inv
	s_and_b32 exec_lo, exec_lo, vcc_lo
	s_cbranch_execz .LBB169_22
; %bb.20:
	v_lshlrev_b32_e32 v16, 4, v65
	v_add_nc_u32_e32 v2, 1, v65
	v_add_nc_u32_e32 v3, 2, v65
	;; [unrolled: 1-line block ×3, first 2 shown]
	s_mov_b32 s0, 0
	v_or_b32_e32 v12, v10, v16
	v_and_or_b32 v2, v2, 15, v16
	v_and_or_b32 v3, v3, 15, v16
	;; [unrolled: 1-line block ×3, first 2 shown]
	s_delay_alu instid0(VALU_DEP_4) | instskip(NEXT) | instid1(VALU_DEP_4)
	v_lshlrev_b32_e32 v0, 3, v12
	v_lshlrev_b32_e32 v2, 3, v2
	s_delay_alu instid0(VALU_DEP_4) | instskip(NEXT) | instid1(VALU_DEP_4)
	v_lshlrev_b32_e32 v5, 3, v3
	v_lshlrev_b32_e32 v6, 3, v4
	ds_load_b64 v[0:1], v0
	ds_load_b64 v[2:3], v2
	;; [unrolled: 1-line block ×4, first 2 shown]
	s_waitcnt lgkmcnt(3)
	v_add_f64 v[0:1], v[0:1], 0
	s_waitcnt lgkmcnt(2)
	s_delay_alu instid0(VALU_DEP_1) | instskip(SKIP_1) | instid1(VALU_DEP_1)
	v_add_f64 v[0:1], v[0:1], v[2:3]
	v_add_nc_u32_e32 v2, 4, v65
	v_and_or_b32 v2, v2, 15, v16
	s_delay_alu instid0(VALU_DEP_1)
	v_lshlrev_b32_e32 v2, 3, v2
	ds_load_b64 v[2:3], v2
	s_waitcnt lgkmcnt(2)
	v_add_f64 v[0:1], v[0:1], v[4:5]
	v_add_nc_u32_e32 v4, 5, v65
	v_add_nc_u32_e32 v5, 6, v65
	s_delay_alu instid0(VALU_DEP_2) | instskip(NEXT) | instid1(VALU_DEP_2)
	v_and_or_b32 v4, v4, 15, v16
	v_and_or_b32 v5, v5, 15, v16
	s_delay_alu instid0(VALU_DEP_2) | instskip(SKIP_4) | instid1(VALU_DEP_2)
	v_lshlrev_b32_e32 v4, 3, v4
	s_waitcnt lgkmcnt(1)
	v_add_f64 v[0:1], v[0:1], v[6:7]
	v_add_nc_u32_e32 v6, 7, v65
	v_lshlrev_b32_e32 v7, 3, v5
	v_and_or_b32 v6, v6, 15, v16
	s_delay_alu instid0(VALU_DEP_1)
	v_lshlrev_b32_e32 v10, 3, v6
	ds_load_b64 v[4:5], v4
	ds_load_b64 v[6:7], v7
	;; [unrolled: 1-line block ×3, first 2 shown]
	s_waitcnt lgkmcnt(3)
	v_add_f64 v[0:1], v[0:1], v[2:3]
	v_xor_b32_e32 v2, 8, v12
	s_delay_alu instid0(VALU_DEP_1)
	v_lshlrev_b32_e32 v2, 3, v2
	ds_load_b64 v[2:3], v2
	s_waitcnt lgkmcnt(3)
	v_add_f64 v[0:1], v[0:1], v[4:5]
	v_mad_u64_u32 v[4:5], null, v65, s2, 0
	s_waitcnt lgkmcnt(2)
	s_delay_alu instid0(VALU_DEP_2) | instskip(SKIP_2) | instid1(VALU_DEP_2)
	v_add_f64 v[0:1], v[0:1], v[6:7]
	v_add_nc_u32_e32 v6, 9, v65
	v_add_nc_u32_e32 v7, 10, v65
	v_and_or_b32 v6, v6, 15, v16
	s_delay_alu instid0(VALU_DEP_2) | instskip(NEXT) | instid1(VALU_DEP_1)
	v_and_or_b32 v7, v7, 15, v16
	v_lshlrev_b32_e32 v12, 3, v7
	s_waitcnt lgkmcnt(1)
	v_add_f64 v[0:1], v[0:1], v[10:11]
	v_lshlrev_b32_e32 v11, 3, v6
	v_mad_u64_u32 v[6:7], null, v65, s3, v[5:6]
	s_delay_alu instid0(VALU_DEP_1) | instskip(NEXT) | instid1(VALU_DEP_1)
	v_dual_mov_b32 v5, v6 :: v_dual_add_nc_u32 v10, 11, v65
	v_and_or_b32 v10, v10, 15, v16
	v_add_nc_u32_e32 v6, 12, v65
	s_delay_alu instid0(VALU_DEP_2) | instskip(SKIP_4) | instid1(VALU_DEP_1)
	v_lshlrev_b32_e32 v14, 3, v10
	ds_load_b64 v[10:11], v11
	ds_load_b64 v[12:13], v12
	;; [unrolled: 1-line block ×3, first 2 shown]
	v_and_or_b32 v6, v6, 15, v16
	v_lshlrev_b32_e32 v6, 3, v6
	ds_load_b64 v[6:7], v6
	s_waitcnt lgkmcnt(4)
	v_add_f64 v[0:1], v[0:1], v[2:3]
	v_lshlrev_b64 v[2:3], 3, v[4:5]
	s_delay_alu instid0(VALU_DEP_1) | instskip(NEXT) | instid1(VALU_DEP_2)
	v_add_co_u32 v4, vcc_lo, s1, v2
	v_add_co_ci_u32_e32 v5, vcc_lo, s12, v3, vcc_lo
	global_load_b64 v[2:3], v[4:5], off
	s_waitcnt lgkmcnt(3)
	v_add_f64 v[0:1], v[0:1], v[10:11]
	v_add_nc_u32_e32 v10, 13, v65
	v_add_nc_u32_e32 v11, 14, v65
	s_delay_alu instid0(VALU_DEP_2) | instskip(NEXT) | instid1(VALU_DEP_2)
	v_and_or_b32 v10, v10, 15, v16
	v_and_or_b32 v11, v11, 15, v16
	s_delay_alu instid0(VALU_DEP_2) | instskip(SKIP_4) | instid1(VALU_DEP_2)
	v_lshlrev_b32_e32 v10, 3, v10
	s_waitcnt lgkmcnt(2)
	v_add_f64 v[0:1], v[0:1], v[12:13]
	v_add_nc_u32_e32 v12, -1, v65
	v_lshlrev_b32_e32 v13, 3, v11
	v_and_or_b32 v12, v12, 15, v16
	s_waitcnt lgkmcnt(1)
	s_delay_alu instid0(VALU_DEP_4) | instskip(NEXT) | instid1(VALU_DEP_2)
	v_add_f64 v[0:1], v[0:1], v[14:15]
	v_lshlrev_b32_e32 v14, 3, v12
	ds_load_b64 v[10:11], v10
	ds_load_b64 v[12:13], v13
	;; [unrolled: 1-line block ×3, first 2 shown]
	s_waitcnt lgkmcnt(3)
	v_add_f64 v[0:1], v[0:1], v[6:7]
	s_waitcnt lgkmcnt(2)
	s_delay_alu instid0(VALU_DEP_1) | instskip(SKIP_1) | instid1(VALU_DEP_1)
	v_add_f64 v[0:1], v[0:1], v[10:11]
	s_waitcnt lgkmcnt(1)
	v_add_f64 v[0:1], v[0:1], v[12:13]
	s_waitcnt lgkmcnt(0)
	s_delay_alu instid0(VALU_DEP_1) | instskip(NEXT) | instid1(VALU_DEP_1)
	v_add_f64 v[0:1], v[0:1], v[14:15]
	v_mul_f64 v[6:7], v[8:9], v[0:1]
.LBB169_21:                             ; =>This Inner Loop Header: Depth=1
	s_waitcnt vmcnt(0)
	s_delay_alu instid0(VALU_DEP_1)
	v_add_f64 v[0:1], v[2:3], v[6:7]
	global_atomic_cmpswap_b64 v[0:1], v[4:5], v[0:3], off glc
	s_waitcnt vmcnt(0)
	v_cmp_eq_u64_e32 vcc_lo, v[0:1], v[2:3]
	v_dual_mov_b32 v3, v1 :: v_dual_mov_b32 v2, v0
	s_or_b32 s0, vcc_lo, s0
	s_delay_alu instid0(SALU_CYCLE_1)
	s_and_not1_b32 exec_lo, exec_lo, s0
	s_cbranch_execnz .LBB169_21
.LBB169_22:
	s_endpgm
	.section	.rodata,"a",@progbits
	.p2align	6, 0x0
	.amdhsa_kernel _ZL54rocblas_symv_kernel_lower_double_buffered_non_diagonalILi32ELi4ELi4E24rocblas_internal_val_ptrIdEPKPKdPKPdEvbiT2_lT3_lllSA_lllT4_llli
		.amdhsa_group_segment_fixed_size 6400
		.amdhsa_private_segment_fixed_size 0
		.amdhsa_kernarg_size 384
		.amdhsa_user_sgpr_count 13
		.amdhsa_user_sgpr_dispatch_ptr 0
		.amdhsa_user_sgpr_queue_ptr 0
		.amdhsa_user_sgpr_kernarg_segment_ptr 1
		.amdhsa_user_sgpr_dispatch_id 0
		.amdhsa_user_sgpr_private_segment_size 0
		.amdhsa_wavefront_size32 1
		.amdhsa_uses_dynamic_stack 0
		.amdhsa_enable_private_segment 0
		.amdhsa_system_sgpr_workgroup_id_x 1
		.amdhsa_system_sgpr_workgroup_id_y 1
		.amdhsa_system_sgpr_workgroup_id_z 1
		.amdhsa_system_sgpr_workgroup_info 0
		.amdhsa_system_vgpr_workitem_id 1
		.amdhsa_next_free_vgpr 70
		.amdhsa_next_free_sgpr 28
		.amdhsa_reserve_vcc 1
		.amdhsa_float_round_mode_32 0
		.amdhsa_float_round_mode_16_64 0
		.amdhsa_float_denorm_mode_32 3
		.amdhsa_float_denorm_mode_16_64 3
		.amdhsa_dx10_clamp 1
		.amdhsa_ieee_mode 1
		.amdhsa_fp16_overflow 0
		.amdhsa_workgroup_processor_mode 1
		.amdhsa_memory_ordered 1
		.amdhsa_forward_progress 0
		.amdhsa_shared_vgpr_count 0
		.amdhsa_exception_fp_ieee_invalid_op 0
		.amdhsa_exception_fp_denorm_src 0
		.amdhsa_exception_fp_ieee_div_zero 0
		.amdhsa_exception_fp_ieee_overflow 0
		.amdhsa_exception_fp_ieee_underflow 0
		.amdhsa_exception_fp_ieee_inexact 0
		.amdhsa_exception_int_div_zero 0
	.end_amdhsa_kernel
	.section	.text._ZL54rocblas_symv_kernel_lower_double_buffered_non_diagonalILi32ELi4ELi4E24rocblas_internal_val_ptrIdEPKPKdPKPdEvbiT2_lT3_lllSA_lllT4_llli,"axG",@progbits,_ZL54rocblas_symv_kernel_lower_double_buffered_non_diagonalILi32ELi4ELi4E24rocblas_internal_val_ptrIdEPKPKdPKPdEvbiT2_lT3_lllSA_lllT4_llli,comdat
.Lfunc_end169:
	.size	_ZL54rocblas_symv_kernel_lower_double_buffered_non_diagonalILi32ELi4ELi4E24rocblas_internal_val_ptrIdEPKPKdPKPdEvbiT2_lT3_lllSA_lllT4_llli, .Lfunc_end169-_ZL54rocblas_symv_kernel_lower_double_buffered_non_diagonalILi32ELi4ELi4E24rocblas_internal_val_ptrIdEPKPKdPKPdEvbiT2_lT3_lllSA_lllT4_llli
                                        ; -- End function
	.section	.AMDGPU.csdata,"",@progbits
; Kernel info:
; codeLenInByte = 2844
; NumSgprs: 30
; NumVgprs: 70
; ScratchSize: 0
; MemoryBound: 0
; FloatMode: 240
; IeeeMode: 1
; LDSByteSize: 6400 bytes/workgroup (compile time only)
; SGPRBlocks: 3
; VGPRBlocks: 8
; NumSGPRsForWavesPerEU: 30
; NumVGPRsForWavesPerEU: 70
; Occupancy: 16
; WaveLimiterHint : 1
; COMPUTE_PGM_RSRC2:SCRATCH_EN: 0
; COMPUTE_PGM_RSRC2:USER_SGPR: 13
; COMPUTE_PGM_RSRC2:TRAP_HANDLER: 0
; COMPUTE_PGM_RSRC2:TGID_X_EN: 1
; COMPUTE_PGM_RSRC2:TGID_Y_EN: 1
; COMPUTE_PGM_RSRC2:TGID_Z_EN: 1
; COMPUTE_PGM_RSRC2:TIDIG_COMP_CNT: 1
	.section	.text._ZL58rocblas_symv_kernel_lower_double_buffered_diagonal_genericILi32ELi4E24rocblas_internal_val_ptrIdEPKPKdPKPdEvbiT1_lT2_lllSA_lllS9_lT3_lllii,"axG",@progbits,_ZL58rocblas_symv_kernel_lower_double_buffered_diagonal_genericILi32ELi4E24rocblas_internal_val_ptrIdEPKPKdPKPdEvbiT1_lT2_lllSA_lllS9_lT3_lllii,comdat
	.globl	_ZL58rocblas_symv_kernel_lower_double_buffered_diagonal_genericILi32ELi4E24rocblas_internal_val_ptrIdEPKPKdPKPdEvbiT1_lT2_lllSA_lllS9_lT3_lllii ; -- Begin function _ZL58rocblas_symv_kernel_lower_double_buffered_diagonal_genericILi32ELi4E24rocblas_internal_val_ptrIdEPKPKdPKPdEvbiT1_lT2_lllSA_lllS9_lT3_lllii
	.p2align	8
	.type	_ZL58rocblas_symv_kernel_lower_double_buffered_diagonal_genericILi32ELi4E24rocblas_internal_val_ptrIdEPKPKdPKPdEvbiT1_lT2_lllSA_lllS9_lT3_lllii,@function
_ZL58rocblas_symv_kernel_lower_double_buffered_diagonal_genericILi32ELi4E24rocblas_internal_val_ptrIdEPKPKdPKPdEvbiT1_lT2_lllSA_lllS9_lT3_lllii: ; @_ZL58rocblas_symv_kernel_lower_double_buffered_diagonal_genericILi32ELi4E24rocblas_internal_val_ptrIdEPKPKdPKPdEvbiT1_lT2_lllSA_lllS9_lT3_lllii
; %bb.0:
	s_clause 0x3
	s_load_b32 s2, s[0:1], 0x0
	s_load_b256 s[4:11], s[0:1], 0x8
	s_load_b64 s[12:13], s[0:1], 0x28
	s_load_b128 s[16:19], s[0:1], 0x58
	s_mov_b32 s20, s15
	s_waitcnt lgkmcnt(0)
	s_bitcmp1_b32 s2, 0
	v_dual_mov_b32 v3, s4 :: v_dual_mov_b32 v4, s5
	s_cselect_b32 s2, -1, 0
	s_delay_alu instid0(SALU_CYCLE_1)
	s_and_b32 vcc_lo, exec_lo, s2
	s_xor_b32 s2, s2, -1
	s_cbranch_vccnz .LBB170_2
; %bb.1:
	s_mul_i32 s3, s20, s7
	s_mul_hi_u32 s7, s20, s6
	s_mul_i32 s6, s20, s6
	s_add_i32 s7, s7, s3
	s_delay_alu instid0(SALU_CYCLE_1) | instskip(NEXT) | instid1(SALU_CYCLE_1)
	s_lshl_b64 s[6:7], s[6:7], 3
	s_add_u32 s4, s4, s6
	s_addc_u32 s5, s5, s7
	s_delay_alu instid0(SALU_CYCLE_1)
	v_dual_mov_b32 v1, s4 :: v_dual_mov_b32 v2, s5
	flat_load_b64 v[3:4], v[1:2]
.LBB170_2:
	v_dual_mov_b32 v1, s16 :: v_dual_mov_b32 v2, s17
	s_and_not1_b32 vcc_lo, exec_lo, s2
	s_cbranch_vccnz .LBB170_4
; %bb.3:
	s_mul_i32 s2, s20, s19
	s_mul_hi_u32 s3, s20, s18
	s_delay_alu instid0(SALU_CYCLE_1) | instskip(SKIP_1) | instid1(SALU_CYCLE_1)
	s_add_i32 s3, s3, s2
	s_mul_i32 s2, s20, s18
	s_lshl_b64 s[2:3], s[2:3], 3
	s_delay_alu instid0(SALU_CYCLE_1) | instskip(SKIP_1) | instid1(SALU_CYCLE_1)
	s_add_u32 s2, s16, s2
	s_addc_u32 s3, s17, s3
	v_dual_mov_b32 v1, s2 :: v_dual_mov_b32 v2, s3
	flat_load_b64 v[1:2], v[1:2]
.LBB170_4:
	s_waitcnt vmcnt(0) lgkmcnt(0)
	v_cmp_neq_f64_e32 vcc_lo, 0, v[3:4]
	v_cmp_neq_f64_e64 s2, 1.0, v[1:2]
	s_delay_alu instid0(VALU_DEP_1) | instskip(NEXT) | instid1(SALU_CYCLE_1)
	s_or_b32 s2, vcc_lo, s2
	s_and_saveexec_b32 s3, s2
	s_cbranch_execz .LBB170_78
; %bb.5:
	v_cmp_neq_f64_e64 s2, 0, v[3:4]
	v_cmp_eq_f64_e32 vcc_lo, 0, v[3:4]
                                        ; implicit-def: $sgpr4_sgpr5
	s_and_saveexec_b32 s3, vcc_lo
	s_delay_alu instid0(SALU_CYCLE_1)
	s_xor_b32 s3, exec_lo, s3
; %bb.6:
	s_mov_b32 s21, 0
	s_mov_b64 s[4:5], 0
; %bb.7:
	s_or_saveexec_b32 s3, s3
	s_load_b64 s[16:17], s[0:1], 0x68
	v_dual_mov_b32 v9, s20 :: v_dual_mov_b32 v10, s21
	v_dual_mov_b32 v8, s5 :: v_dual_mov_b32 v7, s4
	s_xor_b32 exec_lo, exec_lo, s3
	s_cbranch_execz .LBB170_9
; %bb.8:
	s_mov_b32 s21, 0
	s_delay_alu instid0(SALU_CYCLE_1) | instskip(SKIP_1) | instid1(SALU_CYCLE_1)
	v_dual_mov_b32 v9, s20 :: v_dual_mov_b32 v10, s21
	s_lshl_b64 s[4:5], s[20:21], 3
	s_add_u32 s4, s8, s4
	s_addc_u32 s5, s9, s5
	s_lshl_b64 s[6:7], s[10:11], 3
	s_load_b64 s[4:5], s[4:5], 0x0
	s_waitcnt lgkmcnt(0)
	s_add_u32 s4, s4, s6
	s_addc_u32 s5, s5, s7
	s_delay_alu instid0(SALU_CYCLE_1)
	v_dual_mov_b32 v8, s5 :: v_dual_mov_b32 v7, s4
.LBB170_9:
	s_or_b32 exec_lo, exec_lo, s3
	s_clause 0x1
	s_load_b128 s[4:7], s[0:1], 0x38
	s_load_b64 s[8:9], s[0:1], 0x48
	v_mov_b32_e32 v5, 0
	v_lshlrev_b64 v[9:10], 3, v[9:10]
	v_mov_b32_e32 v6, 0
	s_and_saveexec_b32 s3, s2
	s_cbranch_execz .LBB170_11
; %bb.10:
	s_waitcnt lgkmcnt(0)
	s_delay_alu instid0(VALU_DEP_2) | instskip(NEXT) | instid1(VALU_DEP_1)
	v_add_co_u32 v5, s2, s4, v9
	v_add_co_ci_u32_e64 v6, s2, s5, v10, s2
	s_lshl_b64 s[4:5], s[6:7], 3
	global_load_b64 v[5:6], v[5:6], off
	s_waitcnt vmcnt(0)
	v_add_co_u32 v5, s2, v5, s4
	s_delay_alu instid0(VALU_DEP_1)
	v_add_co_ci_u32_e64 v6, s2, s5, v6, s2
.LBB170_11:
	s_or_b32 exec_lo, exec_lo, s3
	s_waitcnt lgkmcnt(0)
	v_add_co_u32 v9, s2, s16, v9
	s_delay_alu instid0(VALU_DEP_1)
	v_add_co_ci_u32_e64 v10, s2, s17, v10, s2
	s_lshl_b32 s11, s14, 5
	v_and_b32_e32 v13, 0x3ff, v0
	s_ashr_i32 s15, s11, 31
	global_load_b64 v[9:10], v[9:10], off
	s_clause 0x1
	s_load_b128 s[4:7], s[0:1], 0x70
	s_load_b32 s10, s[0:1], 0x88
	v_bfe_u32 v0, v0, 10, 10
	s_waitcnt lgkmcnt(0)
	s_mul_i32 s2, s11, s7
	s_mul_hi_u32 s3, s11, s6
	s_mul_i32 s16, s15, s6
	s_add_i32 s3, s3, s2
	s_mul_i32 s2, s11, s6
	s_add_i32 s3, s3, s16
	s_lshl_b64 s[4:5], s[4:5], 3
	s_lshl_b64 s[2:3], s[2:3], 3
	s_delay_alu instid0(SALU_CYCLE_1) | instskip(SKIP_3) | instid1(VALU_DEP_1)
	s_add_u32 s2, s2, s4
	s_addc_u32 s3, s3, s5
	s_waitcnt vmcnt(0)
	v_add_co_u32 v14, s2, s2, v9
	v_add_co_ci_u32_e64 v15, s2, s3, v10, s2
	s_and_saveexec_b32 s2, vcc_lo
	s_delay_alu instid0(SALU_CYCLE_1)
	s_xor_b32 s2, exec_lo, s2
	s_cbranch_execz .LBB170_18
; %bb.12:
	s_mov_b32 s3, exec_lo
	v_cmpx_eq_u32_e32 0, v0
	s_cbranch_execz .LBB170_17
; %bb.13:
	v_cmp_gt_i32_e64 s4, s10, v13
	s_mov_b32 s5, exec_lo
	v_cmpx_le_i32_e64 s10, v13
	s_cbranch_execz .LBB170_15
; %bb.14:
	s_load_b32 s16, s[0:1], 0x90
	s_waitcnt lgkmcnt(0)
	s_add_i32 s16, s16, -1
	s_delay_alu instid0(SALU_CYCLE_1) | instskip(SKIP_3) | instid1(SALU_CYCLE_1)
	s_cmp_lt_u32 s14, s16
	s_cselect_b32 s16, -1, 0
	s_and_not1_b32 s4, s4, exec_lo
	s_and_b32 s16, s16, exec_lo
	s_or_b32 s4, s4, s16
.LBB170_15:
	s_or_b32 exec_lo, exec_lo, s5
	s_delay_alu instid0(SALU_CYCLE_1)
	s_and_b32 exec_lo, exec_lo, s4
	s_cbranch_execz .LBB170_17
; %bb.16:
	v_mad_u64_u32 v[3:4], null, v13, s6, 0
	s_delay_alu instid0(VALU_DEP_1) | instskip(NEXT) | instid1(VALU_DEP_1)
	v_mov_b32_e32 v0, v4
	v_mad_u64_u32 v[4:5], null, v13, s7, v[0:1]
	s_delay_alu instid0(VALU_DEP_1) | instskip(NEXT) | instid1(VALU_DEP_1)
	v_lshlrev_b64 v[3:4], 3, v[3:4]
	v_add_co_u32 v3, vcc_lo, v14, v3
	s_delay_alu instid0(VALU_DEP_2)
	v_add_co_ci_u32_e32 v4, vcc_lo, v15, v4, vcc_lo
	global_load_b64 v[5:6], v[3:4], off
	s_waitcnt vmcnt(0)
	v_mul_f64 v[0:1], v[1:2], v[5:6]
	global_store_b64 v[3:4], v[0:1], off
.LBB170_17:
	s_or_b32 exec_lo, exec_lo, s3
                                        ; implicit-def: $vgpr0
                                        ; implicit-def: $vgpr13
                                        ; implicit-def: $vgpr3_vgpr4
                                        ; implicit-def: $vgpr1_vgpr2
                                        ; implicit-def: $vgpr14
                                        ; implicit-def: $vgpr15
                                        ; implicit-def: $vgpr7_vgpr8
                                        ; implicit-def: $vgpr5_vgpr6
.LBB170_18:
	s_and_not1_saveexec_b32 s2, s2
	s_cbranch_execz .LBB170_78
; %bb.19:
	s_load_b32 s2, s[0:1], 0x90
	s_mul_i32 s0, s11, s9
	s_mul_hi_u32 s1, s11, s8
	s_mul_i32 s3, s15, s8
	s_add_i32 s1, s1, s0
	s_mul_i32 s0, s11, s8
	s_add_i32 s1, s1, s3
	s_delay_alu instid0(SALU_CYCLE_1) | instskip(NEXT) | instid1(SALU_CYCLE_1)
	s_lshl_b64 s[0:1], s[0:1], 3
	v_add_co_u32 v9, vcc_lo, v5, s0
	v_add_co_ci_u32_e32 v10, vcc_lo, s1, v6, vcc_lo
	v_cmp_eq_u32_e64 s0, 0, v0
	s_waitcnt lgkmcnt(0)
	s_add_i32 s2, s2, -1
	s_delay_alu instid0(SALU_CYCLE_1) | instskip(SKIP_2) | instid1(SALU_CYCLE_1)
	s_cmp_lg_u32 s14, s2
	s_mov_b32 s2, -1
	s_cselect_b32 s1, -1, 0
	s_and_b32 vcc_lo, exec_lo, s1
	s_cbranch_vccz .LBB170_25
; %bb.20:
	v_mov_b32_e32 v5, 0
	v_mov_b32_e32 v6, 0
	s_and_saveexec_b32 s2, s0
	s_cbranch_execz .LBB170_24
; %bb.21:
	v_mad_u64_u32 v[5:6], null, v13, s8, 0
	v_lshlrev_b32_e32 v16, 3, v13
	s_mov_b32 s3, exec_lo
	s_delay_alu instid0(VALU_DEP_2) | instskip(NEXT) | instid1(VALU_DEP_1)
	v_mad_u64_u32 v[11:12], null, v13, s9, v[6:7]
	v_mov_b32_e32 v6, v11
	s_delay_alu instid0(VALU_DEP_1) | instskip(NEXT) | instid1(VALU_DEP_1)
	v_lshlrev_b64 v[5:6], 3, v[5:6]
	v_add_co_u32 v5, vcc_lo, v9, v5
	s_delay_alu instid0(VALU_DEP_2)
	v_add_co_ci_u32_e32 v6, vcc_lo, v10, v6, vcc_lo
	flat_load_b64 v[11:12], v[5:6]
	v_mov_b32_e32 v5, 0
	v_mov_b32_e32 v6, 0
	s_waitcnt vmcnt(0) lgkmcnt(0)
	ds_store_b64 v16, v[11:12] offset:10240
	v_cmpx_neq_f64_e32 0, v[1:2]
	s_cbranch_execz .LBB170_23
; %bb.22:
	v_mad_u64_u32 v[5:6], null, v13, s6, 0
	s_delay_alu instid0(VALU_DEP_1) | instskip(NEXT) | instid1(VALU_DEP_1)
	v_mad_u64_u32 v[11:12], null, v13, s7, v[6:7]
	v_mov_b32_e32 v6, v11
	s_delay_alu instid0(VALU_DEP_1) | instskip(NEXT) | instid1(VALU_DEP_1)
	v_lshlrev_b64 v[5:6], 3, v[5:6]
	v_add_co_u32 v5, vcc_lo, v14, v5
	s_delay_alu instid0(VALU_DEP_2)
	v_add_co_ci_u32_e32 v6, vcc_lo, v15, v6, vcc_lo
	global_load_b64 v[5:6], v[5:6], off
	s_waitcnt vmcnt(0)
	v_mul_f64 v[5:6], v[1:2], v[5:6]
.LBB170_23:
	s_or_b32 exec_lo, exec_lo, s3
.LBB170_24:
	s_delay_alu instid0(SALU_CYCLE_1)
	s_or_b32 exec_lo, exec_lo, s2
	s_cbranch_execz .LBB170_26
	s_branch .LBB170_35
.LBB170_25:
                                        ; implicit-def: $vgpr5_vgpr6
	s_and_not1_b32 vcc_lo, exec_lo, s2
	s_cbranch_vccnz .LBB170_35
.LBB170_26:
	v_mov_b32_e32 v5, 0
	v_mov_b32_e32 v6, 0
	s_and_saveexec_b32 s4, s0
	s_cbranch_execz .LBB170_34
; %bb.27:
	s_mov_b32 s5, exec_lo
                                        ; implicit-def: $sgpr2_sgpr3
	v_cmpx_le_i32_e64 s10, v13
	s_xor_b32 s5, exec_lo, s5
	s_cbranch_execz .LBB170_29
; %bb.28:
	v_mov_b32_e32 v5, 0
	v_lshlrev_b32_e32 v9, 3, v13
	s_mov_b64 s[2:3], 0
                                        ; implicit-def: $vgpr10
	s_delay_alu instid0(VALU_DEP_2)
	v_mov_b32_e32 v6, v5
	ds_store_b64 v9, v[5:6] offset:10240
                                        ; implicit-def: $vgpr9
.LBB170_29:
	s_or_saveexec_b32 s5, s5
	v_dual_mov_b32 v6, s3 :: v_dual_mov_b32 v5, s2
	s_xor_b32 exec_lo, exec_lo, s5
	s_cbranch_execz .LBB170_33
; %bb.30:
	v_mad_u64_u32 v[5:6], null, v13, s8, 0
	s_mov_b32 s2, exec_lo
	s_delay_alu instid0(VALU_DEP_1) | instskip(NEXT) | instid1(VALU_DEP_1)
	v_mad_u64_u32 v[11:12], null, v13, s9, v[6:7]
	v_dual_mov_b32 v6, v11 :: v_dual_lshlrev_b32 v11, 3, v13
	s_delay_alu instid0(VALU_DEP_1) | instskip(NEXT) | instid1(VALU_DEP_1)
	v_lshlrev_b64 v[5:6], 3, v[5:6]
	v_add_co_u32 v5, vcc_lo, v9, v5
	s_delay_alu instid0(VALU_DEP_2)
	v_add_co_ci_u32_e32 v6, vcc_lo, v10, v6, vcc_lo
	flat_load_b64 v[9:10], v[5:6]
	v_mov_b32_e32 v5, 0
	v_mov_b32_e32 v6, 0
	s_waitcnt vmcnt(0) lgkmcnt(0)
	ds_store_b64 v11, v[9:10] offset:10240
	v_cmpx_neq_f64_e32 0, v[1:2]
	s_cbranch_execz .LBB170_32
; %bb.31:
	v_mad_u64_u32 v[5:6], null, v13, s6, 0
	s_delay_alu instid0(VALU_DEP_1) | instskip(NEXT) | instid1(VALU_DEP_1)
	v_mad_u64_u32 v[9:10], null, v13, s7, v[6:7]
	v_mov_b32_e32 v6, v9
	s_delay_alu instid0(VALU_DEP_1) | instskip(NEXT) | instid1(VALU_DEP_1)
	v_lshlrev_b64 v[5:6], 3, v[5:6]
	v_add_co_u32 v5, vcc_lo, v14, v5
	s_delay_alu instid0(VALU_DEP_2)
	v_add_co_ci_u32_e32 v6, vcc_lo, v15, v6, vcc_lo
	global_load_b64 v[5:6], v[5:6], off
	s_waitcnt vmcnt(0)
	v_mul_f64 v[5:6], v[1:2], v[5:6]
.LBB170_32:
	s_or_b32 exec_lo, exec_lo, s2
.LBB170_33:
	s_delay_alu instid0(SALU_CYCLE_1)
	s_or_b32 exec_lo, exec_lo, s5
.LBB170_34:
	s_delay_alu instid0(SALU_CYCLE_1)
	s_or_b32 exec_lo, exec_lo, s4
.LBB170_35:
	v_mad_u64_u32 v[9:10], null, v0, s12, 0
	s_add_u32 s2, s12, 1
	s_addc_u32 s3, s13, 0
	s_mul_i32 s4, s2, s15
	s_mul_hi_u32 s5, s2, s11
	s_mul_i32 s3, s3, s11
	s_add_i32 s4, s5, s4
	s_delay_alu instid0(VALU_DEP_1)
	v_mad_u64_u32 v[11:12], null, v0, s13, v[10:11]
	v_lshl_add_u32 v18, v0, 5, v13
	s_mul_i32 s2, s2, s11
	s_add_i32 s3, s4, s3
	v_lshlrev_b32_e32 v16, 3, v13
	s_lshl_b64 s[2:3], s[2:3], 3
	s_mov_b32 s11, 0
	s_delay_alu instid0(VALU_DEP_3) | instskip(SKIP_2) | instid1(VALU_DEP_3)
	v_dual_mov_b32 v10, v11 :: v_dual_lshlrev_b32 v17, 3, v18
	v_add_co_u32 v11, vcc_lo, v7, s2
	v_add_co_ci_u32_e32 v12, vcc_lo, s3, v8, vcc_lo
	v_lshlrev_b64 v[9:10], 3, v[9:10]
	s_delay_alu instid0(VALU_DEP_1) | instskip(NEXT) | instid1(VALU_DEP_2)
	v_add_co_u32 v19, vcc_lo, v11, v9
	v_add_co_ci_u32_e32 v20, vcc_lo, v12, v10, vcc_lo
	s_delay_alu instid0(VALU_DEP_2) | instskip(NEXT) | instid1(VALU_DEP_2)
	v_add_co_u32 v9, vcc_lo, v19, v16
	v_add_co_ci_u32_e32 v10, vcc_lo, 0, v20, vcc_lo
	s_and_not1_b32 vcc_lo, exec_lo, s1
	s_cbranch_vccnz .LBB170_37
; %bb.36:
	flat_load_b64 v[11:12], v[9:10]
	v_mad_u64_u32 v[23:24], null, 0x60, s12, v[9:10]
	s_lshl_b64 s[4:5], s[12:13], 5
	s_mov_b32 s11, -1
	v_add_co_u32 v21, vcc_lo, v9, s4
	v_add_co_ci_u32_e32 v22, vcc_lo, s5, v10, vcc_lo
	s_delay_alu instid0(VALU_DEP_3) | instskip(NEXT) | instid1(VALU_DEP_1)
	v_mad_u64_u32 v[25:26], null, 0x60, s13, v[24:25]
	v_dual_mov_b32 v24, v25 :: v_dual_lshlrev_b32 v27, 3, v18
	s_waitcnt vmcnt(0) lgkmcnt(0)
	ds_store_b64 v27, v[11:12]
	flat_load_b64 v[11:12], v[21:22]
	v_add_co_u32 v21, vcc_lo, v21, s4
	v_add_co_ci_u32_e32 v22, vcc_lo, s5, v22, vcc_lo
	s_lshl_b64 s[4:5], s[12:13], 6
	s_waitcnt vmcnt(0) lgkmcnt(0)
	ds_store_b64 v27, v[11:12] offset:1024
	flat_load_b64 v[11:12], v[21:22]
	v_add_co_u32 v21, vcc_lo, v21, s4
	v_add_co_ci_u32_e32 v22, vcc_lo, s5, v22, vcc_lo
	s_waitcnt vmcnt(0) lgkmcnt(0)
	ds_store_b64 v27, v[11:12] offset:2048
	flat_load_b64 v[11:12], v[23:24]
	s_waitcnt vmcnt(0) lgkmcnt(0)
	ds_store_b64 v27, v[11:12] offset:3072
	flat_load_b64 v[11:12], v[21:22]
	v_mad_u64_u32 v[21:22], null, 0xa0, s12, v[9:10]
	s_delay_alu instid0(VALU_DEP_1) | instskip(NEXT) | instid1(VALU_DEP_1)
	v_mad_u64_u32 v[23:24], null, 0xa0, s13, v[22:23]
	v_mov_b32_e32 v22, v23
	s_waitcnt vmcnt(0) lgkmcnt(0)
	ds_store_b64 v27, v[11:12] offset:4096
	flat_load_b64 v[11:12], v[21:22]
	v_mad_u64_u32 v[21:22], null, 0xc0, s12, v[9:10]
	s_delay_alu instid0(VALU_DEP_1) | instskip(NEXT) | instid1(VALU_DEP_1)
	v_mad_u64_u32 v[23:24], null, 0xc0, s13, v[22:23]
	v_mov_b32_e32 v22, v23
	s_waitcnt vmcnt(0) lgkmcnt(0)
	ds_store_b64 v27, v[11:12] offset:5120
	flat_load_b64 v[22:23], v[21:22]
	v_add_nc_u32_e32 v21, 0x380, v18
	v_mad_u64_u32 v[11:12], null, 0xe0, s12, v[9:10]
	s_delay_alu instid0(VALU_DEP_1) | instskip(NEXT) | instid1(VALU_DEP_1)
	v_mad_u64_u32 v[24:25], null, 0xe0, s13, v[12:13]
	v_mov_b32_e32 v12, v24
	s_waitcnt vmcnt(0) lgkmcnt(0)
	ds_store_b64 v27, v[22:23] offset:6144
	s_cbranch_execz .LBB170_38
	s_branch .LBB170_50
.LBB170_37:
                                        ; implicit-def: $vgpr11_vgpr12
                                        ; implicit-def: $vgpr21
.LBB170_38:
	s_mov_b32 s4, 0
                                        ; implicit-def: $vgpr21
	s_delay_alu instid0(SALU_CYCLE_1) | instskip(NEXT) | instid1(SALU_CYCLE_1)
	s_mov_b32 s5, s4
	v_dual_mov_b32 v12, s5 :: v_dual_mov_b32 v11, s4
	s_mov_b32 s5, exec_lo
	ds_store_2addr_stride64_b64 v17, v[11:12], v[11:12] offset1:2
	ds_store_2addr_stride64_b64 v17, v[11:12], v[11:12] offset0:4 offset1:6
	ds_store_2addr_stride64_b64 v17, v[11:12], v[11:12] offset0:8 offset1:10
	;; [unrolled: 1-line block ×3, first 2 shown]
                                        ; implicit-def: $vgpr11_vgpr12
	v_cmpx_gt_i32_e64 s10, v13
	s_cbranch_execz .LBB170_49
; %bb.39:
	s_cmp_lt_u32 s10, 4
	s_cbranch_scc1 .LBB170_46
; %bb.40:
	s_lshr_b32 s4, s10, 2
	s_mov_b32 s14, 0
	s_add_i32 s8, s4, -1
	s_delay_alu instid0(SALU_CYCLE_1)
	s_cmp_lt_u32 s8, 3
	s_cbranch_scc1 .LBB170_43
; %bb.41:
	v_lshlrev_b32_e32 v11, 3, v0
	s_and_b32 s14, s4, 0x3ffffffc
	s_lshl_b64 s[8:9], s[12:13], 7
	s_mov_b32 s15, 0
	s_delay_alu instid0(VALU_DEP_1) | instskip(SKIP_2) | instid1(VALU_DEP_3)
	v_add_nc_u32_e32 v27, 0x60, v11
	v_add_nc_u32_e32 v28, 64, v11
	;; [unrolled: 1-line block ×3, first 2 shown]
	v_mad_u64_u32 v[11:12], null, s12, v27, s[2:3]
	s_delay_alu instid0(VALU_DEP_3) | instskip(NEXT) | instid1(VALU_DEP_3)
	v_mad_u64_u32 v[21:22], null, s12, v28, s[2:3]
	v_mad_u64_u32 v[23:24], null, s12, v29, s[2:3]
	s_delay_alu instid0(VALU_DEP_3) | instskip(NEXT) | instid1(VALU_DEP_4)
	v_mad_u64_u32 v[25:26], null, s13, v27, v[12:13]
	v_add_co_u32 v11, vcc_lo, v7, v11
	s_delay_alu instid0(VALU_DEP_3) | instskip(NEXT) | instid1(VALU_DEP_3)
	v_mad_u64_u32 v[26:27], null, s13, v28, v[22:23]
	v_mad_u64_u32 v[27:28], null, s13, v29, v[24:25]
	v_mov_b32_e32 v12, v25
	s_delay_alu instid0(VALU_DEP_3) | instskip(NEXT) | instid1(VALU_DEP_2)
	v_dual_mov_b32 v25, v17 :: v_dual_mov_b32 v22, v26
	v_add_co_ci_u32_e32 v12, vcc_lo, v8, v12, vcc_lo
	s_delay_alu instid0(VALU_DEP_4) | instskip(SKIP_1) | instid1(VALU_DEP_4)
	v_mov_b32_e32 v24, v27
	v_add_co_u32 v21, vcc_lo, v7, v21
	v_add_co_ci_u32_e32 v22, vcc_lo, v8, v22, vcc_lo
	v_add_co_u32 v23, vcc_lo, v7, v23
	s_delay_alu instid0(VALU_DEP_4)
	v_add_co_ci_u32_e32 v24, vcc_lo, v8, v24, vcc_lo
	s_set_inst_prefetch_distance 0x1
	.p2align	6
.LBB170_42:                             ; =>This Inner Loop Header: Depth=1
	v_add_co_u32 v26, vcc_lo, v19, v16
	v_add_co_ci_u32_e32 v27, vcc_lo, 0, v20, vcc_lo
	v_add_co_u32 v28, vcc_lo, v23, v16
	v_add_co_ci_u32_e32 v29, vcc_lo, 0, v24, vcc_lo
	flat_load_b64 v[26:27], v[26:27]
	s_add_i32 s15, s15, 4
	s_delay_alu instid0(SALU_CYCLE_1)
	s_cmp_lg_u32 s14, s15
	s_waitcnt vmcnt(0) lgkmcnt(0)
	ds_store_b64 v25, v[26:27]
	flat_load_b64 v[26:27], v[28:29]
	v_add_co_u32 v28, vcc_lo, v21, v16
	v_add_co_ci_u32_e32 v29, vcc_lo, 0, v22, vcc_lo
	s_waitcnt vmcnt(0) lgkmcnt(0)
	ds_store_b64 v25, v[26:27] offset:1024
	flat_load_b64 v[26:27], v[28:29]
	v_add_co_u32 v28, vcc_lo, v11, v16
	v_add_co_ci_u32_e32 v29, vcc_lo, 0, v12, vcc_lo
	v_add_co_u32 v11, vcc_lo, v11, s8
	v_add_co_ci_u32_e32 v12, vcc_lo, s9, v12, vcc_lo
	v_add_co_u32 v21, vcc_lo, v21, s8
	v_add_co_ci_u32_e32 v22, vcc_lo, s9, v22, vcc_lo
	v_add_co_u32 v23, vcc_lo, v23, s8
	v_add_co_ci_u32_e32 v24, vcc_lo, s9, v24, vcc_lo
	v_add_co_u32 v19, vcc_lo, v19, s8
	v_add_co_ci_u32_e32 v20, vcc_lo, s9, v20, vcc_lo
	s_waitcnt vmcnt(0) lgkmcnt(0)
	ds_store_b64 v25, v[26:27] offset:2048
	flat_load_b64 v[26:27], v[28:29]
	s_waitcnt vmcnt(0) lgkmcnt(0)
	ds_store_b64 v25, v[26:27] offset:3072
	v_add_nc_u32_e32 v25, 0x1000, v25
	s_cbranch_scc1 .LBB170_42
.LBB170_43:
	s_set_inst_prefetch_distance 0x2
	s_bfe_u32 s15, s10, 0x20002
	s_mov_b32 s9, 0
	s_cmp_eq_u32 s15, 0
	s_cbranch_scc1 .LBB170_46
; %bb.44:
	v_lshlrev_b32_e32 v11, 3, v0
	s_lshl_b32 s8, s14, 2
	s_delay_alu instid0(SALU_CYCLE_1)
	s_lshl_b64 s[8:9], s[8:9], 3
	s_delay_alu instid0(VALU_DEP_1) | instid1(SALU_CYCLE_1)
	v_add_co_u32 v19, s8, v11, s8
	s_delay_alu instid0(VALU_DEP_1) | instskip(NEXT) | instid1(VALU_DEP_2)
	v_add_co_ci_u32_e64 v11, null, 0, s9, s8
	v_mul_lo_u32 v21, s13, v19
	s_delay_alu instid0(VALU_DEP_2) | instskip(SKIP_3) | instid1(VALU_DEP_2)
	v_mul_lo_u32 v20, s12, v11
	v_mad_u64_u32 v[11:12], null, s12, v19, s[2:3]
	v_lshlrev_b32_e32 v19, 8, v0
	s_lshl_b32 s2, s14, 10
	v_add3_u32 v12, v21, v12, v20
	s_delay_alu instid0(VALU_DEP_3) | instskip(NEXT) | instid1(VALU_DEP_3)
	v_add_co_u32 v20, vcc_lo, v11, v16
	v_add3_u32 v11, s2, v19, v16
	s_lshl_b64 s[2:3], s[12:13], 5
	s_delay_alu instid0(VALU_DEP_3) | instskip(NEXT) | instid1(VALU_DEP_3)
	v_add_co_ci_u32_e32 v12, vcc_lo, 0, v12, vcc_lo
	v_add_co_u32 v7, vcc_lo, v7, v20
	s_delay_alu instid0(VALU_DEP_2)
	v_add_co_ci_u32_e32 v8, vcc_lo, v8, v12, vcc_lo
.LBB170_45:                             ; =>This Inner Loop Header: Depth=1
	flat_load_b64 v[19:20], v[7:8]
	v_add_co_u32 v7, vcc_lo, v7, s2
	v_add_co_ci_u32_e32 v8, vcc_lo, s3, v8, vcc_lo
	s_add_i32 s15, s15, -1
	s_delay_alu instid0(SALU_CYCLE_1)
	s_cmp_lg_u32 s15, 0
	s_waitcnt vmcnt(0) lgkmcnt(0)
	ds_store_b64 v11, v[19:20]
	v_add_nc_u32_e32 v11, 0x400, v11
	s_cbranch_scc1 .LBB170_45
.LBB170_46:
	s_and_b32 s2, s10, 3
	s_mov_b32 s3, s11
	v_cmp_gt_u32_e32 vcc_lo, s2, v0
                                        ; implicit-def: $vgpr11_vgpr12
                                        ; implicit-def: $vgpr21
	s_and_saveexec_b32 s2, vcc_lo
; %bb.47:
	s_lshl_b32 s3, s4, 2
	v_lshl_add_u32 v21, s4, 7, v18
	s_mul_i32 s9, s3, s13
	s_mul_hi_u32 s13, s3, s12
	s_mul_i32 s8, s3, s12
	s_add_i32 s9, s13, s9
	s_or_b32 s3, s11, exec_lo
	s_lshl_b64 s[8:9], s[8:9], 3
	s_delay_alu instid0(SALU_CYCLE_1)
	v_add_co_u32 v11, vcc_lo, v9, s8
	v_add_co_ci_u32_e32 v12, vcc_lo, s9, v10, vcc_lo
; %bb.48:
	s_or_b32 exec_lo, exec_lo, s2
	s_delay_alu instid0(SALU_CYCLE_1) | instskip(SKIP_1) | instid1(SALU_CYCLE_1)
	s_and_not1_b32 s2, s11, exec_lo
	s_and_b32 s3, s3, exec_lo
	s_or_b32 s11, s2, s3
.LBB170_49:
	s_or_b32 exec_lo, exec_lo, s5
.LBB170_50:
	s_and_saveexec_b32 s2, s11
	s_cbranch_execz .LBB170_52
; %bb.51:
	flat_load_b64 v[7:8], v[11:12]
	v_lshlrev_b32_e32 v9, 3, v21
	s_waitcnt vmcnt(0) lgkmcnt(0)
	ds_store_b64 v9, v[7:8]
.LBB170_52:
	s_or_b32 exec_lo, exec_lo, s2
	v_lshlrev_b32_e32 v8, 5, v13
	s_mov_b32 s2, exec_lo
	s_waitcnt lgkmcnt(0)
	s_waitcnt_vscnt null, 0x0
	s_barrier
	buffer_gl0_inv
	v_cmpx_ge_u32_e64 v13, v0
	s_xor_b32 s2, exec_lo, s2
; %bb.53:
	v_lshlrev_b32_e32 v8, 5, v13
; %bb.54:
	s_and_not1_saveexec_b32 s2, s2
	s_cbranch_execz .LBB170_56
; %bb.55:
	s_delay_alu instid0(VALU_DEP_1)
	v_add_lshl_u32 v7, v8, v0, 3
	ds_load_b64 v[9:10], v7
	s_waitcnt lgkmcnt(0)
	ds_store_b64 v17, v[9:10]
.LBB170_56:
	s_or_b32 exec_lo, exec_lo, s2
	v_sub_nc_u32_e32 v7, v13, v0
	s_mov_b32 s2, exec_lo
	s_delay_alu instid0(VALU_DEP_1) | instskip(NEXT) | instid1(VALU_DEP_1)
	v_sub_nc_u32_e32 v9, 0, v7
	v_max_i32_e32 v10, v7, v9
	v_lshlrev_b32_e32 v7, 5, v0
	v_add_lshl_u32 v9, v8, v0, 3
	s_delay_alu instid0(VALU_DEP_3)
	v_cmpx_gt_u32_e32 4, v10
	s_cbranch_execz .LBB170_58
; %bb.57:
	ds_load_b64 v[11:12], v9 offset:32
	v_add_lshl_u32 v8, v7, v13, 3
	s_waitcnt lgkmcnt(0)
	ds_store_b64 v8, v[11:12] offset:1024
.LBB170_58:
	s_or_b32 exec_lo, exec_lo, s2
	s_delay_alu instid0(SALU_CYCLE_1)
	s_mov_b32 s2, exec_lo
	v_cmpx_gt_u32_e32 8, v10
	s_cbranch_execz .LBB170_60
; %bb.59:
	ds_load_b64 v[11:12], v9 offset:64
	v_add_lshl_u32 v8, v7, v13, 3
	s_waitcnt lgkmcnt(0)
	ds_store_b64 v8, v[11:12] offset:2048
.LBB170_60:
	s_or_b32 exec_lo, exec_lo, s2
	s_delay_alu instid0(SALU_CYCLE_1)
	s_mov_b32 s2, exec_lo
	v_cmpx_gt_u32_e32 12, v10
	s_cbranch_execz .LBB170_62
; %bb.61:
	ds_load_b64 v[11:12], v9 offset:96
	v_add_lshl_u32 v8, v7, v13, 3
	s_waitcnt lgkmcnt(0)
	ds_store_b64 v8, v[11:12] offset:3072
.LBB170_62:
	s_or_b32 exec_lo, exec_lo, s2
	v_add_nc_u32_e32 v8, 16, v0
	s_mov_b32 s2, exec_lo
	s_delay_alu instid0(VALU_DEP_1)
	v_lshlrev_b32_e32 v8, 5, v8
	v_cmpx_gt_u32_e32 16, v10
	s_cbranch_execz .LBB170_64
; %bb.63:
	ds_load_b64 v[11:12], v9 offset:128
	v_add_lshl_u32 v18, v8, v13, 3
	s_waitcnt lgkmcnt(0)
	ds_store_b64 v18, v[11:12]
.LBB170_64:
	s_or_b32 exec_lo, exec_lo, s2
	s_delay_alu instid0(SALU_CYCLE_1)
	s_mov_b32 s2, exec_lo
	v_cmpx_gt_u32_e32 20, v10
	s_cbranch_execz .LBB170_66
; %bb.65:
	ds_load_b64 v[11:12], v9 offset:160
	s_waitcnt lgkmcnt(0)
	ds_store_b64 v17, v[11:12] offset:5120
.LBB170_66:
	s_or_b32 exec_lo, exec_lo, s2
	s_delay_alu instid0(SALU_CYCLE_1)
	s_mov_b32 s2, exec_lo
	v_cmpx_gt_u32_e32 24, v10
	s_cbranch_execz .LBB170_68
; %bb.67:
	ds_load_b64 v[11:12], v9 offset:192
	s_waitcnt lgkmcnt(0)
	ds_store_b64 v17, v[11:12] offset:6144
.LBB170_68:
	s_or_b32 exec_lo, exec_lo, s2
	v_cmp_lt_u32_e32 vcc_lo, 27, v10
	v_add_nc_u32_e32 v11, 28, v0
                                        ; implicit-def: $vgpr10
	s_and_saveexec_b32 s2, vcc_lo
	s_delay_alu instid0(SALU_CYCLE_1)
	s_xor_b32 s2, exec_lo, s2
; %bb.69:
	v_add_nc_u32_e32 v11, 28, v0
                                        ; implicit-def: $vgpr9
	s_delay_alu instid0(VALU_DEP_1)
	v_lshl_add_u32 v10, v11, 5, v13
; %bb.70:
	s_and_not1_saveexec_b32 s2, s2
	s_cbranch_execz .LBB170_72
; %bb.71:
	ds_load_b64 v[18:19], v9 offset:224
	v_lshl_add_u32 v10, v11, 5, v13
	s_delay_alu instid0(VALU_DEP_1)
	v_lshlrev_b32_e32 v9, 3, v10
	s_waitcnt lgkmcnt(0)
	ds_store_b64 v9, v[18:19]
.LBB170_72:
	s_or_b32 exec_lo, exec_lo, s2
	v_lshlrev_b32_e32 v0, 3, v0
	s_waitcnt lgkmcnt(0)
	s_barrier
	buffer_gl0_inv
	v_add_lshl_u32 v26, v7, v13, 3
	v_add_nc_u32_e32 v9, 0x2800, v0
	v_lshlrev_b32_e32 v11, 3, v11
	v_add_lshl_u32 v7, v8, v13, 3
	ds_load_2addr_b64 v[18:21], v9 offset1:4
	ds_load_b64 v[22:23], v17
	ds_load_b64 v[11:12], v11 offset:10240
	s_waitcnt lgkmcnt(1)
	v_fma_f64 v[18:19], v[22:23], v[18:19], 0
	ds_load_2addr_stride64_b64 v[22:25], v26 offset0:2 offset1:4
	s_waitcnt lgkmcnt(0)
	v_fma_f64 v[22:23], v[22:23], v[20:21], v[18:19]
	ds_load_2addr_b64 v[18:21], v9 offset0:8 offset1:12
	s_waitcnt lgkmcnt(0)
	v_fma_f64 v[18:19], v[24:25], v[18:19], v[22:23]
	ds_load_2addr_stride64_b64 v[22:25], v26 offset0:6 offset1:10
	s_waitcnt lgkmcnt(0)
	v_fma_f64 v[22:23], v[22:23], v[20:21], v[18:19]
	ds_load_2addr_b64 v[18:21], v9 offset0:16 offset1:20
	ds_load_b64 v[7:8], v7
	v_lshlrev_b32_e32 v9, 3, v10
	ds_load_b64 v[9:10], v9
	ds_load_b64 v[26:27], v26 offset:6144
	s_waitcnt lgkmcnt(2)
	v_fma_f64 v[7:8], v[7:8], v[18:19], v[22:23]
	ds_load_b64 v[18:19], v0 offset:10432
	v_fma_f64 v[7:8], v[24:25], v[20:21], v[7:8]
	s_waitcnt lgkmcnt(0)
	s_delay_alu instid0(VALU_DEP_1) | instskip(NEXT) | instid1(VALU_DEP_1)
	v_fma_f64 v[7:8], v[26:27], v[18:19], v[7:8]
	v_fma_f64 v[7:8], v[9:10], v[11:12], v[7:8]
	ds_store_b64 v17, v[7:8] offset:8192
	s_waitcnt lgkmcnt(0)
	s_barrier
	buffer_gl0_inv
	s_and_saveexec_b32 s2, s0
	s_cbranch_execz .LBB170_78
; %bb.73:
	v_add_nc_u32_e32 v0, 0x2000, v16
	v_cmp_neq_f64_e32 vcc_lo, 0, v[1:2]
	s_mov_b32 s0, -1
	ds_load_2addr_b64 v[7:10], v0 offset1:32
	s_waitcnt lgkmcnt(0)
	v_add_f64 v[7:8], v[7:8], 0
	s_delay_alu instid0(VALU_DEP_1) | instskip(SKIP_3) | instid1(VALU_DEP_1)
	v_add_f64 v[11:12], v[7:8], v[9:10]
	ds_load_2addr_b64 v[7:10], v0 offset0:64 offset1:96
	s_waitcnt lgkmcnt(0)
	v_add_f64 v[7:8], v[11:12], v[7:8]
	v_add_f64 v[7:8], v[7:8], v[9:10]
	s_delay_alu instid0(VALU_DEP_1) | instskip(SKIP_1) | instid1(VALU_DEP_1)
	v_mul_f64 v[9:10], v[3:4], v[7:8]
	v_fma_f64 v[3:4], v[3:4], v[7:8], v[5:6]
	v_dual_cndmask_b32 v1, v10, v4 :: v_dual_cndmask_b32 v0, v9, v3
	s_and_b32 vcc_lo, exec_lo, s1
	s_cbranch_vccz .LBB170_75
; %bb.74:
	v_mad_u64_u32 v[2:3], null, v13, s6, 0
	s_mov_b32 s0, 0
	s_delay_alu instid0(VALU_DEP_1) | instskip(NEXT) | instid1(VALU_DEP_1)
	v_mad_u64_u32 v[4:5], null, v13, s7, v[3:4]
	v_mov_b32_e32 v3, v4
	s_delay_alu instid0(VALU_DEP_1) | instskip(NEXT) | instid1(VALU_DEP_1)
	v_lshlrev_b64 v[2:3], 3, v[2:3]
	v_add_co_u32 v2, vcc_lo, v14, v2
	s_delay_alu instid0(VALU_DEP_2)
	v_add_co_ci_u32_e32 v3, vcc_lo, v15, v3, vcc_lo
	global_store_b64 v[2:3], v[0:1], off
.LBB170_75:
	s_and_not1_b32 vcc_lo, exec_lo, s0
	s_cbranch_vccnz .LBB170_78
; %bb.76:
	v_cmp_gt_i32_e32 vcc_lo, s10, v13
	s_and_b32 exec_lo, exec_lo, vcc_lo
	s_cbranch_execz .LBB170_78
; %bb.77:
	v_mad_u64_u32 v[2:3], null, v13, s6, 0
	s_delay_alu instid0(VALU_DEP_1) | instskip(NEXT) | instid1(VALU_DEP_1)
	v_mad_u64_u32 v[4:5], null, v13, s7, v[3:4]
	v_mov_b32_e32 v3, v4
	s_delay_alu instid0(VALU_DEP_1) | instskip(NEXT) | instid1(VALU_DEP_1)
	v_lshlrev_b64 v[2:3], 3, v[2:3]
	v_add_co_u32 v2, vcc_lo, v14, v2
	s_delay_alu instid0(VALU_DEP_2)
	v_add_co_ci_u32_e32 v3, vcc_lo, v15, v3, vcc_lo
	global_store_b64 v[2:3], v[0:1], off
.LBB170_78:
	s_nop 0
	s_sendmsg sendmsg(MSG_DEALLOC_VGPRS)
	s_endpgm
	.section	.rodata,"a",@progbits
	.p2align	6, 0x0
	.amdhsa_kernel _ZL58rocblas_symv_kernel_lower_double_buffered_diagonal_genericILi32ELi4E24rocblas_internal_val_ptrIdEPKPKdPKPdEvbiT1_lT2_lllSA_lllS9_lT3_lllii
		.amdhsa_group_segment_fixed_size 10496
		.amdhsa_private_segment_fixed_size 0
		.amdhsa_kernarg_size 400
		.amdhsa_user_sgpr_count 14
		.amdhsa_user_sgpr_dispatch_ptr 0
		.amdhsa_user_sgpr_queue_ptr 0
		.amdhsa_user_sgpr_kernarg_segment_ptr 1
		.amdhsa_user_sgpr_dispatch_id 0
		.amdhsa_user_sgpr_private_segment_size 0
		.amdhsa_wavefront_size32 1
		.amdhsa_uses_dynamic_stack 0
		.amdhsa_enable_private_segment 0
		.amdhsa_system_sgpr_workgroup_id_x 1
		.amdhsa_system_sgpr_workgroup_id_y 0
		.amdhsa_system_sgpr_workgroup_id_z 1
		.amdhsa_system_sgpr_workgroup_info 0
		.amdhsa_system_vgpr_workitem_id 1
		.amdhsa_next_free_vgpr 30
		.amdhsa_next_free_sgpr 22
		.amdhsa_reserve_vcc 1
		.amdhsa_float_round_mode_32 0
		.amdhsa_float_round_mode_16_64 0
		.amdhsa_float_denorm_mode_32 3
		.amdhsa_float_denorm_mode_16_64 3
		.amdhsa_dx10_clamp 1
		.amdhsa_ieee_mode 1
		.amdhsa_fp16_overflow 0
		.amdhsa_workgroup_processor_mode 1
		.amdhsa_memory_ordered 1
		.amdhsa_forward_progress 0
		.amdhsa_shared_vgpr_count 0
		.amdhsa_exception_fp_ieee_invalid_op 0
		.amdhsa_exception_fp_denorm_src 0
		.amdhsa_exception_fp_ieee_div_zero 0
		.amdhsa_exception_fp_ieee_overflow 0
		.amdhsa_exception_fp_ieee_underflow 0
		.amdhsa_exception_fp_ieee_inexact 0
		.amdhsa_exception_int_div_zero 0
	.end_amdhsa_kernel
	.section	.text._ZL58rocblas_symv_kernel_lower_double_buffered_diagonal_genericILi32ELi4E24rocblas_internal_val_ptrIdEPKPKdPKPdEvbiT1_lT2_lllSA_lllS9_lT3_lllii,"axG",@progbits,_ZL58rocblas_symv_kernel_lower_double_buffered_diagonal_genericILi32ELi4E24rocblas_internal_val_ptrIdEPKPKdPKPdEvbiT1_lT2_lllSA_lllS9_lT3_lllii,comdat
.Lfunc_end170:
	.size	_ZL58rocblas_symv_kernel_lower_double_buffered_diagonal_genericILi32ELi4E24rocblas_internal_val_ptrIdEPKPKdPKPdEvbiT1_lT2_lllSA_lllS9_lT3_lllii, .Lfunc_end170-_ZL58rocblas_symv_kernel_lower_double_buffered_diagonal_genericILi32ELi4E24rocblas_internal_val_ptrIdEPKPKdPKPdEvbiT1_lT2_lllSA_lllS9_lT3_lllii
                                        ; -- End function
	.section	.AMDGPU.csdata,"",@progbits
; Kernel info:
; codeLenInByte = 3692
; NumSgprs: 24
; NumVgprs: 30
; ScratchSize: 0
; MemoryBound: 0
; FloatMode: 240
; IeeeMode: 1
; LDSByteSize: 10496 bytes/workgroup (compile time only)
; SGPRBlocks: 2
; VGPRBlocks: 3
; NumSGPRsForWavesPerEU: 24
; NumVGPRsForWavesPerEU: 30
; Occupancy: 12
; WaveLimiterHint : 1
; COMPUTE_PGM_RSRC2:SCRATCH_EN: 0
; COMPUTE_PGM_RSRC2:USER_SGPR: 14
; COMPUTE_PGM_RSRC2:TRAP_HANDLER: 0
; COMPUTE_PGM_RSRC2:TGID_X_EN: 1
; COMPUTE_PGM_RSRC2:TGID_Y_EN: 0
; COMPUTE_PGM_RSRC2:TGID_Z_EN: 1
; COMPUTE_PGM_RSRC2:TIDIG_COMP_CNT: 1
	.section	.text._ZL62rocblas_symv_kernel_lower_double_buffered_non_diagonal_genericILi32ELi4ELi4E24rocblas_internal_val_ptrIdEPKPKdPKPdEvbiT2_lT3_lllSA_lllT4_lllii,"axG",@progbits,_ZL62rocblas_symv_kernel_lower_double_buffered_non_diagonal_genericILi32ELi4ELi4E24rocblas_internal_val_ptrIdEPKPKdPKPdEvbiT2_lT3_lllSA_lllT4_lllii,comdat
	.globl	_ZL62rocblas_symv_kernel_lower_double_buffered_non_diagonal_genericILi32ELi4ELi4E24rocblas_internal_val_ptrIdEPKPKdPKPdEvbiT2_lT3_lllSA_lllT4_lllii ; -- Begin function _ZL62rocblas_symv_kernel_lower_double_buffered_non_diagonal_genericILi32ELi4ELi4E24rocblas_internal_val_ptrIdEPKPKdPKPdEvbiT2_lT3_lllSA_lllT4_lllii
	.p2align	8
	.type	_ZL62rocblas_symv_kernel_lower_double_buffered_non_diagonal_genericILi32ELi4ELi4E24rocblas_internal_val_ptrIdEPKPKdPKPdEvbiT2_lT3_lllSA_lllT4_lllii,@function
_ZL62rocblas_symv_kernel_lower_double_buffered_non_diagonal_genericILi32ELi4ELi4E24rocblas_internal_val_ptrIdEPKPKdPKPdEvbiT2_lT3_lllSA_lllT4_lllii: ; @_ZL62rocblas_symv_kernel_lower_double_buffered_non_diagonal_genericILi32ELi4ELi4E24rocblas_internal_val_ptrIdEPKPKdPKPdEvbiT2_lT3_lllSA_lllT4_lllii
; %bb.0:
	s_clause 0x2
	s_load_b32 s3, s[0:1], 0x0
	s_load_b256 s[4:11], s[0:1], 0x8
	s_load_b64 s[16:17], s[0:1], 0x28
	s_mov_b32 s2, s15
	s_waitcnt lgkmcnt(0)
	s_bitcmp1_b32 s3, 0
	v_dual_mov_b32 v9, s5 :: v_dual_mov_b32 v8, s4
	s_cselect_b32 s3, -1, 0
	s_delay_alu instid0(SALU_CYCLE_1)
	s_and_b32 vcc_lo, exec_lo, s3
	s_cbranch_vccnz .LBB171_2
; %bb.1:
	s_mul_i32 s3, s2, s7
	s_mul_hi_u32 s7, s2, s6
	s_mul_i32 s6, s2, s6
	s_add_i32 s7, s7, s3
	s_delay_alu instid0(SALU_CYCLE_1) | instskip(NEXT) | instid1(SALU_CYCLE_1)
	s_lshl_b64 s[6:7], s[6:7], 3
	s_add_u32 s4, s4, s6
	s_addc_u32 s5, s5, s7
	s_delay_alu instid0(SALU_CYCLE_1)
	v_dual_mov_b32 v1, s4 :: v_dual_mov_b32 v2, s5
	flat_load_b64 v[8:9], v[1:2]
.LBB171_2:
	s_mov_b32 s3, exec_lo
	s_waitcnt vmcnt(0) lgkmcnt(0)
	v_cmpx_neq_f64_e32 0, v[8:9]
	s_cbranch_execz .LBB171_35
; %bb.3:
	s_load_b64 s[4:5], s[0:1], 0x80
	s_waitcnt lgkmcnt(0)
	v_cvt_f32_u32_e32 v1, s5
	s_add_i32 s15, s4, -1
	s_delay_alu instid0(SALU_CYCLE_1) | instskip(NEXT) | instid1(VALU_DEP_1)
	s_cmp_eq_u32 s13, s15
	v_rcp_iflag_f32_e32 v1, v1
	s_waitcnt_depctr 0xfff
	v_mul_f32_e32 v1, 0x4f7ffffe, v1
	s_delay_alu instid0(VALU_DEP_1) | instskip(NEXT) | instid1(VALU_DEP_1)
	v_cvt_u32_f32_e32 v1, v1
	v_readfirstlane_b32 s6, v1
	s_cbranch_scc1 .LBB171_35
; %bb.4:
	s_clause 0x1
	s_load_b128 s[20:23], s[0:1], 0x38
	s_load_b64 s[24:25], s[0:1], 0x58
	s_sub_i32 s12, 0, s5
	s_not_b32 s7, s13
	s_mul_i32 s12, s12, s6
	s_mov_b32 s3, 0
	s_add_i32 s15, s15, s7
	s_mul_hi_u32 s7, s6, s12
	s_lshl_b64 s[2:3], s[2:3], 3
	s_add_i32 s26, s6, s7
	s_add_u32 s8, s8, s2
	s_addc_u32 s9, s9, s3
	s_load_b64 s[18:19], s[0:1], 0x48
	v_bfe_u32 v1, v0, 10, 10
	v_and_b32_e32 v66, 0x3ff, v0
	s_waitcnt lgkmcnt(0)
	s_add_u32 s6, s20, s2
	s_addc_u32 s7, s21, s3
	s_load_b64 s[20:21], s[6:7], 0x0
	s_add_u32 s6, s24, s2
	s_addc_u32 s7, s25, s3
	s_lshl_b64 s[2:3], s[22:23], 3
	s_waitcnt lgkmcnt(0)
	s_add_u32 s24, s20, s2
	s_addc_u32 s27, s21, s3
	s_lshl_b32 s3, s13, 5
	s_delay_alu instid0(SALU_CYCLE_1)
	s_mul_i32 s2, s3, s19
	s_mul_hi_u32 s20, s3, s18
	s_ashr_i32 s12, s3, 31
	s_add_i32 s2, s20, s2
	s_mul_i32 s21, s12, s18
	s_mul_i32 s20, s3, s18
	s_add_i32 s21, s2, s21
	v_cmp_eq_u32_e64 s2, 0, v1
	s_lshl_b64 s[22:23], s[20:21], 3
	s_mul_hi_u32 s20, s15, s26
	s_add_u32 s25, s24, s22
	s_addc_u32 s26, s27, s23
	s_and_saveexec_b32 s21, s2
	s_cbranch_execz .LBB171_6
; %bb.5:
	v_mad_u64_u32 v[2:3], null, v66, s18, 0
	s_delay_alu instid0(VALU_DEP_1) | instskip(NEXT) | instid1(VALU_DEP_1)
	v_mov_b32_e32 v0, v3
	v_mad_u64_u32 v[3:4], null, v66, s19, v[0:1]
	v_lshlrev_b32_e32 v0, 3, v66
	s_delay_alu instid0(VALU_DEP_2) | instskip(NEXT) | instid1(VALU_DEP_1)
	v_lshlrev_b64 v[2:3], 3, v[2:3]
	v_add_co_u32 v2, vcc_lo, s25, v2
	s_delay_alu instid0(VALU_DEP_2)
	v_add_co_ci_u32_e32 v3, vcc_lo, s26, v3, vcc_lo
	global_load_b64 v[2:3], v[2:3], off
	s_waitcnt vmcnt(0)
	ds_store_b64 v0, v[2:3] offset:6144
.LBB171_6:
	s_or_b32 exec_lo, exec_lo, s21
	s_mul_i32 s21, s20, s5
	s_add_i32 s22, s20, 1
	s_sub_i32 s21, s15, s21
	s_delay_alu instid0(SALU_CYCLE_1)
	s_sub_i32 s23, s21, s5
	s_cmp_ge_u32 s21, s5
	s_cselect_b32 s20, s22, s20
	s_cselect_b32 s21, s23, s21
	s_add_i32 s22, s20, 1
	s_cmp_ge_u32 s21, s5
	s_cselect_b32 s22, s22, s20
	s_add_i32 s20, s5, -1
	s_mov_b32 s24, s22
	s_cmp_eq_u32 s14, s20
	s_cselect_b32 s23, -1, 0
	s_cmp_lg_u32 s14, s20
	s_cbranch_scc1 .LBB171_8
; %bb.7:
	s_mul_i32 s5, s22, s5
	s_delay_alu instid0(SALU_CYCLE_1) | instskip(NEXT) | instid1(SALU_CYCLE_1)
	s_sub_i32 s5, s15, s5
	s_add_i32 s24, s5, s22
.LBB171_8:
	s_cmp_lg_u32 s14, s20
	s_cselect_b32 s5, -1, 0
	s_cmp_eq_u32 s24, 0
	s_cselect_b32 s15, -1, 0
	s_delay_alu instid0(SALU_CYCLE_1) | instskip(NEXT) | instid1(SALU_CYCLE_1)
	s_and_b32 s5, s5, s15
	s_and_b32 vcc_lo, exec_lo, s5
	s_cbranch_vccnz .LBB171_35
; %bb.9:
	s_load_b64 s[8:9], s[8:9], 0x0
	v_lshl_add_u32 v0, v1, 5, v66
	s_mul_i32 s14, s14, s22
	v_dual_mov_b32 v11, 0 :: v_dual_and_b32 v10, 15, v66
	s_load_b64 s[20:21], s[6:7], 0x0
	s_delay_alu instid0(VALU_DEP_2)
	v_lshrrev_b32_e32 v67, 4, v0
	s_lshl_b64 s[6:7], s[10:11], 3
	s_lshl_b32 s10, s14, 5
	s_waitcnt lgkmcnt(0)
	s_ashr_i32 s11, s10, 31
	v_lshlrev_b32_e32 v68, 2, v67
	s_mul_i32 s5, s10, s19
	s_mul_hi_u32 s14, s10, s18
	s_mul_i32 s27, s11, s18
	s_barrier
	v_mad_u64_u32 v[12:13], null, v68, s16, v[10:11]
	buffer_gl0_inv
	s_add_u32 s8, s8, s6
	s_addc_u32 s9, s9, s7
	s_add_u32 s6, s16, 1
	s_addc_u32 s7, s17, 0
	s_mul_i32 s15, s6, s12
	s_mul_hi_u32 s22, s6, s3
	s_mul_i32 s7, s7, s3
	s_add_i32 s15, s22, s15
	s_mul_i32 s6, s6, s3
	s_add_i32 s7, s15, s7
	v_mov_b32_e32 v0, v13
	s_lshl_b64 s[6:7], s[6:7], 3
	s_delay_alu instid0(SALU_CYCLE_1)
	s_add_u32 s8, s8, s6
	s_addc_u32 s9, s9, s7
	s_lshl_b64 s[6:7], s[10:11], 3
	v_mad_u64_u32 v[1:2], null, v68, s17, v[0:1]
	s_add_u32 s15, s8, s6
	s_addc_u32 s22, s9, s7
	s_add_i32 s5, s14, s5
	s_mul_i32 s6, s10, s18
	s_add_i32 s7, s5, s27
	s_delay_alu instid0(VALU_DEP_1) | instskip(SKIP_1) | instid1(SALU_CYCLE_1)
	v_mov_b32_e32 v13, v1
	s_lshl_b64 s[6:7], s[6:7], 3
	s_add_u32 s25, s25, s6
	s_addc_u32 s26, s26, s7
	s_add_i32 s4, s4, -2
	s_lshl_b64 s[8:9], s[18:19], 5
	s_cmp_ge_u32 s13, s4
	s_cbranch_scc1 .LBB171_11
; %bb.10:
	v_lshlrev_b64 v[0:1], 3, v[12:13]
	v_mad_u64_u32 v[2:3], null, v10, s18, 0
	s_lshl_b64 s[4:5], s[8:9], 3
	s_delay_alu instid0(SALU_CYCLE_1) | instskip(NEXT) | instid1(VALU_DEP_2)
	s_add_u32 s13, s25, s4
	v_add_co_u32 v0, vcc_lo, s15, v0
	s_delay_alu instid0(VALU_DEP_3) | instskip(SKIP_3) | instid1(VALU_DEP_1)
	v_add_co_ci_u32_e32 v1, vcc_lo, s22, v1, vcc_lo
	s_addc_u32 s14, s26, s5
	s_lshl_b64 s[4:5], s[16:17], 3
	s_lshl_b64 s[6:7], s[16:17], 4
	v_mad_u64_u32 v[4:5], null, s16, 24, v[0:1]
	v_add_co_u32 v14, vcc_lo, v0, s4
	v_add_co_ci_u32_e32 v15, vcc_lo, s5, v1, vcc_lo
	v_add_co_u32 v16, vcc_lo, v0, s6
	s_delay_alu instid0(VALU_DEP_4) | instskip(SKIP_1) | instid1(VALU_DEP_2)
	v_mad_u64_u32 v[6:7], null, v10, s19, v[3:4]
	v_add_co_ci_u32_e32 v17, vcc_lo, s7, v1, vcc_lo
	v_mov_b32_e32 v3, v6
	v_mad_u64_u32 v[6:7], null, s17, 24, v[5:6]
	s_delay_alu instid0(VALU_DEP_2) | instskip(NEXT) | instid1(VALU_DEP_2)
	v_lshlrev_b64 v[2:3], 3, v[2:3]
	v_mov_b32_e32 v5, v6
	s_delay_alu instid0(VALU_DEP_2) | instskip(NEXT) | instid1(VALU_DEP_3)
	v_add_co_u32 v2, vcc_lo, s13, v2
	v_add_co_ci_u32_e32 v3, vcc_lo, s14, v3, vcc_lo
	global_load_b64 v[30:31], v[0:1], off offset:256
	s_clause 0x2
	global_load_b64 v[32:33], v[14:15], off offset:256
	global_load_b64 v[34:35], v[16:17], off offset:256
	;; [unrolled: 1-line block ×3, first 2 shown]
	global_load_b64 v[28:29], v[2:3], off
	s_branch .LBB171_12
.LBB171_11:
	v_mov_b32_e32 v28, 0
	v_mov_b32_e32 v29, 0
                                        ; implicit-def: $vgpr30_vgpr31
                                        ; implicit-def: $vgpr32_vgpr33
                                        ; implicit-def: $vgpr34_vgpr35
                                        ; implicit-def: $vgpr36_vgpr37
.LBB171_12:
	s_load_b128 s[4:7], s[0:1], 0x60
	v_dual_mov_b32 v18, 0 :: v_dual_lshlrev_b32 v69, 3, v10
	v_mov_b32_e32 v19, 0
	v_or_b32_e32 v11, 16, v10
	s_waitcnt lgkmcnt(0)
	s_lshl_b64 s[4:5], s[4:5], 3
	s_mul_i32 s13, s3, s7
	s_mul_hi_u32 s14, s3, s6
	s_mul_i32 s27, s12, s6
	s_mul_i32 s12, s3, s6
	s_add_u32 s3, s20, s4
	s_addc_u32 s20, s21, s5
	s_add_i32 s4, s14, s13
	s_mul_i32 s21, s10, s7
	s_add_i32 s13, s4, s27
	s_mul_hi_u32 s27, s10, s6
	s_lshl_b64 s[4:5], s[12:13], 3
	s_mul_i32 s11, s11, s6
	s_add_u32 s3, s3, s4
	s_addc_u32 s14, s20, s5
	s_add_i32 s5, s27, s21
	s_mul_i32 s4, s10, s6
	s_add_i32 s5, s5, s11
	s_delay_alu instid0(SALU_CYCLE_1) | instskip(NEXT) | instid1(SALU_CYCLE_1)
	s_lshl_b64 s[4:5], s[4:5], 3
	s_add_u32 s12, s3, s4
	s_addc_u32 s13, s14, s5
	s_cmp_lt_i32 s24, 1
	s_cbranch_scc1 .LBB171_22
; %bb.13:
	v_mad_u64_u32 v[0:1], null, v11, s18, 0
	v_mad_u64_u32 v[2:3], null, v10, s18, 0
	v_mad_u64_u32 v[4:5], null, v66, s6, 0
	v_lshl_or_b32 v17, v67, 8, v69
	v_lshlrev_b64 v[40:41], 3, v[12:13]
	s_waitcnt vmcnt(4)
	v_mov_b32_e32 v47, v31
	s_waitcnt vmcnt(3)
	v_mov_b32_e32 v49, v33
	v_mad_u64_u32 v[6:7], null, v11, s19, v[1:2]
	v_mad_u64_u32 v[14:15], null, v10, s19, v[3:4]
	s_waitcnt vmcnt(2)
	v_dual_mov_b32 v51, v35 :: v_dual_add_nc_u32 v70, 0x1000, v17
	s_waitcnt vmcnt(1)
	v_mov_b32_e32 v53, v37
	v_lshl_add_u32 v71, v68, 3, 0x1800
	v_mov_b32_e32 v1, v6
	v_mad_u64_u32 v[15:16], null, v66, s7, v[5:6]
	v_dual_mov_b32 v3, v14 :: v_dual_mov_b32 v16, 0
	s_waitcnt vmcnt(0)
	v_dual_mov_b32 v17, 0 :: v_dual_mov_b32 v26, v28
	v_lshlrev_b64 v[38:39], 3, v[0:1]
	s_delay_alu instid0(VALU_DEP_3) | instskip(SKIP_4) | instid1(VALU_DEP_4)
	v_lshlrev_b64 v[42:43], 3, v[2:3]
	v_mov_b32_e32 v5, v15
	v_dual_mov_b32 v15, s13 :: v_dual_mov_b32 v14, s12
	v_mov_b32_e32 v23, v17
	v_mov_b32_e32 v21, v17
	v_lshlrev_b64 v[44:45], 3, v[4:5]
	v_dual_mov_b32 v19, v17 :: v_dual_mov_b32 v46, v30
	v_lshl_add_u32 v72, v66, 3, 0x1000
	s_lshl_b64 s[28:29], s[16:17], 4
	v_mov_b32_e32 v22, v16
	v_mov_b32_e32 v20, v16
	v_dual_mov_b32 v18, v16 :: v_dual_mov_b32 v27, v29
	v_mov_b32_e32 v48, v32
	v_mov_b32_e32 v50, v34
	;; [unrolled: 1-line block ×3, first 2 shown]
	s_add_i32 s20, s24, -1
	s_lshl_b64 s[4:5], s[6:7], 8
	s_lshl_b64 s[10:11], s[16:17], 3
	s_sub_u32 s21, 0, s28
	s_subb_u32 s27, 0, s29
	s_mov_b32 s28, 0
	s_lshl_b64 s[12:13], s[8:9], 3
.LBB171_14:                             ; =>This Loop Header: Depth=1
                                        ;     Child Loop BB171_18 Depth 2
	v_add_co_u32 v62, vcc_lo, s15, v40
	v_add_co_ci_u32_e32 v63, vcc_lo, s22, v41, vcc_lo
	s_add_u32 s25, s25, s12
	s_delay_alu instid0(VALU_DEP_2) | instskip(NEXT) | instid1(VALU_DEP_2)
	v_add_co_u32 v0, vcc_lo, v62, s10
	v_add_co_ci_u32_e32 v1, vcc_lo, s11, v63, vcc_lo
	s_addc_u32 s26, s26, s13
	s_delay_alu instid0(VALU_DEP_2) | instskip(NEXT) | instid1(VALU_DEP_2)
	v_add_co_u32 v2, vcc_lo, v0, s10
	v_add_co_ci_u32_e32 v3, vcc_lo, s11, v1, vcc_lo
	v_add_co_u32 v4, vcc_lo, s25, v38
	v_add_co_ci_u32_e32 v5, vcc_lo, s26, v39, vcc_lo
	s_delay_alu instid0(VALU_DEP_4) | instskip(NEXT) | instid1(VALU_DEP_4)
	v_add_co_u32 v64, vcc_lo, v2, s10
	v_add_co_ci_u32_e32 v65, vcc_lo, s11, v3, vcc_lo
	global_load_b64 v[24:25], v[4:5], off
	s_clause 0x3
	global_load_b64 v[54:55], v[0:1], off offset:384
	global_load_b64 v[56:57], v[2:3], off offset:384
	;; [unrolled: 1-line block ×4, first 2 shown]
	ds_load_b128 v[4:7], v71
	ds_load_b128 v[0:3], v71 offset:16
	s_cmp_eq_u32 s28, s20
	s_cbranch_scc1 .LBB171_16
; %bb.15:                               ;   in Loop: Header=BB171_14 Depth=1
	v_add_co_u32 v26, vcc_lo, v64, s21
	v_add_co_ci_u32_e32 v27, vcc_lo, s27, v65, vcc_lo
	s_add_u32 s29, s25, s12
	s_delay_alu instid0(VALU_DEP_2) | instskip(NEXT) | instid1(VALU_DEP_2)
	v_add_co_u32 v50, vcc_lo, v26, s10
	v_add_co_ci_u32_e32 v51, vcc_lo, s11, v27, vcc_lo
	s_addc_u32 s30, s26, s13
	s_delay_alu instid0(VALU_DEP_2) | instskip(NEXT) | instid1(VALU_DEP_2)
	v_add_co_u32 v52, vcc_lo, v50, s10
	v_add_co_ci_u32_e32 v53, vcc_lo, s11, v51, vcc_lo
	v_add_co_u32 v64, vcc_lo, s29, v42
	v_add_co_ci_u32_e32 v65, vcc_lo, s30, v43, vcc_lo
	s_clause 0x1
	global_load_b64 v[46:47], v[62:63], off offset:512
	global_load_b64 v[48:49], v[26:27], off offset:512
	;; [unrolled: 1-line block ×4, first 2 shown]
	global_load_b64 v[26:27], v[64:65], off
.LBB171_16:                             ;   in Loop: Header=BB171_14 Depth=1
	s_waitcnt lgkmcnt(1)
	v_fma_f64 v[62:63], v[30:31], v[4:5], 0
	s_waitcnt vmcnt(1)
	v_fma_f64 v[4:5], v[58:59], v[4:5], 0
	s_waitcnt vmcnt(0) lgkmcnt(0)
	s_barrier
	buffer_gl0_inv
	v_fma_f64 v[62:63], v[32:33], v[6:7], v[62:63]
	v_fma_f64 v[4:5], v[54:55], v[6:7], v[4:5]
	s_delay_alu instid0(VALU_DEP_2) | instskip(NEXT) | instid1(VALU_DEP_2)
	v_fma_f64 v[6:7], v[34:35], v[0:1], v[62:63]
	v_fma_f64 v[0:1], v[56:57], v[0:1], v[4:5]
	s_delay_alu instid0(VALU_DEP_2) | instskip(NEXT) | instid1(VALU_DEP_2)
	v_fma_f64 v[4:5], v[36:37], v[2:3], v[6:7]
	v_fma_f64 v[0:1], v[60:61], v[2:3], v[0:1]
	ds_store_2addr_b64 v70, v[4:5], v[0:1] offset1:16
	s_waitcnt lgkmcnt(0)
	s_barrier
	buffer_gl0_inv
	s_and_saveexec_b32 s29, s2
	s_cbranch_execz .LBB171_20
; %bb.17:                               ;   in Loop: Header=BB171_14 Depth=1
	ds_load_2addr_b64 v[4:7], v72 offset1:32
	v_add_co_u32 v14, vcc_lo, v14, s4
	v_add_co_ci_u32_e32 v15, vcc_lo, s5, v15, vcc_lo
	ds_load_2addr_b64 v[62:65], v72 offset0:64 offset1:96
	s_mov_b32 s30, 0
	s_waitcnt lgkmcnt(1)
	v_add_f64 v[0:1], v[4:5], 0
	v_add_co_u32 v4, vcc_lo, v14, v44
	v_add_co_ci_u32_e32 v5, vcc_lo, v15, v45, vcc_lo
	global_load_b64 v[2:3], v[4:5], off
	v_add_f64 v[0:1], v[0:1], v[6:7]
	s_waitcnt lgkmcnt(0)
	s_delay_alu instid0(VALU_DEP_1) | instskip(NEXT) | instid1(VALU_DEP_1)
	v_add_f64 v[0:1], v[0:1], v[62:63]
	v_add_f64 v[0:1], v[0:1], v[64:65]
	ds_load_2addr_b64 v[62:65], v72 offset0:128 offset1:160
	s_waitcnt lgkmcnt(0)
	v_add_f64 v[0:1], v[0:1], v[62:63]
	s_delay_alu instid0(VALU_DEP_1) | instskip(SKIP_3) | instid1(VALU_DEP_1)
	v_add_f64 v[0:1], v[0:1], v[64:65]
	ds_load_2addr_b64 v[62:65], v72 offset0:192 offset1:224
	s_waitcnt lgkmcnt(0)
	v_add_f64 v[0:1], v[0:1], v[62:63]
	v_add_f64 v[0:1], v[0:1], v[64:65]
	s_delay_alu instid0(VALU_DEP_1)
	v_mul_f64 v[6:7], v[8:9], v[0:1]
.LBB171_18:                             ;   Parent Loop BB171_14 Depth=1
                                        ; =>  This Inner Loop Header: Depth=2
	s_waitcnt vmcnt(0)
	s_delay_alu instid0(VALU_DEP_1)
	v_add_f64 v[0:1], v[2:3], v[6:7]
	global_atomic_cmpswap_b64 v[0:1], v[4:5], v[0:3], off glc
	s_waitcnt vmcnt(0)
	v_cmp_eq_u64_e32 vcc_lo, v[0:1], v[2:3]
	v_dual_mov_b32 v3, v1 :: v_dual_mov_b32 v2, v0
	s_or_b32 s30, vcc_lo, s30
	s_delay_alu instid0(SALU_CYCLE_1)
	s_and_not1_b32 exec_lo, exec_lo, s30
	s_cbranch_execnz .LBB171_18
; %bb.19:                               ;   in Loop: Header=BB171_14 Depth=1
	s_or_b32 exec_lo, exec_lo, s30
.LBB171_20:                             ;   in Loop: Header=BB171_14 Depth=1
	s_delay_alu instid0(SALU_CYCLE_1)
	s_or_b32 exec_lo, exec_lo, s29
	v_fma_f64 v[0:1], v[28:29], v[30:31], v[16:17]
	v_fma_f64 v[2:3], v[28:29], v[32:33], v[22:23]
	;; [unrolled: 1-line block ×4, first 2 shown]
	s_add_u32 s15, s15, 0x100
	s_addc_u32 s22, s22, 0
	s_add_i32 s28, s28, 1
	s_delay_alu instid0(SALU_CYCLE_1) | instskip(NEXT) | instid1(VALU_DEP_4)
	s_cmp_eq_u32 s28, s24
	v_fma_f64 v[16:17], v[24:25], v[58:59], v[0:1]
	s_delay_alu instid0(VALU_DEP_4) | instskip(NEXT) | instid1(VALU_DEP_4)
	v_fma_f64 v[22:23], v[24:25], v[54:55], v[2:3]
	v_fma_f64 v[20:21], v[24:25], v[56:57], v[4:5]
	s_delay_alu instid0(VALU_DEP_4)
	v_fma_f64 v[18:19], v[24:25], v[60:61], v[6:7]
	s_cbranch_scc1 .LBB171_23
; %bb.21:                               ;   in Loop: Header=BB171_14 Depth=1
	v_dual_mov_b32 v29, v27 :: v_dual_mov_b32 v28, v26
	v_dual_mov_b32 v30, v46 :: v_dual_mov_b32 v31, v47
	;; [unrolled: 1-line block ×5, first 2 shown]
	s_branch .LBB171_14
.LBB171_22:
	v_dual_mov_b32 v15, s13 :: v_dual_mov_b32 v14, s12
	v_dual_mov_b32 v21, v19 :: v_dual_mov_b32 v20, v18
	;; [unrolled: 1-line block ×5, first 2 shown]
	s_waitcnt vmcnt(0)
	v_dual_mov_b32 v26, v28 :: v_dual_mov_b32 v27, v29
.LBB171_23:
	s_and_b32 vcc_lo, exec_lo, s23
	s_cbranch_vccz .LBB171_32
; %bb.24:
	s_load_b32 s0, s[0:1], 0x78
	v_mov_b32_e32 v4, 0
	v_mov_b32_e32 v5, 0
	s_lshl_b64 s[4:5], s[8:9], 3
	s_delay_alu instid0(VALU_DEP_2)
	v_mov_b32_e32 v0, v4
	v_mov_b32_e32 v2, v4
	s_add_u32 s1, s25, s4
	v_mov_b32_e32 v3, v5
	v_mov_b32_e32 v1, v5
	v_dual_mov_b32 v33, v5 :: v_dual_mov_b32 v32, v4
	v_dual_mov_b32 v35, v5 :: v_dual_mov_b32 v34, v4
	s_addc_u32 s4, s26, s5
	s_mov_b32 s5, exec_lo
	s_waitcnt lgkmcnt(0)
	v_cmpx_gt_i32_e64 s0, v10
	s_cbranch_execz .LBB171_26
; %bb.25:
	v_lshlrev_b64 v[0:1], 3, v[12:13]
	v_mad_u64_u32 v[2:3], null, v10, s18, 0
	s_lshl_b64 s[8:9], s[16:17], 3
	s_lshl_b64 s[10:11], s[16:17], 4
	s_delay_alu instid0(VALU_DEP_2) | instskip(NEXT) | instid1(VALU_DEP_3)
	v_add_co_u32 v0, vcc_lo, s15, v0
	v_add_co_ci_u32_e32 v1, vcc_lo, s22, v1, vcc_lo
	s_delay_alu instid0(VALU_DEP_3) | instskip(NEXT) | instid1(VALU_DEP_2)
	v_mad_u64_u32 v[26:27], null, v10, s19, v[3:4]
	v_mad_u64_u32 v[6:7], null, s16, 24, v[0:1]
	s_delay_alu instid0(VALU_DEP_2) | instskip(NEXT) | instid1(VALU_DEP_2)
	v_mov_b32_e32 v3, v26
	v_mad_u64_u32 v[26:27], null, s17, 24, v[7:8]
	v_add_co_u32 v27, vcc_lo, v0, s8
	s_delay_alu instid0(VALU_DEP_3) | instskip(SKIP_3) | instid1(VALU_DEP_4)
	v_lshlrev_b64 v[2:3], 3, v[2:3]
	v_add_co_ci_u32_e32 v28, vcc_lo, s9, v1, vcc_lo
	v_add_co_u32 v29, vcc_lo, v0, s10
	v_add_co_ci_u32_e32 v30, vcc_lo, s11, v1, vcc_lo
	v_add_co_u32 v36, vcc_lo, s1, v2
	v_mov_b32_e32 v7, v26
	v_add_co_ci_u32_e32 v37, vcc_lo, s4, v3, vcc_lo
	s_clause 0x3
	global_load_b64 v[0:1], v[0:1], off offset:256
	global_load_b64 v[2:3], v[27:28], off offset:256
	;; [unrolled: 1-line block ×4, first 2 shown]
	global_load_b64 v[26:27], v[36:37], off
.LBB171_26:
	s_or_b32 exec_lo, exec_lo, s5
	v_dual_mov_b32 v7, v5 :: v_dual_mov_b32 v6, v4
	v_dual_mov_b32 v29, v5 :: v_dual_mov_b32 v28, v4
	;; [unrolled: 1-line block ×3, first 2 shown]
	s_mov_b32 s5, exec_lo
	v_cmpx_gt_i32_e64 s0, v11
	s_cbranch_execz .LBB171_28
; %bb.27:
	v_lshlrev_b64 v[4:5], 3, v[12:13]
	v_mad_u64_u32 v[6:7], null, v11, s18, 0
	s_lshl_b64 s[8:9], s[16:17], 3
	s_lshl_b64 s[10:11], s[16:17], 4
	s_delay_alu instid0(VALU_DEP_2) | instskip(NEXT) | instid1(VALU_DEP_3)
	v_add_co_u32 v4, vcc_lo, s15, v4
	v_add_co_ci_u32_e32 v5, vcc_lo, s22, v5, vcc_lo
	s_delay_alu instid0(VALU_DEP_3) | instskip(NEXT) | instid1(VALU_DEP_3)
	v_mad_u64_u32 v[28:29], null, v11, s19, v[7:8]
	v_add_co_u32 v12, vcc_lo, 0x100, v4
	s_delay_alu instid0(VALU_DEP_3) | instskip(NEXT) | instid1(VALU_DEP_3)
	v_add_co_ci_u32_e32 v13, vcc_lo, 0, v5, vcc_lo
	v_mov_b32_e32 v7, v28
	s_delay_alu instid0(VALU_DEP_2) | instskip(NEXT) | instid1(VALU_DEP_2)
	v_mad_u64_u32 v[24:25], null, s16, 24, v[12:13]
	v_lshlrev_b64 v[6:7], 3, v[6:7]
	s_delay_alu instid0(VALU_DEP_2) | instskip(NEXT) | instid1(VALU_DEP_1)
	v_mov_b32_e32 v11, v25
	v_mad_u64_u32 v[28:29], null, s17, 24, v[11:12]
	v_add_co_u32 v29, vcc_lo, v12, s8
	v_add_co_ci_u32_e32 v30, vcc_lo, s9, v13, vcc_lo
	v_add_co_u32 v11, vcc_lo, v12, s10
	v_add_co_ci_u32_e32 v12, vcc_lo, s11, v13, vcc_lo
	v_add_co_u32 v36, vcc_lo, s1, v6
	v_mov_b32_e32 v25, v28
	v_add_co_ci_u32_e32 v37, vcc_lo, s4, v7, vcc_lo
	s_clause 0x3
	global_load_b64 v[4:5], v[4:5], off offset:384
	global_load_b64 v[6:7], v[29:30], off offset:128
	;; [unrolled: 1-line block ×4, first 2 shown]
	global_load_b64 v[24:25], v[36:37], off
.LBB171_28:
	s_or_b32 exec_lo, exec_lo, s5
	v_lshlrev_b32_e32 v11, 3, v68
	s_waitcnt vmcnt(0)
	v_fma_f64 v[22:23], v[26:27], v[2:3], v[22:23]
	v_fma_f64 v[20:21], v[26:27], v[32:33], v[20:21]
	;; [unrolled: 1-line block ×3, first 2 shown]
	v_cmp_gt_i32_e32 vcc_lo, s0, v66
	ds_load_b128 v[36:39], v11 offset:6144
	ds_load_b128 v[40:43], v11 offset:6160
	s_waitcnt lgkmcnt(0)
	s_barrier
	buffer_gl0_inv
	s_and_b32 s1, s2, vcc_lo
	v_fma_f64 v[11:12], v[4:5], v[36:37], 0
	v_fma_f64 v[36:37], v[0:1], v[36:37], 0
	s_delay_alu instid0(VALU_DEP_2) | instskip(NEXT) | instid1(VALU_DEP_2)
	v_fma_f64 v[11:12], v[6:7], v[38:39], v[11:12]
	v_fma_f64 v[36:37], v[2:3], v[38:39], v[36:37]
	s_delay_alu instid0(VALU_DEP_2) | instskip(NEXT) | instid1(VALU_DEP_2)
	;; [unrolled: 3-line block ×3, first 2 shown]
	v_fma_f64 v[38:39], v[30:31], v[42:43], v[11:12]
	v_fma_f64 v[36:37], v[34:35], v[42:43], v[36:37]
	;; [unrolled: 1-line block ×3, first 2 shown]
	v_lshl_or_b32 v0, v67, 8, v69
	s_delay_alu instid0(VALU_DEP_1)
	v_add_nc_u32_e32 v0, 0x1000, v0
	ds_store_2addr_b64 v0, v[36:37], v[38:39] offset1:16
	s_waitcnt lgkmcnt(0)
	s_barrier
	buffer_gl0_inv
	s_and_saveexec_b32 s0, s1
	s_cbranch_execz .LBB171_31
; %bb.29:
	v_lshlrev_b32_e32 v0, 3, v66
	s_lshl_b64 s[4:5], s[6:7], 8
	s_mov_b32 s1, 0
	s_delay_alu instid0(VALU_DEP_1) | instskip(SKIP_3) | instid1(VALU_DEP_1)
	v_add_nc_u32_e32 v26, 0x1000, v0
	v_mad_u64_u32 v[0:1], null, v66, s6, 0
	ds_load_2addr_b64 v[32:35], v26 offset1:32
	v_mad_u64_u32 v[2:3], null, v66, s7, v[1:2]
	v_mov_b32_e32 v1, v2
	v_add_co_u32 v2, vcc_lo, v14, s4
	v_add_co_ci_u32_e32 v3, vcc_lo, s5, v15, vcc_lo
	s_delay_alu instid0(VALU_DEP_3) | instskip(SKIP_2) | instid1(VALU_DEP_2)
	v_lshlrev_b64 v[0:1], 3, v[0:1]
	s_waitcnt lgkmcnt(0)
	v_add_f64 v[16:17], v[32:33], 0
	v_add_co_u32 v13, vcc_lo, v2, v0
	s_delay_alu instid0(VALU_DEP_3)
	v_add_co_ci_u32_e32 v14, vcc_lo, v3, v1, vcc_lo
	global_load_b64 v[2:3], v[13:14], off
	v_add_f64 v[0:1], v[16:17], v[34:35]
	ds_load_2addr_b64 v[32:35], v26 offset0:64 offset1:96
	s_waitcnt lgkmcnt(0)
	v_add_f64 v[0:1], v[0:1], v[32:33]
	s_delay_alu instid0(VALU_DEP_1) | instskip(SKIP_3) | instid1(VALU_DEP_1)
	v_add_f64 v[0:1], v[0:1], v[34:35]
	ds_load_2addr_b64 v[32:35], v26 offset0:128 offset1:160
	s_waitcnt lgkmcnt(0)
	v_add_f64 v[0:1], v[0:1], v[32:33]
	v_add_f64 v[0:1], v[0:1], v[34:35]
	ds_load_2addr_b64 v[32:35], v26 offset0:192 offset1:224
	s_waitcnt lgkmcnt(0)
	v_add_f64 v[0:1], v[0:1], v[32:33]
	s_delay_alu instid0(VALU_DEP_1) | instskip(NEXT) | instid1(VALU_DEP_1)
	v_add_f64 v[0:1], v[0:1], v[34:35]
	v_mul_f64 v[15:16], v[8:9], v[0:1]
.LBB171_30:                             ; =>This Inner Loop Header: Depth=1
	s_waitcnt vmcnt(0)
	s_delay_alu instid0(VALU_DEP_1)
	v_add_f64 v[0:1], v[2:3], v[15:16]
	global_atomic_cmpswap_b64 v[0:1], v[13:14], v[0:3], off glc
	s_waitcnt vmcnt(0)
	v_cmp_eq_u64_e32 vcc_lo, v[0:1], v[2:3]
	v_dual_mov_b32 v3, v1 :: v_dual_mov_b32 v2, v0
	s_or_b32 s1, vcc_lo, s1
	s_delay_alu instid0(SALU_CYCLE_1)
	s_and_not1_b32 exec_lo, exec_lo, s1
	s_cbranch_execnz .LBB171_30
.LBB171_31:
	s_or_b32 exec_lo, exec_lo, s0
	v_fma_f64 v[16:17], v[24:25], v[4:5], v[11:12]
	v_fma_f64 v[22:23], v[24:25], v[6:7], v[22:23]
	;; [unrolled: 1-line block ×4, first 2 shown]
.LBB171_32:
	v_lshl_or_b32 v0, v67, 9, v69
	ds_store_2addr_b64 v0, v[16:17], v[22:23] offset1:16
	ds_store_2addr_b64 v0, v[20:21], v[18:19] offset0:32 offset1:48
	s_waitcnt lgkmcnt(0)
	s_barrier
	buffer_gl0_inv
	s_and_b32 exec_lo, exec_lo, s2
	s_cbranch_execz .LBB171_35
; %bb.33:
	v_lshlrev_b32_e32 v16, 4, v66
	v_add_nc_u32_e32 v2, 1, v66
	v_add_nc_u32_e32 v3, 2, v66
	;; [unrolled: 1-line block ×3, first 2 shown]
	s_mov_b32 s0, 0
	v_or_b32_e32 v12, v10, v16
	v_and_or_b32 v2, v2, 15, v16
	v_and_or_b32 v3, v3, 15, v16
	;; [unrolled: 1-line block ×3, first 2 shown]
	s_delay_alu instid0(VALU_DEP_4) | instskip(NEXT) | instid1(VALU_DEP_4)
	v_lshlrev_b32_e32 v0, 3, v12
	v_lshlrev_b32_e32 v2, 3, v2
	s_delay_alu instid0(VALU_DEP_4) | instskip(NEXT) | instid1(VALU_DEP_4)
	v_lshlrev_b32_e32 v5, 3, v3
	v_lshlrev_b32_e32 v6, 3, v4
	ds_load_b64 v[0:1], v0
	ds_load_b64 v[2:3], v2
	;; [unrolled: 1-line block ×4, first 2 shown]
	s_waitcnt lgkmcnt(3)
	v_add_f64 v[0:1], v[0:1], 0
	s_waitcnt lgkmcnt(2)
	s_delay_alu instid0(VALU_DEP_1) | instskip(SKIP_1) | instid1(VALU_DEP_1)
	v_add_f64 v[0:1], v[0:1], v[2:3]
	v_add_nc_u32_e32 v2, 4, v66
	v_and_or_b32 v2, v2, 15, v16
	s_delay_alu instid0(VALU_DEP_1)
	v_lshlrev_b32_e32 v2, 3, v2
	ds_load_b64 v[2:3], v2
	s_waitcnt lgkmcnt(2)
	v_add_f64 v[0:1], v[0:1], v[4:5]
	v_add_nc_u32_e32 v4, 5, v66
	v_add_nc_u32_e32 v5, 6, v66
	s_delay_alu instid0(VALU_DEP_2) | instskip(NEXT) | instid1(VALU_DEP_2)
	v_and_or_b32 v4, v4, 15, v16
	v_and_or_b32 v5, v5, 15, v16
	s_delay_alu instid0(VALU_DEP_2) | instskip(SKIP_4) | instid1(VALU_DEP_2)
	v_lshlrev_b32_e32 v4, 3, v4
	s_waitcnt lgkmcnt(1)
	v_add_f64 v[0:1], v[0:1], v[6:7]
	v_add_nc_u32_e32 v6, 7, v66
	v_lshlrev_b32_e32 v7, 3, v5
	v_and_or_b32 v6, v6, 15, v16
	s_delay_alu instid0(VALU_DEP_1)
	v_lshlrev_b32_e32 v10, 3, v6
	ds_load_b64 v[4:5], v4
	ds_load_b64 v[6:7], v7
	;; [unrolled: 1-line block ×3, first 2 shown]
	s_waitcnt lgkmcnt(3)
	v_add_f64 v[0:1], v[0:1], v[2:3]
	v_xor_b32_e32 v2, 8, v12
	s_delay_alu instid0(VALU_DEP_1)
	v_lshlrev_b32_e32 v2, 3, v2
	ds_load_b64 v[2:3], v2
	s_waitcnt lgkmcnt(3)
	v_add_f64 v[0:1], v[0:1], v[4:5]
	v_mad_u64_u32 v[4:5], null, v66, s6, 0
	s_waitcnt lgkmcnt(2)
	s_delay_alu instid0(VALU_DEP_2) | instskip(SKIP_2) | instid1(VALU_DEP_2)
	v_add_f64 v[0:1], v[0:1], v[6:7]
	v_add_nc_u32_e32 v6, 9, v66
	v_add_nc_u32_e32 v7, 10, v66
	v_and_or_b32 v6, v6, 15, v16
	s_delay_alu instid0(VALU_DEP_2) | instskip(NEXT) | instid1(VALU_DEP_1)
	v_and_or_b32 v7, v7, 15, v16
	v_lshlrev_b32_e32 v12, 3, v7
	s_waitcnt lgkmcnt(1)
	v_add_f64 v[0:1], v[0:1], v[10:11]
	v_lshlrev_b32_e32 v11, 3, v6
	v_mad_u64_u32 v[6:7], null, v66, s7, v[5:6]
	s_delay_alu instid0(VALU_DEP_1) | instskip(NEXT) | instid1(VALU_DEP_1)
	v_dual_mov_b32 v5, v6 :: v_dual_add_nc_u32 v10, 11, v66
	v_and_or_b32 v10, v10, 15, v16
	v_add_nc_u32_e32 v6, 12, v66
	s_delay_alu instid0(VALU_DEP_2) | instskip(SKIP_4) | instid1(VALU_DEP_1)
	v_lshlrev_b32_e32 v14, 3, v10
	ds_load_b64 v[10:11], v11
	ds_load_b64 v[12:13], v12
	;; [unrolled: 1-line block ×3, first 2 shown]
	v_and_or_b32 v6, v6, 15, v16
	v_lshlrev_b32_e32 v6, 3, v6
	ds_load_b64 v[6:7], v6
	s_waitcnt lgkmcnt(4)
	v_add_f64 v[0:1], v[0:1], v[2:3]
	v_lshlrev_b64 v[2:3], 3, v[4:5]
	s_delay_alu instid0(VALU_DEP_1) | instskip(NEXT) | instid1(VALU_DEP_2)
	v_add_co_u32 v4, vcc_lo, s3, v2
	v_add_co_ci_u32_e32 v5, vcc_lo, s14, v3, vcc_lo
	global_load_b64 v[2:3], v[4:5], off
	s_waitcnt lgkmcnt(3)
	v_add_f64 v[0:1], v[0:1], v[10:11]
	v_add_nc_u32_e32 v10, 13, v66
	v_add_nc_u32_e32 v11, 14, v66
	s_delay_alu instid0(VALU_DEP_2) | instskip(NEXT) | instid1(VALU_DEP_2)
	v_and_or_b32 v10, v10, 15, v16
	v_and_or_b32 v11, v11, 15, v16
	s_delay_alu instid0(VALU_DEP_2) | instskip(SKIP_4) | instid1(VALU_DEP_2)
	v_lshlrev_b32_e32 v10, 3, v10
	s_waitcnt lgkmcnt(2)
	v_add_f64 v[0:1], v[0:1], v[12:13]
	v_add_nc_u32_e32 v12, -1, v66
	v_lshlrev_b32_e32 v13, 3, v11
	v_and_or_b32 v12, v12, 15, v16
	s_waitcnt lgkmcnt(1)
	s_delay_alu instid0(VALU_DEP_4) | instskip(NEXT) | instid1(VALU_DEP_2)
	v_add_f64 v[0:1], v[0:1], v[14:15]
	v_lshlrev_b32_e32 v14, 3, v12
	ds_load_b64 v[10:11], v10
	ds_load_b64 v[12:13], v13
	;; [unrolled: 1-line block ×3, first 2 shown]
	s_waitcnt lgkmcnt(3)
	v_add_f64 v[0:1], v[0:1], v[6:7]
	s_waitcnt lgkmcnt(2)
	s_delay_alu instid0(VALU_DEP_1) | instskip(SKIP_1) | instid1(VALU_DEP_1)
	v_add_f64 v[0:1], v[0:1], v[10:11]
	s_waitcnt lgkmcnt(1)
	v_add_f64 v[0:1], v[0:1], v[12:13]
	s_waitcnt lgkmcnt(0)
	s_delay_alu instid0(VALU_DEP_1) | instskip(NEXT) | instid1(VALU_DEP_1)
	v_add_f64 v[0:1], v[0:1], v[14:15]
	v_mul_f64 v[6:7], v[8:9], v[0:1]
.LBB171_34:                             ; =>This Inner Loop Header: Depth=1
	s_waitcnt vmcnt(0)
	s_delay_alu instid0(VALU_DEP_1)
	v_add_f64 v[0:1], v[2:3], v[6:7]
	global_atomic_cmpswap_b64 v[0:1], v[4:5], v[0:3], off glc
	s_waitcnt vmcnt(0)
	v_cmp_eq_u64_e32 vcc_lo, v[0:1], v[2:3]
	v_dual_mov_b32 v3, v1 :: v_dual_mov_b32 v2, v0
	s_or_b32 s0, vcc_lo, s0
	s_delay_alu instid0(SALU_CYCLE_1)
	s_and_not1_b32 exec_lo, exec_lo, s0
	s_cbranch_execnz .LBB171_34
.LBB171_35:
	s_endpgm
	.section	.rodata,"a",@progbits
	.p2align	6, 0x0
	.amdhsa_kernel _ZL62rocblas_symv_kernel_lower_double_buffered_non_diagonal_genericILi32ELi4ELi4E24rocblas_internal_val_ptrIdEPKPKdPKPdEvbiT2_lT3_lllSA_lllT4_lllii
		.amdhsa_group_segment_fixed_size 6400
		.amdhsa_private_segment_fixed_size 0
		.amdhsa_kernarg_size 384
		.amdhsa_user_sgpr_count 13
		.amdhsa_user_sgpr_dispatch_ptr 0
		.amdhsa_user_sgpr_queue_ptr 0
		.amdhsa_user_sgpr_kernarg_segment_ptr 1
		.amdhsa_user_sgpr_dispatch_id 0
		.amdhsa_user_sgpr_private_segment_size 0
		.amdhsa_wavefront_size32 1
		.amdhsa_uses_dynamic_stack 0
		.amdhsa_enable_private_segment 0
		.amdhsa_system_sgpr_workgroup_id_x 1
		.amdhsa_system_sgpr_workgroup_id_y 1
		.amdhsa_system_sgpr_workgroup_id_z 1
		.amdhsa_system_sgpr_workgroup_info 0
		.amdhsa_system_vgpr_workitem_id 1
		.amdhsa_next_free_vgpr 73
		.amdhsa_next_free_sgpr 31
		.amdhsa_reserve_vcc 1
		.amdhsa_float_round_mode_32 0
		.amdhsa_float_round_mode_16_64 0
		.amdhsa_float_denorm_mode_32 3
		.amdhsa_float_denorm_mode_16_64 3
		.amdhsa_dx10_clamp 1
		.amdhsa_ieee_mode 1
		.amdhsa_fp16_overflow 0
		.amdhsa_workgroup_processor_mode 1
		.amdhsa_memory_ordered 1
		.amdhsa_forward_progress 0
		.amdhsa_shared_vgpr_count 0
		.amdhsa_exception_fp_ieee_invalid_op 0
		.amdhsa_exception_fp_denorm_src 0
		.amdhsa_exception_fp_ieee_div_zero 0
		.amdhsa_exception_fp_ieee_overflow 0
		.amdhsa_exception_fp_ieee_underflow 0
		.amdhsa_exception_fp_ieee_inexact 0
		.amdhsa_exception_int_div_zero 0
	.end_amdhsa_kernel
	.section	.text._ZL62rocblas_symv_kernel_lower_double_buffered_non_diagonal_genericILi32ELi4ELi4E24rocblas_internal_val_ptrIdEPKPKdPKPdEvbiT2_lT3_lllSA_lllT4_lllii,"axG",@progbits,_ZL62rocblas_symv_kernel_lower_double_buffered_non_diagonal_genericILi32ELi4ELi4E24rocblas_internal_val_ptrIdEPKPKdPKPdEvbiT2_lT3_lllSA_lllT4_lllii,comdat
.Lfunc_end171:
	.size	_ZL62rocblas_symv_kernel_lower_double_buffered_non_diagonal_genericILi32ELi4ELi4E24rocblas_internal_val_ptrIdEPKPKdPKPdEvbiT2_lT3_lllSA_lllT4_lllii, .Lfunc_end171-_ZL62rocblas_symv_kernel_lower_double_buffered_non_diagonal_genericILi32ELi4ELi4E24rocblas_internal_val_ptrIdEPKPKdPKPdEvbiT2_lT3_lllSA_lllT4_lllii
                                        ; -- End function
	.section	.AMDGPU.csdata,"",@progbits
; Kernel info:
; codeLenInByte = 4048
; NumSgprs: 33
; NumVgprs: 73
; ScratchSize: 0
; MemoryBound: 0
; FloatMode: 240
; IeeeMode: 1
; LDSByteSize: 6400 bytes/workgroup (compile time only)
; SGPRBlocks: 4
; VGPRBlocks: 9
; NumSGPRsForWavesPerEU: 33
; NumVGPRsForWavesPerEU: 73
; Occupancy: 16
; WaveLimiterHint : 1
; COMPUTE_PGM_RSRC2:SCRATCH_EN: 0
; COMPUTE_PGM_RSRC2:USER_SGPR: 13
; COMPUTE_PGM_RSRC2:TRAP_HANDLER: 0
; COMPUTE_PGM_RSRC2:TGID_X_EN: 1
; COMPUTE_PGM_RSRC2:TGID_Y_EN: 1
; COMPUTE_PGM_RSRC2:TGID_Z_EN: 1
; COMPUTE_PGM_RSRC2:TIDIG_COMP_CNT: 1
	.section	.text._ZL26rocblas_hemvn_kernel_lowerILb0ELi64ELi4ELi33ELi32ELi16ElPKdPKS1_PdEviT6_lT7_lT5_lS6_lS7_lS5_lT8_i,"axG",@progbits,_ZL26rocblas_hemvn_kernel_lowerILb0ELi64ELi4ELi33ELi32ELi16ElPKdPKS1_PdEviT6_lT7_lT5_lS6_lS7_lS5_lT8_i,comdat
	.globl	_ZL26rocblas_hemvn_kernel_lowerILb0ELi64ELi4ELi33ELi32ELi16ElPKdPKS1_PdEviT6_lT7_lT5_lS6_lS7_lS5_lT8_i ; -- Begin function _ZL26rocblas_hemvn_kernel_lowerILb0ELi64ELi4ELi33ELi32ELi16ElPKdPKS1_PdEviT6_lT7_lT5_lS6_lS7_lS5_lT8_i
	.p2align	8
	.type	_ZL26rocblas_hemvn_kernel_lowerILb0ELi64ELi4ELi33ELi32ELi16ElPKdPKS1_PdEviT6_lT7_lT5_lS6_lS7_lS5_lT8_i,@function
_ZL26rocblas_hemvn_kernel_lowerILb0ELi64ELi4ELi33ELi32ELi16ElPKdPKS1_PdEviT6_lT7_lT5_lS6_lS7_lS5_lT8_i: ; @_ZL26rocblas_hemvn_kernel_lowerILb0ELi64ELi4ELi33ELi32ELi16ElPKdPKS1_PdEviT6_lT7_lT5_lS6_lS7_lS5_lT8_i
; %bb.0:
	s_load_b64 s[2:3], s[0:1], 0x84
	s_add_u32 s20, s0, 0x78
	s_addc_u32 s21, s1, 0
	s_waitcnt lgkmcnt(0)
	s_lshr_b32 s4, s2, 16
	s_and_b32 s2, s2, 0xffff
	s_and_b32 s3, s3, 0xffff
	s_mul_i32 s2, s4, s2
	s_delay_alu instid0(SALU_CYCLE_1) | instskip(NEXT) | instid1(SALU_CYCLE_1)
	s_mul_i32 s2, s2, s3
	s_cmpk_lg_i32 s2, 0x100
	s_cbranch_scc1 .LBB172_6
; %bb.1:
	s_clause 0x1
	s_load_b256 s[4:11], s[0:1], 0x8
	s_load_b128 s[24:27], s[0:1], 0x58
	s_mov_b32 s16, s15
	s_waitcnt lgkmcnt(0)
	s_mul_i32 s3, s15, s7
	s_mul_hi_u32 s7, s15, s6
	s_mul_i32 s2, s15, s6
	s_add_i32 s3, s7, s3
	s_mul_i32 s6, s15, s27
	s_lshl_b64 s[2:3], s[2:3], 3
	s_mul_hi_u32 s7, s15, s26
	s_add_u32 s2, s4, s2
	s_addc_u32 s3, s5, s3
	s_add_i32 s5, s7, s6
	s_mul_i32 s4, s15, s26
	s_delay_alu instid0(SALU_CYCLE_1) | instskip(NEXT) | instid1(SALU_CYCLE_1)
	s_lshl_b64 s[4:5], s[4:5], 3
	s_add_u32 s6, s24, s4
	s_addc_u32 s7, s25, s5
	s_load_b64 s[4:5], s[2:3], 0x0
	s_load_b64 s[2:3], s[6:7], 0x0
	s_waitcnt lgkmcnt(0)
	v_cmp_eq_f64_e64 s6, s[4:5], 0
	v_cmp_eq_f64_e64 s2, s[2:3], 1.0
	s_delay_alu instid0(VALU_DEP_1) | instskip(NEXT) | instid1(SALU_CYCLE_1)
	s_and_b32 s2, s6, s2
	s_and_b32 vcc_lo, exec_lo, s2
	s_mov_b64 s[2:3], 0
	s_cbranch_vccnz .LBB172_6
; %bb.2:
	v_cmp_neq_f64_e64 s15, s[4:5], 0
	s_load_b64 s[12:13], s[0:1], 0x28
	s_and_b32 vcc_lo, exec_lo, s6
	s_mov_b32 s17, 0
	s_cbranch_vccnz .LBB172_4
; %bb.3:
	s_lshl_b64 s[2:3], s[16:17], 3
	s_delay_alu instid0(SALU_CYCLE_1)
	s_add_u32 s2, s8, s2
	s_addc_u32 s3, s9, s3
	s_lshl_b64 s[4:5], s[10:11], 3
	s_load_b64 s[2:3], s[2:3], 0x0
	s_waitcnt lgkmcnt(0)
	s_add_u32 s2, s2, s4
	s_addc_u32 s3, s3, s5
.LBB172_4:
	s_clause 0x1
	s_load_b128 s[4:7], s[0:1], 0x38
	s_load_b64 s[8:9], s[0:1], 0x48
	s_delay_alu instid0(VALU_DEP_1)
	v_cndmask_b32_e64 v1, 0, 1, s15
	s_and_not1_b32 vcc_lo, exec_lo, s15
	s_cbranch_vccnz .LBB172_7
; %bb.5:
	s_lshl_b64 s[10:11], s[16:17], 3
	s_waitcnt lgkmcnt(0)
	s_add_u32 s4, s4, s10
	s_addc_u32 s5, s5, s11
	s_lshl_b64 s[6:7], s[6:7], 3
	s_load_b64 s[4:5], s[4:5], 0x0
	s_waitcnt lgkmcnt(0)
	s_add_u32 s4, s4, s6
	s_addc_u32 s5, s5, s7
	v_cmp_ne_u32_e32 vcc_lo, 1, v1
	s_cbranch_vccz .LBB172_8
.LBB172_6:
	s_endpgm
.LBB172_7:
	s_waitcnt lgkmcnt(0)
	s_mov_b64 s[4:5], 0
	v_cmp_ne_u32_e32 vcc_lo, 1, v1
	s_cbranch_vccnz .LBB172_6
.LBB172_8:
	v_and_b32_e32 v26, 0x3ff, v0
	s_lshl_b32 s18, s14, 6
	s_clause 0x1
	s_load_b32 s15, s[0:1], 0x0
	s_load_b64 s[22:23], s[0:1], 0x68
	s_load_b32 s17, s[20:21], 0x0
	v_add_nc_u32_e32 v16, s18, v26
	v_bfe_u32 v72, v0, 10, 10
	s_delay_alu instid0(VALU_DEP_2) | instskip(SKIP_2) | instid1(VALU_DEP_3)
	v_ashrrev_i32_e32 v17, 31, v16
	v_mul_lo_u32 v3, v16, s9
	v_mad_u64_u32 v[1:2], null, v16, s8, 0
	v_mul_lo_u32 v4, v17, s8
	s_waitcnt lgkmcnt(0)
	s_ashr_i32 s28, s15, 31
	s_delay_alu instid0(VALU_DEP_1)
	v_add3_u32 v2, v2, v3, v4
	s_lshr_b32 s0, s28, 26
	s_add_i32 s6, s17, -1
	s_add_i32 s1, s15, s0
	v_cmp_ne_u32_e64 s0, 0, v72
	v_lshlrev_b64 v[0:1], 3, v[1:2]
	s_and_not1_b32 s1, s1, 63
	s_delay_alu instid0(SALU_CYCLE_1) | instskip(SKIP_2) | instid1(VALU_DEP_2)
	s_sub_i32 s7, s15, s1
	v_cmp_eq_u32_e64 s1, 0, v72
	s_cmp_eq_u32 s14, s6
	v_add_co_u32 v20, vcc_lo, s4, v0
	v_add_co_ci_u32_e32 v21, vcc_lo, s5, v1, vcc_lo
	s_cselect_b32 s20, s7, 0
	s_and_saveexec_b32 s4, s1
	s_cbranch_execz .LBB172_12
; %bb.9:
	v_cmp_gt_i32_e32 vcc_lo, s20, v26
	s_cmp_eq_u32 s20, 0
	v_mov_b32_e32 v0, 0
	v_mov_b32_e32 v1, 0
	s_cselect_b32 s5, -1, 0
	s_delay_alu instid0(SALU_CYCLE_1) | instskip(NEXT) | instid1(SALU_CYCLE_1)
	s_or_b32 s6, s5, vcc_lo
	s_and_saveexec_b32 s5, s6
	s_cbranch_execz .LBB172_11
; %bb.10:
	flat_load_b64 v[0:1], v[20:21]
.LBB172_11:
	s_or_b32 exec_lo, exec_lo, s5
	v_lshlrev_b32_e32 v2, 3, v26
	s_waitcnt vmcnt(0) lgkmcnt(0)
	ds_store_b64 v2, v[0:1] offset:9088
.LBB172_12:
	s_or_b32 exec_lo, exec_lo, s4
	v_lshl_add_u32 v27, v72, 6, v26
	v_dual_mov_b32 v1, 0 :: v_dual_and_b32 v0, 31, v26
	s_ashr_i32 s19, s18, 31
	s_mul_i32 s6, s18, s13
	s_delay_alu instid0(VALU_DEP_2)
	v_lshrrev_b32_e32 v11, 5, v27
	s_lshl_b64 s[4:5], s[18:19], 3
	s_mul_hi_u32 s7, s18, s12
	s_add_u32 s4, s2, s4
	s_mul_i32 s10, s19, s12
	v_mad_u64_u32 v[2:3], null, v11, s12, v[0:1]
	s_addc_u32 s5, s3, s5
	s_add_i32 s3, s7, s6
	s_mul_i32 s2, s18, s12
	s_add_i32 s3, s3, s10
	s_delay_alu instid0(SALU_CYCLE_1) | instskip(NEXT) | instid1(VALU_DEP_1)
	s_lshl_b64 s[24:25], s[2:3], 3
	v_mov_b32_e32 v1, v3
	s_add_u32 s2, s24, s4
	s_addc_u32 s3, s25, s5
	s_cmp_lg_u32 s20, 0
	s_cselect_b32 s29, -1, 0
	v_mad_u64_u32 v[3:4], null, v11, s13, v[1:2]
	s_cmp_eq_u32 s20, 0
	s_cselect_b32 s7, -1, 0
	s_delay_alu instid0(VALU_DEP_1) | instskip(NEXT) | instid1(VALU_DEP_1)
	v_lshlrev_b64 v[22:23], 3, v[2:3]
	v_add_co_u32 v1, vcc_lo, s2, v22
	s_delay_alu instid0(VALU_DEP_2)
	v_add_co_ci_u32_e32 v2, vcc_lo, s3, v23, vcc_lo
	s_and_b32 vcc_lo, exec_lo, s29
	s_mov_b32 s2, 0
	s_cbranch_vccnz .LBB172_14
; %bb.13:
	flat_load_b64 v[3:4], v[1:2]
	v_mul_u32_u24_e32 v5, 33, v11
	s_lshl_b64 s[4:5], s[12:13], 6
	s_delay_alu instid0(VALU_DEP_1)
	v_add_lshl_u32 v9, v5, v0, 3
	v_add_co_u32 v5, vcc_lo, v1, s4
	v_add_co_ci_u32_e32 v6, vcc_lo, s5, v2, vcc_lo
	s_waitcnt vmcnt(0) lgkmcnt(0)
	ds_store_b64 v9, v[3:4]
	flat_load_b64 v[3:4], v[5:6]
	v_add_co_u32 v5, vcc_lo, v5, s4
	v_add_co_ci_u32_e32 v6, vcc_lo, s5, v6, vcc_lo
	s_waitcnt vmcnt(0) lgkmcnt(0)
	ds_store_b64 v9, v[3:4] offset:2112
	flat_load_b64 v[3:4], v[5:6]
	v_mad_u64_u32 v[5:6], null, 0xc0, s12, v[1:2]
	s_delay_alu instid0(VALU_DEP_1) | instskip(NEXT) | instid1(VALU_DEP_1)
	v_mad_u64_u32 v[7:8], null, 0xc0, s13, v[6:7]
	v_mov_b32_e32 v6, v7
	s_waitcnt vmcnt(0) lgkmcnt(0)
	ds_store_b64 v9, v[3:4] offset:4224
	flat_load_b64 v[3:4], v[5:6]
	s_waitcnt vmcnt(0) lgkmcnt(0)
	ds_store_b64 v9, v[3:4] offset:6336
	s_and_not1_b32 vcc_lo, exec_lo, s2
	s_cbranch_vccz .LBB172_15
	s_branch .LBB172_24
.LBB172_14:
.LBB172_15:
	v_dual_mov_b32 v5, 0 :: v_dual_lshlrev_b32 v12, 3, v0
	s_ashr_i32 s21, s20, 31
	s_mov_b32 s3, exec_lo
	s_lshl_b64 s[4:5], s[20:21], 3
	s_delay_alu instid0(VALU_DEP_1) | instskip(SKIP_1) | instid1(VALU_DEP_2)
	v_sub_co_u32 v3, vcc_lo, v1, v12
	v_subrev_co_ci_u32_e32 v4, vcc_lo, 0, v2, vcc_lo
	v_add_co_u32 v3, vcc_lo, v3, s4
	s_delay_alu instid0(VALU_DEP_2) | instskip(NEXT) | instid1(VALU_DEP_2)
	v_add_co_ci_u32_e32 v4, vcc_lo, s5, v4, vcc_lo
	v_add_co_u32 v3, vcc_lo, v3, -8
	s_delay_alu instid0(VALU_DEP_2) | instskip(SKIP_1) | instid1(VALU_DEP_3)
	v_add_co_ci_u32_e32 v4, vcc_lo, -1, v4, vcc_lo
	v_cmp_gt_i32_e32 vcc_lo, s20, v0
	v_dual_mov_b32 v6, 0 :: v_dual_cndmask_b32 v3, v3, v1
	s_delay_alu instid0(VALU_DEP_1) | instskip(NEXT) | instid1(VALU_DEP_4)
	v_mov_b32_e32 v8, v6
	v_dual_cndmask_b32 v4, v4, v2 :: v_dual_mov_b32 v7, v5
	v_cmpx_gt_i32_e64 s20, v11
	s_cbranch_execz .LBB172_17
; %bb.16:
	flat_load_b64 v[7:8], v[3:4]
.LBB172_17:
	s_or_b32 exec_lo, exec_lo, s3
	v_mul_u32_u24_e32 v9, 33, v11
	v_add_nc_u32_e32 v10, 8, v11
	s_mov_b32 s3, exec_lo
	s_delay_alu instid0(VALU_DEP_2)
	v_add_lshl_u32 v13, v9, v0, 3
	s_waitcnt vmcnt(0) lgkmcnt(0)
	ds_store_b64 v13, v[7:8]
	v_cmpx_gt_i32_e64 s20, v10
	s_cbranch_execz .LBB172_19
; %bb.18:
	s_lshl_b64 s[10:11], s[12:13], 6
	s_delay_alu instid0(SALU_CYCLE_1) | instskip(NEXT) | instid1(VALU_DEP_1)
	v_add_co_u32 v5, s2, v3, s10
	v_add_co_ci_u32_e64 v6, s2, s11, v4, s2
	flat_load_b64 v[5:6], v[5:6]
.LBB172_19:
	s_or_b32 exec_lo, exec_lo, s3
	v_mov_b32_e32 v7, 0
	v_dual_mov_b32 v8, 0 :: v_dual_add_nc_u32 v9, 16, v11
	s_waitcnt vmcnt(0) lgkmcnt(0)
	ds_store_b64 v13, v[5:6] offset:2112
	v_cmp_gt_i32_e64 s2, s20, v9
	v_dual_mov_b32 v10, v8 :: v_dual_mov_b32 v9, v7
	s_delay_alu instid0(VALU_DEP_2)
	s_and_saveexec_b32 s3, s2
	s_cbranch_execz .LBB172_21
; %bb.20:
	s_lshl_b64 s[10:11], s[12:13], 7
	s_delay_alu instid0(SALU_CYCLE_1) | instskip(NEXT) | instid1(VALU_DEP_1)
	v_add_co_u32 v5, s2, v3, s10
	v_add_co_ci_u32_e64 v6, s2, s11, v4, s2
	flat_load_b64 v[9:10], v[5:6]
.LBB172_21:
	s_or_b32 exec_lo, exec_lo, s3
	v_add_nc_u32_e32 v5, 24, v11
	s_mov_b32 s3, exec_lo
	s_waitcnt vmcnt(0) lgkmcnt(0)
	ds_store_b64 v13, v[9:10] offset:4224
	v_cmpx_gt_i32_e64 s20, v5
	s_cbranch_execz .LBB172_23
; %bb.22:
	v_mad_u64_u32 v[5:6], null, 0xc0, s12, v[3:4]
	s_delay_alu instid0(VALU_DEP_1) | instskip(NEXT) | instid1(VALU_DEP_1)
	v_mad_u64_u32 v[7:8], null, 0xc0, s13, v[6:7]
	v_mov_b32_e32 v6, v7
	flat_load_b64 v[7:8], v[5:6]
.LBB172_23:
	s_or_b32 exec_lo, exec_lo, s3
	v_add_co_u32 v3, s2, v3, v12
	s_delay_alu instid0(VALU_DEP_1) | instskip(SKIP_3) | instid1(VALU_DEP_1)
	v_add_co_ci_u32_e64 v4, s2, 0, v4, s2
	s_waitcnt vmcnt(0) lgkmcnt(0)
	ds_store_b64 v13, v[7:8] offset:6336
	v_sub_co_u32 v3, s2, v3, s4
	v_subrev_co_ci_u32_e64 v4, s2, s5, v4, s2
	s_delay_alu instid0(VALU_DEP_2) | instskip(NEXT) | instid1(VALU_DEP_1)
	v_add_co_u32 v3, s2, v3, 8
	v_add_co_ci_u32_e64 v4, s2, 0, v4, s2
	s_delay_alu instid0(VALU_DEP_1)
	v_dual_cndmask_b32 v1, v3, v1 :: v_dual_cndmask_b32 v2, v4, v2
.LBB172_24:
	v_lshlrev_b32_e32 v3, 2, v11
	v_mul_u32_u24_e32 v28, 33, v0
	v_mul_u32_u24_e32 v4, 0x84, v11
	s_waitcnt lgkmcnt(0)
	s_barrier
	v_cmp_lt_u32_e64 s3, v3, v0
	v_add_lshl_u32 v30, v3, v28, 3
	buffer_gl0_inv
	s_and_saveexec_b32 s2, s3
	s_cbranch_execz .LBB172_26
; %bb.25:
	v_add_lshl_u32 v5, v4, v0, 3
	ds_load_b64 v[5:6], v5
	s_waitcnt lgkmcnt(0)
	ds_store_b64 v30, v[5:6]
.LBB172_26:
	s_or_b32 exec_lo, exec_lo, s2
	v_or_b32_e32 v5, 1, v3
	s_delay_alu instid0(VALU_DEP_1) | instskip(NEXT) | instid1(VALU_DEP_1)
	v_cmp_lt_u32_e64 s4, v5, v0
	s_and_saveexec_b32 s2, s4
	s_cbranch_execz .LBB172_28
; %bb.27:
	v_mul_u32_u24_e32 v5, 33, v5
	s_delay_alu instid0(VALU_DEP_1)
	v_add_lshl_u32 v5, v5, v0, 3
	ds_load_b64 v[5:6], v5
	s_waitcnt lgkmcnt(0)
	ds_store_b64 v30, v[5:6] offset:8
.LBB172_28:
	s_or_b32 exec_lo, exec_lo, s2
	v_or_b32_e32 v5, 2, v3
	s_delay_alu instid0(VALU_DEP_1) | instskip(NEXT) | instid1(VALU_DEP_1)
	v_cmp_lt_u32_e64 s5, v5, v0
	s_and_saveexec_b32 s2, s5
	s_cbranch_execz .LBB172_30
; %bb.29:
	v_mul_u32_u24_e32 v5, 33, v5
	s_delay_alu instid0(VALU_DEP_1)
	v_add_lshl_u32 v5, v5, v0, 3
	ds_load_b64 v[5:6], v5
	s_waitcnt lgkmcnt(0)
	ds_store_b64 v30, v[5:6] offset:16
.LBB172_30:
	s_or_b32 exec_lo, exec_lo, s2
	v_or_b32_e32 v5, 3, v3
	s_delay_alu instid0(VALU_DEP_1) | instskip(SKIP_1) | instid1(VALU_DEP_2)
	v_mad_u32_u24 v6, v5, 33, v0
	v_cmp_lt_u32_e64 s6, v5, v0
	v_lshlrev_b32_e32 v9, 3, v6
	s_delay_alu instid0(VALU_DEP_2)
	s_and_saveexec_b32 s2, s6
	s_cbranch_execz .LBB172_32
; %bb.31:
	ds_load_b64 v[5:6], v9
	s_waitcnt lgkmcnt(0)
	ds_store_b64 v30, v[5:6] offset:24
.LBB172_32:
	s_or_b32 exec_lo, exec_lo, s2
	v_add_lshl_u32 v10, v4, v0, 3
	v_lshlrev_b32_e32 v12, 3, v3
	v_dual_mov_b32 v18, 0 :: v_dual_add_nc_u32 v13, 0xfffffdf0, v9
	s_waitcnt lgkmcnt(0)
	s_barrier
	buffer_gl0_inv
	v_mov_b32_e32 v19, 0
	ds_load_b64 v[7:8], v10
	ds_load_b128 v[3:6], v12 offset:9088
	ds_load_2addr_b64 v[31:34], v13 offset1:33
	v_add_lshl_u32 v29, v11, v28, 3
	v_cmp_gt_u32_e64 s2, 32, v27
	s_waitcnt lgkmcnt(1)
	v_fma_f64 v[3:4], v[7:8], v[3:4], 0
	s_waitcnt lgkmcnt(0)
	s_delay_alu instid0(VALU_DEP_1)
	v_fma_f64 v[7:8], v[31:32], v[5:6], v[3:4]
	ds_load_b128 v[3:6], v12 offset:9104
	ds_load_b64 v[14:15], v9
	s_waitcnt lgkmcnt(0)
	s_barrier
	buffer_gl0_inv
	v_fma_f64 v[3:4], v[33:34], v[3:4], v[7:8]
	s_delay_alu instid0(VALU_DEP_1)
	v_fma_f64 v[3:4], v[14:15], v[5:6], v[3:4]
	ds_store_b64 v29, v[3:4]
	s_waitcnt lgkmcnt(0)
	s_barrier
	buffer_gl0_inv
	s_and_saveexec_b32 s10, s2
	s_cbranch_execz .LBB172_34
; %bb.33:
	v_lshlrev_b32_e32 v14, 3, v28
	ds_load_2addr_b64 v[3:6], v14 offset1:1
	ds_load_2addr_b64 v[31:34], v14 offset0:2 offset1:3
	s_waitcnt lgkmcnt(1)
	v_add_f64 v[3:4], v[3:4], v[5:6]
	s_waitcnt lgkmcnt(0)
	s_delay_alu instid0(VALU_DEP_1) | instskip(NEXT) | instid1(VALU_DEP_1)
	v_add_f64 v[3:4], v[3:4], v[31:32]
	v_add_f64 v[7:8], v[3:4], v[33:34]
	ds_load_2addr_b64 v[3:6], v14 offset0:4 offset1:5
	ds_load_2addr_b64 v[31:34], v14 offset0:6 offset1:7
	s_waitcnt lgkmcnt(1)
	v_add_f64 v[3:4], v[7:8], v[3:4]
	s_delay_alu instid0(VALU_DEP_1) | instskip(SKIP_1) | instid1(VALU_DEP_1)
	v_add_f64 v[3:4], v[3:4], v[5:6]
	s_waitcnt lgkmcnt(0)
	v_add_f64 v[3:4], v[3:4], v[31:32]
	s_delay_alu instid0(VALU_DEP_1)
	v_add_f64 v[18:19], v[3:4], v[33:34]
.LBB172_34:
	s_or_b32 exec_lo, exec_lo, s10
	s_lshl_b64 s[10:11], s[12:13], 8
	v_cndmask_b32_e64 v14, 0, 1, s7
	v_add_co_u32 v1, vcc_lo, v1, s10
	v_add_co_ci_u32_e32 v2, vcc_lo, s11, v2, vcc_lo
	s_delay_alu instid0(VALU_DEP_2) | instskip(NEXT) | instid1(VALU_DEP_2)
	v_add_co_u32 v15, vcc_lo, 0x100, v1
	v_add_co_ci_u32_e32 v25, vcc_lo, 0, v2, vcc_lo
	s_and_not1_b32 vcc_lo, exec_lo, s7
	s_barrier
	buffer_gl0_inv
	s_cbranch_vccnz .LBB172_36
; %bb.35:
	flat_load_b64 v[3:4], v[1:2] offset:256
	v_mul_u32_u24_e32 v5, 33, v11
	s_lshl_b64 s[26:27], s[12:13], 6
	s_delay_alu instid0(VALU_DEP_1)
	v_add_lshl_u32 v8, v5, v0, 3
	v_add_co_u32 v5, vcc_lo, v1, s26
	v_add_co_ci_u32_e32 v6, vcc_lo, s27, v2, vcc_lo
	s_waitcnt vmcnt(0) lgkmcnt(0)
	ds_store_b64 v8, v[3:4]
	flat_load_b64 v[3:4], v[5:6] offset:256
	v_add_co_u32 v5, vcc_lo, v5, s26
	v_add_co_ci_u32_e32 v6, vcc_lo, s27, v6, vcc_lo
	s_waitcnt vmcnt(0) lgkmcnt(0)
	ds_store_b64 v8, v[3:4] offset:2112
	flat_load_b64 v[3:4], v[5:6] offset:256
	v_mad_u64_u32 v[5:6], null, 0xc0, s12, v[1:2]
	s_delay_alu instid0(VALU_DEP_1) | instskip(NEXT) | instid1(VALU_DEP_1)
	v_mov_b32_e32 v1, v6
	v_mad_u64_u32 v[6:7], null, 0xc0, s13, v[1:2]
	s_waitcnt vmcnt(0) lgkmcnt(0)
	ds_store_b64 v8, v[3:4] offset:4224
	flat_load_b64 v[1:2], v[5:6] offset:256
	s_waitcnt vmcnt(0) lgkmcnt(0)
	ds_store_b64 v8, v[1:2] offset:6336
	s_cbranch_execz .LBB172_37
	s_branch .LBB172_46
.LBB172_36:
.LBB172_37:
	v_or_b32_e32 v1, 32, v0
	s_ashr_i32 s21, s20, 31
	s_mov_b32 s30, exec_lo
	s_lshl_b64 s[26:27], s[20:21], 3
	s_sub_i32 s21, s20, 32
	v_lshlrev_b32_e32 v2, 3, v1
	s_delay_alu instid0(VALU_DEP_1) | instskip(SKIP_1) | instid1(VALU_DEP_2)
	v_sub_co_u32 v2, vcc_lo, v15, v2
	v_subrev_co_ci_u32_e32 v3, vcc_lo, 0, v25, vcc_lo
	v_add_co_u32 v2, vcc_lo, v2, s26
	s_delay_alu instid0(VALU_DEP_2) | instskip(SKIP_1) | instid1(VALU_DEP_3)
	v_add_co_ci_u32_e32 v5, vcc_lo, s27, v3, vcc_lo
	v_mov_b32_e32 v3, 0
	v_add_co_u32 v6, vcc_lo, v2, -8
	s_delay_alu instid0(VALU_DEP_3) | instskip(SKIP_1) | instid1(VALU_DEP_3)
	v_add_co_ci_u32_e32 v2, vcc_lo, -1, v5, vcc_lo
	v_cmp_gt_i32_e32 vcc_lo, s20, v1
	v_dual_mov_b32 v4, 0 :: v_dual_cndmask_b32 v1, v6, v15
	s_delay_alu instid0(VALU_DEP_1) | instskip(NEXT) | instid1(VALU_DEP_4)
	v_mov_b32_e32 v6, v4
	v_dual_cndmask_b32 v2, v2, v25 :: v_dual_mov_b32 v5, v3
	v_cmpx_gt_i32_e64 s21, v11
	s_cbranch_execz .LBB172_39
; %bb.38:
	flat_load_b64 v[5:6], v[1:2]
.LBB172_39:
	s_or_b32 exec_lo, exec_lo, s30
	v_mul_u32_u24_e32 v7, 33, v11
	v_add_nc_u32_e32 v8, 8, v11
	s_mov_b32 s30, exec_lo
	s_delay_alu instid0(VALU_DEP_2)
	v_add_lshl_u32 v24, v7, v0, 3
	s_waitcnt vmcnt(0) lgkmcnt(0)
	ds_store_b64 v24, v[5:6]
	v_cmpx_gt_i32_e64 s21, v8
	s_cbranch_execz .LBB172_41
; %bb.40:
	s_lshl_b64 s[34:35], s[12:13], 6
	s_delay_alu instid0(SALU_CYCLE_1) | instskip(NEXT) | instid1(VALU_DEP_1)
	v_add_co_u32 v3, s7, v1, s34
	v_add_co_ci_u32_e64 v4, s7, s35, v2, s7
	flat_load_b64 v[3:4], v[3:4]
.LBB172_41:
	s_or_b32 exec_lo, exec_lo, s30
	v_mov_b32_e32 v5, 0
	v_dual_mov_b32 v6, 0 :: v_dual_add_nc_u32 v7, 16, v11
	s_waitcnt vmcnt(0) lgkmcnt(0)
	ds_store_b64 v24, v[3:4] offset:2112
	v_cmp_gt_i32_e64 s7, s21, v7
	v_dual_mov_b32 v8, v6 :: v_dual_mov_b32 v7, v5
	s_delay_alu instid0(VALU_DEP_2)
	s_and_saveexec_b32 s30, s7
	s_cbranch_execz .LBB172_43
; %bb.42:
	s_lshl_b64 s[34:35], s[12:13], 7
	s_delay_alu instid0(SALU_CYCLE_1) | instskip(NEXT) | instid1(VALU_DEP_1)
	v_add_co_u32 v3, s7, v1, s34
	v_add_co_ci_u32_e64 v4, s7, s35, v2, s7
	flat_load_b64 v[7:8], v[3:4]
.LBB172_43:
	s_or_b32 exec_lo, exec_lo, s30
	v_add_nc_u32_e32 v3, 24, v11
	s_waitcnt vmcnt(0) lgkmcnt(0)
	ds_store_b64 v24, v[7:8] offset:4224
	v_cmp_gt_i32_e64 s7, s21, v3
	s_delay_alu instid0(VALU_DEP_1)
	s_and_saveexec_b32 s21, s7
	s_cbranch_execz .LBB172_45
; %bb.44:
	v_mad_u64_u32 v[3:4], null, 0xc0, s12, v[1:2]
	s_delay_alu instid0(VALU_DEP_1) | instskip(NEXT) | instid1(VALU_DEP_1)
	v_mad_u64_u32 v[5:6], null, 0xc0, s13, v[4:5]
	v_mov_b32_e32 v4, v5
	flat_load_b64 v[5:6], v[3:4]
.LBB172_45:
	s_or_b32 exec_lo, exec_lo, s21
	v_lshlrev_b32_e32 v3, 3, v0
	s_waitcnt vmcnt(0) lgkmcnt(0)
	ds_store_b64 v24, v[5:6] offset:6336
	v_add_co_u32 v1, s7, v1, v3
	s_delay_alu instid0(VALU_DEP_1) | instskip(NEXT) | instid1(VALU_DEP_2)
	v_add_co_ci_u32_e64 v2, s7, 0, v2, s7
	v_sub_co_u32 v1, s7, v1, s26
	s_delay_alu instid0(VALU_DEP_1) | instskip(NEXT) | instid1(VALU_DEP_2)
	v_subrev_co_ci_u32_e64 v2, s7, s27, v2, s7
	v_add_co_u32 v1, s7, 0x108, v1
	s_delay_alu instid0(VALU_DEP_1) | instskip(NEXT) | instid1(VALU_DEP_2)
	v_add_co_ci_u32_e64 v2, s7, 0, v2, s7
	v_cndmask_b32_e32 v15, v1, v15, vcc_lo
	s_delay_alu instid0(VALU_DEP_2)
	v_cndmask_b32_e32 v25, v2, v25, vcc_lo
.LBB172_46:
	v_add_nc_u32_e32 v12, 0x2380, v12
	s_lshl_b64 s[26:27], s[12:13], 5
	s_waitcnt lgkmcnt(0)
	s_barrier
	buffer_gl0_inv
	s_and_saveexec_b32 s7, s3
	s_cbranch_execnz .LBB172_55
; %bb.47:
	s_or_b32 exec_lo, exec_lo, s7
	s_and_saveexec_b32 s3, s4
	s_cbranch_execnz .LBB172_56
.LBB172_48:
	s_or_b32 exec_lo, exec_lo, s3
	s_and_saveexec_b32 s3, s5
	s_cbranch_execnz .LBB172_57
.LBB172_49:
	s_or_b32 exec_lo, exec_lo, s3
	s_and_saveexec_b32 s3, s6
	s_cbranch_execz .LBB172_51
.LBB172_50:
	ds_load_b64 v[1:2], v9
	s_waitcnt lgkmcnt(0)
	ds_store_b64 v30, v[1:2] offset:24
.LBB172_51:
	s_or_b32 exec_lo, exec_lo, s3
	s_waitcnt lgkmcnt(0)
	s_barrier
	buffer_gl0_inv
	ds_load_b64 v[5:6], v10
	ds_load_b128 v[1:4], v12 offset:256
	v_cmp_eq_u32_e64 s3, 1, v11
	s_waitcnt lgkmcnt(0)
	v_fma_f64 v[1:2], v[5:6], v[1:2], 0
	ds_load_2addr_b64 v[5:8], v13 offset1:33
	s_waitcnt lgkmcnt(0)
	v_fma_f64 v[5:6], v[5:6], v[3:4], v[1:2]
	ds_load_b128 v[1:4], v12 offset:272
	ds_load_b64 v[9:10], v9
	s_waitcnt lgkmcnt(0)
	s_barrier
	buffer_gl0_inv
	v_fma_f64 v[1:2], v[7:8], v[1:2], v[5:6]
	s_delay_alu instid0(VALU_DEP_1)
	v_fma_f64 v[1:2], v[9:10], v[3:4], v[1:2]
	ds_store_b64 v29, v[1:2]
	s_waitcnt lgkmcnt(0)
	s_barrier
	buffer_gl0_inv
	s_and_saveexec_b32 s4, s3
	s_cbranch_execz .LBB172_53
; %bb.52:
	v_lshlrev_b32_e32 v13, 3, v28
	ds_load_2addr_b64 v[1:4], v13 offset1:1
	ds_load_2addr_b64 v[5:8], v13 offset0:2 offset1:3
	s_waitcnt lgkmcnt(1)
	v_add_f64 v[1:2], v[1:2], v[3:4]
	s_waitcnt lgkmcnt(0)
	s_delay_alu instid0(VALU_DEP_1) | instskip(NEXT) | instid1(VALU_DEP_1)
	v_add_f64 v[1:2], v[1:2], v[5:6]
	v_add_f64 v[9:10], v[1:2], v[7:8]
	ds_load_2addr_b64 v[1:4], v13 offset0:4 offset1:5
	ds_load_2addr_b64 v[5:8], v13 offset0:6 offset1:7
	s_waitcnt lgkmcnt(1)
	v_add_f64 v[1:2], v[9:10], v[1:2]
	s_delay_alu instid0(VALU_DEP_1) | instskip(SKIP_1) | instid1(VALU_DEP_1)
	v_add_f64 v[1:2], v[1:2], v[3:4]
	s_waitcnt lgkmcnt(0)
	v_add_f64 v[1:2], v[1:2], v[5:6]
	s_delay_alu instid0(VALU_DEP_1)
	v_add_f64 v[18:19], v[1:2], v[7:8]
.LBB172_53:
	s_or_b32 exec_lo, exec_lo, s4
	s_lshl_b64 s[4:5], s[26:27], 3
	v_cmp_ne_u32_e32 vcc_lo, 1, v14
	v_sub_co_u32 v24, s4, v15, s4
	s_delay_alu instid0(VALU_DEP_1)
	v_subrev_co_ci_u32_e64 v25, s4, s5, v25, s4
	s_barrier
	buffer_gl0_inv
	s_cbranch_vccnz .LBB172_58
; %bb.54:
	flat_load_b64 v[1:2], v[24:25]
	v_mad_u32_u24 v9, v11, 33, v0
	s_lshl_b64 s[4:5], s[12:13], 6
	v_add_nc_u32_e32 v10, 8, v11
	v_add_co_u32 v3, vcc_lo, v24, s4
	s_delay_alu instid0(VALU_DEP_3)
	v_lshlrev_b32_e32 v7, 3, v9
	v_add_co_ci_u32_e32 v4, vcc_lo, s5, v25, vcc_lo
	v_add_nc_u32_e32 v13, 16, v11
	s_waitcnt vmcnt(0) lgkmcnt(0)
	ds_store_b64 v7, v[1:2]
	flat_load_b64 v[1:2], v[3:4]
	v_add_co_u32 v3, vcc_lo, v3, s4
	v_add_co_ci_u32_e32 v4, vcc_lo, s5, v4, vcc_lo
	s_waitcnt vmcnt(0) lgkmcnt(0)
	ds_store_b64 v7, v[1:2] offset:2112
	flat_load_b64 v[1:2], v[3:4]
	v_mad_u64_u32 v[3:4], null, 0xc0, s12, v[24:25]
	s_delay_alu instid0(VALU_DEP_1) | instskip(SKIP_1) | instid1(VALU_DEP_2)
	v_mad_u64_u32 v[5:6], null, 0xc0, s13, v[4:5]
	v_add_nc_u32_e32 v6, 0x108, v9
	v_dual_mov_b32 v4, v5 :: v_dual_add_nc_u32 v5, 24, v11
	s_waitcnt vmcnt(0) lgkmcnt(0)
	ds_store_b64 v7, v[1:2] offset:4224
	flat_load_b64 v[3:4], v[3:4]
	v_add_nc_u32_e32 v1, 0x210, v9
	v_add_nc_u32_e32 v2, 0x318, v9
	s_waitcnt vmcnt(0) lgkmcnt(0)
	ds_store_b64 v7, v[3:4] offset:6336
	s_cbranch_execz .LBB172_59
	s_branch .LBB172_68
.LBB172_55:
	ds_load_b64 v[1:2], v10
	s_waitcnt lgkmcnt(0)
	ds_store_b64 v30, v[1:2]
	s_or_b32 exec_lo, exec_lo, s7
	s_and_saveexec_b32 s3, s4
	s_cbranch_execz .LBB172_48
.LBB172_56:
	ds_load_b64 v[1:2], v13
	s_waitcnt lgkmcnt(0)
	ds_store_b64 v30, v[1:2] offset:8
	s_or_b32 exec_lo, exec_lo, s3
	s_and_saveexec_b32 s3, s5
	s_cbranch_execz .LBB172_49
.LBB172_57:
	ds_load_b64 v[1:2], v13 offset:264
	s_waitcnt lgkmcnt(0)
	ds_store_b64 v30, v[1:2] offset:16
	s_or_b32 exec_lo, exec_lo, s3
	s_and_saveexec_b32 s3, s6
	s_cbranch_execnz .LBB172_50
	s_branch .LBB172_51
.LBB172_58:
                                        ; implicit-def: $vgpr9
                                        ; implicit-def: $vgpr10
                                        ; implicit-def: $vgpr6
                                        ; implicit-def: $vgpr13
                                        ; implicit-def: $vgpr1
                                        ; implicit-def: $vgpr5
                                        ; implicit-def: $vgpr2
.LBB172_59:
	v_or_b32_e32 v1, 32, v0
	s_ashr_i32 s21, s20, 31
	s_mov_b32 s5, exec_lo
	s_lshl_b64 s[6:7], s[20:21], 3
	s_delay_alu instid0(VALU_DEP_1) | instskip(NEXT) | instid1(VALU_DEP_1)
	v_dual_mov_b32 v5, 0 :: v_dual_lshlrev_b32 v2, 3, v1
	v_sub_co_u32 v2, vcc_lo, v24, v2
	v_subrev_co_ci_u32_e32 v3, vcc_lo, 0, v25, vcc_lo
	s_delay_alu instid0(VALU_DEP_2) | instskip(NEXT) | instid1(VALU_DEP_2)
	v_add_co_u32 v2, vcc_lo, v2, s6
	v_add_co_ci_u32_e32 v3, vcc_lo, s7, v3, vcc_lo
	s_delay_alu instid0(VALU_DEP_2) | instskip(NEXT) | instid1(VALU_DEP_2)
	v_add_co_u32 v4, vcc_lo, v2, -8
	v_add_co_ci_u32_e32 v2, vcc_lo, -1, v3, vcc_lo
	v_cmp_gt_i32_e32 vcc_lo, s20, v1
	s_delay_alu instid0(VALU_DEP_3) | instskip(NEXT) | instid1(VALU_DEP_3)
	v_dual_mov_b32 v6, 0 :: v_dual_cndmask_b32 v1, v4, v24
	v_dual_cndmask_b32 v2, v2, v25 :: v_dual_mov_b32 v3, v5
	s_delay_alu instid0(VALU_DEP_2)
	v_mov_b32_e32 v4, v6
	v_cmpx_gt_i32_e64 s20, v11
	s_cbranch_execz .LBB172_61
; %bb.60:
	flat_load_b64 v[3:4], v[1:2]
.LBB172_61:
	s_or_b32 exec_lo, exec_lo, s5
	v_mad_u32_u24 v9, v11, 33, v0
	v_add_nc_u32_e32 v10, 8, v11
	s_mov_b32 s5, exec_lo
	s_delay_alu instid0(VALU_DEP_2)
	v_lshlrev_b32_e32 v14, 3, v9
	s_waitcnt vmcnt(0) lgkmcnt(0)
	ds_store_b64 v14, v[3:4]
	v_cmpx_gt_i32_e64 s20, v10
	s_cbranch_execz .LBB172_63
; %bb.62:
	s_lshl_b64 s[26:27], s[12:13], 6
	s_delay_alu instid0(SALU_CYCLE_1) | instskip(NEXT) | instid1(VALU_DEP_1)
	v_add_co_u32 v3, s4, v1, s26
	v_add_co_ci_u32_e64 v4, s4, s27, v2, s4
	flat_load_b64 v[5:6], v[3:4]
.LBB172_63:
	s_or_b32 exec_lo, exec_lo, s5
	v_mov_b32_e32 v3, 0
	v_dual_mov_b32 v4, 0 :: v_dual_add_nc_u32 v13, 16, v11
	s_mov_b32 s5, exec_lo
	s_waitcnt vmcnt(0) lgkmcnt(0)
	ds_store_b64 v14, v[5:6] offset:2112
	v_dual_mov_b32 v8, v4 :: v_dual_mov_b32 v7, v3
	v_cmpx_gt_i32_e64 s20, v13
	s_cbranch_execz .LBB172_65
; %bb.64:
	s_lshl_b64 s[26:27], s[12:13], 7
	s_delay_alu instid0(SALU_CYCLE_1) | instskip(NEXT) | instid1(VALU_DEP_1)
	v_add_co_u32 v5, s4, v1, s26
	v_add_co_ci_u32_e64 v6, s4, s27, v2, s4
	flat_load_b64 v[7:8], v[5:6]
.LBB172_65:
	s_or_b32 exec_lo, exec_lo, s5
	v_add_nc_u32_e32 v5, 24, v11
	s_mov_b32 s5, exec_lo
	s_waitcnt vmcnt(0) lgkmcnt(0)
	ds_store_b64 v14, v[7:8] offset:4224
	v_cmpx_gt_i32_e64 s20, v5
	s_cbranch_execz .LBB172_67
; %bb.66:
	v_mad_u64_u32 v[3:4], null, 0xc0, s12, v[1:2]
	s_delay_alu instid0(VALU_DEP_1) | instskip(NEXT) | instid1(VALU_DEP_1)
	v_mad_u64_u32 v[6:7], null, 0xc0, s13, v[4:5]
	v_mov_b32_e32 v4, v6
	flat_load_b64 v[3:4], v[3:4]
.LBB172_67:
	s_or_b32 exec_lo, exec_lo, s5
	v_lshlrev_b32_e32 v0, 3, v0
	v_add_nc_u32_e32 v6, 0x108, v9
	s_waitcnt vmcnt(0) lgkmcnt(0)
	ds_store_b64 v14, v[3:4] offset:6336
	v_add_co_u32 v0, s4, v1, v0
	s_delay_alu instid0(VALU_DEP_1) | instskip(SKIP_1) | instid1(VALU_DEP_3)
	v_add_co_ci_u32_e64 v1, s4, 0, v2, s4
	v_add_nc_u32_e32 v2, 0x318, v9
	v_sub_co_u32 v0, s4, v0, s6
	s_delay_alu instid0(VALU_DEP_1) | instskip(NEXT) | instid1(VALU_DEP_2)
	v_subrev_co_ci_u32_e64 v1, s4, s7, v1, s4
	v_add_co_u32 v0, s4, 0x108, v0
	s_delay_alu instid0(VALU_DEP_1) | instskip(NEXT) | instid1(VALU_DEP_2)
	v_add_co_ci_u32_e64 v7, s4, 0, v1, s4
	v_dual_cndmask_b32 v24, v0, v24 :: v_dual_add_nc_u32 v1, 0x210, v9
	s_delay_alu instid0(VALU_DEP_2)
	v_cndmask_b32_e32 v25, v7, v25, vcc_lo
.LBB172_68:
	v_lshlrev_b32_e32 v0, 3, v9
	v_lshlrev_b32_e32 v7, 3, v11
	s_waitcnt lgkmcnt(0)
	s_barrier
	buffer_gl0_inv
	ds_load_b64 v[3:4], v0
	ds_load_b64 v[7:8], v7 offset:9088
	v_lshlrev_b32_e32 v0, 3, v6
	v_lshlrev_b32_e32 v6, 3, v10
	v_lshlrev_b32_e32 v2, 3, v2
	v_lshlrev_b32_e32 v5, 3, v5
	ds_load_b64 v[9:10], v0
	ds_load_b64 v[14:15], v6 offset:9088
	v_lshlrev_b32_e32 v0, 3, v1
	v_lshlrev_b32_e32 v6, 3, v13
	s_waitcnt lgkmcnt(2)
	v_fma_f64 v[3:4], v[3:4], v[7:8], 0
	ds_load_b64 v[0:1], v0
	ds_load_b64 v[6:7], v6 offset:9088
	s_waitcnt lgkmcnt(2)
	v_fma_f64 v[3:4], v[9:10], v[14:15], v[3:4]
	ds_load_b64 v[8:9], v2
	ds_load_b64 v[10:11], v5 offset:9088
	s_waitcnt lgkmcnt(2)
	v_fma_f64 v[0:1], v[0:1], v[6:7], v[3:4]
	s_waitcnt lgkmcnt(0)
	s_delay_alu instid0(VALU_DEP_1)
	v_fma_f64 v[31:32], v[8:9], v[10:11], v[0:1]
	ds_load_b128 v[8:11], v12 offset:256
	ds_load_b128 v[0:3], v12 offset:272
	ds_load_2addr_b64 v[12:15], v30 offset1:1
	ds_load_2addr_b64 v[4:7], v30 offset0:2 offset1:3
	s_waitcnt lgkmcnt(0)
	s_barrier
	buffer_gl0_inv
	ds_store_b64 v29, v[31:32]
	s_waitcnt lgkmcnt(0)
	s_barrier
	buffer_gl0_inv
	s_and_saveexec_b32 s4, s3
	s_cbranch_execz .LBB172_70
; %bb.69:
	v_lshlrev_b32_e32 v38, 3, v28
	ds_load_2addr_b64 v[30:33], v38 offset1:1
	ds_load_2addr_b64 v[34:37], v38 offset0:2 offset1:3
	s_waitcnt lgkmcnt(1)
	v_add_f64 v[18:19], v[18:19], v[30:31]
	s_delay_alu instid0(VALU_DEP_1) | instskip(SKIP_1) | instid1(VALU_DEP_1)
	v_add_f64 v[18:19], v[18:19], v[32:33]
	s_waitcnt lgkmcnt(0)
	v_add_f64 v[18:19], v[18:19], v[34:35]
	s_delay_alu instid0(VALU_DEP_1) | instskip(SKIP_4) | instid1(VALU_DEP_1)
	v_add_f64 v[18:19], v[18:19], v[36:37]
	ds_load_2addr_b64 v[30:33], v38 offset0:4 offset1:5
	ds_load_2addr_b64 v[34:37], v38 offset0:6 offset1:7
	s_waitcnt lgkmcnt(1)
	v_add_f64 v[18:19], v[18:19], v[30:31]
	v_add_f64 v[18:19], v[18:19], v[32:33]
	s_waitcnt lgkmcnt(0)
	s_delay_alu instid0(VALU_DEP_1) | instskip(NEXT) | instid1(VALU_DEP_1)
	v_add_f64 v[18:19], v[18:19], v[34:35]
	v_add_f64 v[18:19], v[18:19], v[36:37]
.LBB172_70:
	s_or_b32 exec_lo, exec_lo, s4
	v_fma_f64 v[8:9], v[12:13], v[8:9], 0
	s_barrier
	buffer_gl0_inv
	v_fma_f64 v[8:9], v[14:15], v[10:11], v[8:9]
	s_delay_alu instid0(VALU_DEP_1) | instskip(NEXT) | instid1(VALU_DEP_1)
	v_fma_f64 v[0:1], v[4:5], v[0:1], v[8:9]
	v_fma_f64 v[0:1], v[6:7], v[2:3], v[0:1]
	ds_store_b64 v29, v[0:1]
	s_waitcnt lgkmcnt(0)
	s_barrier
	buffer_gl0_inv
	s_and_saveexec_b32 s3, s2
	s_cbranch_execz .LBB172_72
; %bb.71:
	v_lshlrev_b32_e32 v10, 3, v28
	ds_load_2addr_b64 v[0:3], v10 offset1:1
	ds_load_2addr_b64 v[4:7], v10 offset0:2 offset1:3
	s_waitcnt lgkmcnt(1)
	v_add_f64 v[0:1], v[18:19], v[0:1]
	s_delay_alu instid0(VALU_DEP_1) | instskip(SKIP_1) | instid1(VALU_DEP_1)
	v_add_f64 v[0:1], v[0:1], v[2:3]
	s_waitcnt lgkmcnt(0)
	v_add_f64 v[0:1], v[0:1], v[4:5]
	s_delay_alu instid0(VALU_DEP_1) | instskip(SKIP_4) | instid1(VALU_DEP_1)
	v_add_f64 v[8:9], v[0:1], v[6:7]
	ds_load_2addr_b64 v[0:3], v10 offset0:4 offset1:5
	ds_load_2addr_b64 v[4:7], v10 offset0:6 offset1:7
	s_waitcnt lgkmcnt(1)
	v_add_f64 v[0:1], v[8:9], v[0:1]
	v_add_f64 v[0:1], v[0:1], v[2:3]
	s_waitcnt lgkmcnt(0)
	s_delay_alu instid0(VALU_DEP_1) | instskip(NEXT) | instid1(VALU_DEP_1)
	v_add_f64 v[0:1], v[0:1], v[4:5]
	v_add_f64 v[18:19], v[0:1], v[6:7]
.LBB172_72:
	s_or_b32 exec_lo, exec_lo, s3
	s_mul_hi_u32 s2, s15, s16
	s_mul_i32 s28, s28, s16
	s_mul_i32 s3, s15, s16
	s_add_i32 s2, s2, s28
	s_mul_hi_u32 s5, s3, s17
	s_mul_i32 s4, s2, s17
	s_mul_i32 s2, s3, s17
	s_add_i32 s3, s5, s4
	s_mul_i32 s4, s14, s15
	s_lshl_b64 s[2:3], s[2:3], 3
	v_cmp_le_i32_e32 vcc_lo, s20, v26
	s_add_u32 s6, s22, s2
	s_addc_u32 s7, s23, s3
	s_ashr_i32 s5, s4, 31
	v_lshlrev_b32_e32 v73, 3, v26
	s_lshl_b64 s[2:3], s[4:5], 3
	s_delay_alu instid0(SALU_CYCLE_1)
	s_add_u32 s15, s6, s2
	s_addc_u32 s22, s7, s3
	s_and_b32 vcc_lo, s29, vcc_lo
	s_cmp_lt_i32 s14, 1
	s_barrier
	buffer_gl0_inv
	s_cbranch_scc1 .LBB172_79
; %bb.73:
	v_lshlrev_b32_e32 v1, 2, v72
	s_mul_i32 s3, s18, s9
	s_mul_hi_u32 s5, s18, s8
	s_ashr_i32 s21, s20, 31
	s_mul_i32 s16, s19, s8
	v_mad_u64_u32 v[2:3], null, v1, s12, 0
	s_add_i32 s3, s5, s3
	s_lshl_b64 s[6:7], s[20:21], 3
	s_mul_i32 s4, s18, s8
	s_add_i32 s5, s3, s16
	s_mul_i32 s3, s13, 24
	s_mul_hi_u32 s18, s12, 24
	s_delay_alu instid0(VALU_DEP_1)
	v_mov_b32_e32 v0, v3
	s_add_i32 s20, s18, s3
	s_mul_i32 s3, s13, 0x90
	s_mul_hi_u32 s23, s12, 0x90
	v_and_b32_e32 v7, 48, v26
	v_mad_u64_u32 v[3:4], null, v1, s13, v[0:1]
	v_sub_co_u32 v0, s2, v24, s24
	s_delay_alu instid0(VALU_DEP_1) | instskip(SKIP_1) | instid1(VALU_DEP_2)
	v_subrev_co_ci_u32_e64 v4, s2, s25, v25, s2
	s_add_i32 s23, s23, s3
	v_sub_co_u32 v0, s2, v0, v22
	s_delay_alu instid0(VALU_DEP_4) | instskip(NEXT) | instid1(VALU_DEP_3)
	v_lshlrev_b64 v[2:3], 3, v[2:3]
	v_sub_co_ci_u32_e64 v4, s2, v4, v23, s2
	s_mul_i32 s3, s13, 0x98
	s_mul_hi_u32 s25, s12, 0x98
	s_mul_hi_u32 s27, s12, 0x110
	s_delay_alu instid0(VALU_DEP_2) | instskip(NEXT) | instid1(VALU_DEP_1)
	v_add_co_u32 v0, s2, v0, v2
	v_add_co_ci_u32_e64 v2, s2, v4, v3, s2
	s_add_i32 s25, s25, s3
	s_delay_alu instid0(VALU_DEP_2) | instskip(NEXT) | instid1(VALU_DEP_1)
	v_add_co_u32 v0, s2, 0xffffff00, v0
	v_add_co_ci_u32_e64 v2, s2, -1, v2, s2
	s_mul_i32 s3, s13, 0x110
	s_delay_alu instid0(VALU_DEP_2) | instskip(NEXT) | instid1(VALU_DEP_1)
	v_add_co_u32 v3, s2, v0, s6
	v_add_co_ci_u32_e64 v8, s2, s7, v2, s2
	v_add_co_u32 v0, s2, v0, v73
	s_delay_alu instid0(VALU_DEP_1) | instskip(NEXT) | instid1(VALU_DEP_4)
	v_add_co_ci_u32_e64 v2, s2, 0, v2, s2
	v_add_co_u32 v9, s2, v3, -8
	s_add_i32 s27, s27, s3
	s_mul_i32 s3, s13, 0x118
	s_mul_hi_u32 s29, s12, 0x118
	v_and_b32_e32 v5, 15, v26
	v_lshrrev_b32_e32 v6, 4, v27
	v_lshlrev_b32_e32 v4, 3, v7
	v_add_co_ci_u32_e64 v3, s2, -1, v8, s2
	s_add_i32 s29, s29, s3
	s_mul_i32 s3, s13, 0x180
	s_mul_hi_u32 s31, s12, 0x180
	s_mul_hi_u32 s34, s12, 0x190
	s_add_i32 s31, s31, s3
	s_mul_i32 s3, s13, 0x190
	s_lshl_b64 s[4:5], s[4:5], 3
	v_dual_cndmask_b32 v3, v2, v3 :: v_dual_lshlrev_b32 v8, 5, v6
	v_cndmask_b32_e32 v2, v0, v9, vcc_lo
	v_or_b32_e32 v0, 0x78, v73
	v_mad_u32_u24 v78, 0x218, v5, v4
	v_lshlrev_b32_e32 v4, 3, v6
	s_add_i32 s34, s34, s3
	s_mul_i32 s3, s13, 0x198
	s_mul_hi_u32 s36, s12, 0x198
	v_sub_co_u32 v76, s2, v20, s4
	s_add_i32 s36, s36, s3
	s_mul_i32 s3, s13, 0x188
	s_mul_hi_u32 s38, s12, 0x188
	v_subrev_co_ci_u32_e64 v77, s2, s5, v21, s2
	s_add_i32 s38, s38, s3
	s_mul_i32 s3, s13, 0x108
	s_mul_hi_u32 s40, s12, 0x108
	v_dual_mov_b32 v1, 0 :: v_dual_add_nc_u32 v74, 0x2180, v73
	v_add_nc_u32_e32 v75, 0x2380, v73
	v_cmp_gt_u32_e64 s2, 64, v27
	v_mad_u32_u24 v79, 0x218, v5, v0
	v_mad_u32_u24 v80, 0x218, v5, v8
	v_lshl_add_u32 v81, v72, 5, 0x2180
	v_mad_u32_u24 v82, 0x860, v72, v73
	v_mad_u32_u24 v83, 0x218, v5, v4
	v_or_b32_e32 v84, v7, v5
	s_lshl_b64 s[4:5], s[12:13], 3
	s_lshl_b64 s[6:7], s[12:13], 4
	;; [unrolled: 1-line block ×4, first 2 shown]
	s_add_i32 s40, s40, s3
	s_mul_i32 s3, s13, 0x88
	s_mul_hi_u32 s13, s12, 0x88
	s_mul_i32 s21, s12, 24
	s_mul_i32 s24, s12, 0x90
	;; [unrolled: 1-line block ×10, first 2 shown]
	s_add_i32 s13, s13, s3
	s_mulk_i32 s12, 0x88
	s_mov_b32 s42, 0
	s_branch .LBB172_75
.LBB172_74:                             ;   in Loop: Header=BB172_75 Depth=1
	s_or_b32 exec_lo, exec_lo, s43
	v_fma_f64 v[4:5], v[4:5], v[12:13], v[18:19]
	v_add_co_u32 v2, s3, v2, s16
	s_delay_alu instid0(VALU_DEP_1)
	v_add_co_ci_u32_e64 v3, s3, s17, v3, s3
	s_add_i32 s14, s14, -1
	s_add_i32 s42, s42, 64
	s_cmp_eq_u32 s14, 0
	s_waitcnt_vscnt null, 0x0
	s_barrier
	buffer_gl0_inv
	v_fma_f64 v[4:5], v[6:7], v[14:15], v[4:5]
	s_delay_alu instid0(VALU_DEP_1) | instskip(NEXT) | instid1(VALU_DEP_1)
	v_fma_f64 v[4:5], v[8:9], v[20:21], v[4:5]
	v_fma_f64 v[4:5], v[10:11], v[22:23], v[4:5]
	s_delay_alu instid0(VALU_DEP_1) | instskip(NEXT) | instid1(VALU_DEP_1)
	v_fma_f64 v[4:5], v[24:25], v[32:33], v[4:5]
	;; [unrolled: 3-line block ×7, first 2 shown]
	v_fma_f64 v[18:19], v[62:63], v[70:71], v[4:5]
	s_cbranch_scc1 .LBB172_79
.LBB172_75:                             ; =>This Inner Loop Header: Depth=1
	s_and_saveexec_b32 s43, s1
	s_cbranch_execz .LBB172_77
; %bb.76:                               ;   in Loop: Header=BB172_75 Depth=1
	s_mul_i32 s3, s42, s9
	s_mul_hi_u32 s45, s42, s8
	s_mul_i32 s44, s42, s8
	s_add_i32 s45, s45, s3
	s_delay_alu instid0(SALU_CYCLE_1) | instskip(NEXT) | instid1(SALU_CYCLE_1)
	s_lshl_b64 s[44:45], s[44:45], 3
	v_add_co_u32 v4, s3, v76, s44
	s_delay_alu instid0(VALU_DEP_1)
	v_add_co_ci_u32_e64 v5, s3, s45, v77, s3
	flat_load_b64 v[4:5], v[4:5]
	s_waitcnt vmcnt(0) lgkmcnt(0)
	ds_store_b64 v74, v[4:5]
.LBB172_77:                             ;   in Loop: Header=BB172_75 Depth=1
	s_or_b32 exec_lo, exec_lo, s43
	v_add_co_u32 v6, s3, v2, s4
	s_delay_alu instid0(VALU_DEP_1) | instskip(SKIP_1) | instid1(VALU_DEP_1)
	v_add_co_ci_u32_e64 v7, s3, s5, v3, s3
	v_add_co_u32 v8, s3, v2, s6
	v_add_co_ci_u32_e64 v9, s3, s7, v3, s3
	v_add_co_u32 v10, s3, v2, s21
	s_waitcnt lgkmcnt(0)
	s_barrier
	buffer_gl0_inv
	flat_load_b64 v[4:5], v[2:3]
	v_add_co_ci_u32_e64 v11, s3, s20, v3, s3
	s_clause 0x2
	flat_load_b64 v[6:7], v[6:7]
	flat_load_b64 v[8:9], v[8:9]
	;; [unrolled: 1-line block ×3, first 2 shown]
	ds_load_b64 v[14:15], v75
	ds_load_b64 v[12:13], v81
	v_add_co_u32 v28, s3, v2, s18
	s_delay_alu instid0(VALU_DEP_1) | instskip(SKIP_1) | instid1(VALU_DEP_1)
	v_add_co_ci_u32_e64 v29, s3, s19, v3, s3
	v_add_co_u32 v30, s3, v2, s12
	v_add_co_ci_u32_e64 v31, s3, s13, v3, s3
	v_add_co_u32 v32, s3, v2, s24
	s_delay_alu instid0(VALU_DEP_1) | instskip(SKIP_1) | instid1(VALU_DEP_1)
	v_add_co_ci_u32_e64 v33, s3, s23, v3, s3
	v_add_co_u32 v34, s3, v2, s26
	v_add_co_ci_u32_e64 v35, s3, s25, v3, s3
	;; [unrolled: 5-line block ×6, first 2 shown]
	s_waitcnt vmcnt(3) lgkmcnt(1)
	v_mul_f64 v[20:21], v[4:5], v[14:15]
	s_waitcnt vmcnt(2)
	v_mul_f64 v[22:23], v[6:7], v[14:15]
	s_waitcnt vmcnt(1)
	;; [unrolled: 2-line block ×3, first 2 shown]
	v_mul_f64 v[26:27], v[10:11], v[14:15]
	ds_store_b64 v82, v[20:21]
	ds_load_b64 v[14:15], v81 offset:8
	ds_store_b64 v82, v[22:23] offset:536
	ds_load_b64 v[20:21], v81 offset:16
	ds_store_b64 v82, v[24:25] offset:1072
	ds_load_b64 v[22:23], v81 offset:24
	ds_store_b64 v82, v[26:27] offset:1608
	s_waitcnt lgkmcnt(0)
	s_barrier
	buffer_gl0_inv
	ds_load_2addr_b64 v[85:88], v80 offset1:1
	ds_load_2addr_b64 v[89:92], v80 offset0:2 offset1:3
	s_waitcnt lgkmcnt(0)
	s_barrier
	buffer_gl0_inv
	s_clause 0x3
	flat_load_b64 v[24:25], v[28:29]
	flat_load_b64 v[26:27], v[30:31]
	flat_load_b64 v[28:29], v[32:33]
	flat_load_b64 v[30:31], v[34:35]
	ds_load_b64 v[34:35], v75
	ds_load_b64 v[32:33], v81 offset:128
	v_add_f64 v[85:86], v[85:86], 0
	s_delay_alu instid0(VALU_DEP_1) | instskip(NEXT) | instid1(VALU_DEP_1)
	v_add_f64 v[85:86], v[85:86], v[87:88]
	v_add_f64 v[85:86], v[85:86], v[89:90]
	s_delay_alu instid0(VALU_DEP_1)
	v_add_f64 v[85:86], v[85:86], v[91:92]
	s_waitcnt vmcnt(2) lgkmcnt(1)
	v_mul_f64 v[38:39], v[26:27], v[34:35]
	v_mul_f64 v[36:37], v[24:25], v[34:35]
	s_waitcnt vmcnt(1)
	v_mul_f64 v[40:41], v[28:29], v[34:35]
	s_waitcnt vmcnt(0)
	v_mul_f64 v[42:43], v[30:31], v[34:35]
	ds_store_b64 v82, v[36:37]
	ds_load_b64 v[34:35], v81 offset:136
	ds_store_b64 v82, v[38:39] offset:536
	ds_load_b64 v[36:37], v81 offset:144
	ds_store_b64 v82, v[40:41] offset:1072
	ds_load_b64 v[38:39], v81 offset:152
	ds_store_b64 v82, v[42:43] offset:1608
	s_waitcnt lgkmcnt(0)
	s_barrier
	buffer_gl0_inv
	ds_load_2addr_b64 v[93:96], v80 offset1:1
	ds_load_2addr_b64 v[97:100], v80 offset0:2 offset1:3
	s_waitcnt lgkmcnt(0)
	s_barrier
	buffer_gl0_inv
	s_clause 0x3
	flat_load_b64 v[40:41], v[44:45]
	flat_load_b64 v[42:43], v[46:47]
	flat_load_b64 v[44:45], v[48:49]
	flat_load_b64 v[46:47], v[50:51]
	ds_load_b64 v[50:51], v75
	ds_load_b64 v[48:49], v81 offset:256
	v_add_f64 v[93:94], v[93:94], 0
	s_delay_alu instid0(VALU_DEP_1) | instskip(NEXT) | instid1(VALU_DEP_1)
	v_add_f64 v[87:88], v[93:94], v[95:96]
	v_add_f64 v[87:88], v[87:88], v[97:98]
	s_delay_alu instid0(VALU_DEP_1)
	v_add_f64 v[87:88], v[87:88], v[99:100]
	s_waitcnt vmcnt(2) lgkmcnt(1)
	v_mul_f64 v[54:55], v[42:43], v[50:51]
	v_mul_f64 v[52:53], v[40:41], v[50:51]
	s_waitcnt vmcnt(1)
	v_mul_f64 v[56:57], v[44:45], v[50:51]
	s_waitcnt vmcnt(0)
	;; [unrolled: 35-line block ×3, first 2 shown]
	v_mul_f64 v[111:112], v[62:63], v[66:67]
	ds_store_b64 v82, v[68:69]
	ds_load_b64 v[66:67], v81 offset:392
	ds_store_b64 v82, v[70:71] offset:536
	ds_load_b64 v[68:69], v81 offset:400
	ds_store_b64 v82, v[109:110] offset:1072
	;; [unrolled: 2-line block ×3, first 2 shown]
	s_waitcnt lgkmcnt(0)
	s_barrier
	buffer_gl0_inv
	ds_load_2addr_b64 v[109:112], v80 offset1:1
	ds_load_2addr_b64 v[113:116], v80 offset0:2 offset1:3
	s_waitcnt lgkmcnt(0)
	s_barrier
	buffer_gl0_inv
	v_add_f64 v[109:110], v[109:110], 0
	s_delay_alu instid0(VALU_DEP_1) | instskip(NEXT) | instid1(VALU_DEP_1)
	v_add_f64 v[95:96], v[109:110], v[111:112]
	v_add_f64 v[93:94], v[95:96], v[113:114]
	s_delay_alu instid0(VALU_DEP_1)
	v_add_f64 v[91:92], v[93:94], v[115:116]
	ds_store_2addr_b64 v83, v[85:86], v[87:88] offset1:16
	ds_store_2addr_b64 v83, v[89:90], v[91:92] offset0:32 offset1:48
	s_waitcnt lgkmcnt(0)
	s_barrier
	buffer_gl0_inv
	s_and_saveexec_b32 s43, s2
	s_cbranch_execz .LBB172_74
; %bb.78:                               ;   in Loop: Header=BB172_75 Depth=1
	ds_load_2addr_b64 v[85:88], v78 offset1:1
	ds_load_2addr_b64 v[89:92], v78 offset0:2 offset1:3
	v_add_nc_u32_e32 v0, s42, v84
	s_waitcnt lgkmcnt(1)
	v_add_f64 v[85:86], v[85:86], v[87:88]
	s_waitcnt lgkmcnt(0)
	s_delay_alu instid0(VALU_DEP_1) | instskip(NEXT) | instid1(VALU_DEP_1)
	v_add_f64 v[85:86], v[85:86], v[89:90]
	v_add_f64 v[93:94], v[85:86], v[91:92]
	ds_load_2addr_b64 v[85:88], v78 offset0:4 offset1:5
	ds_load_2addr_b64 v[89:92], v78 offset0:6 offset1:7
	s_waitcnt lgkmcnt(1)
	v_add_f64 v[85:86], v[93:94], v[85:86]
	s_delay_alu instid0(VALU_DEP_1) | instskip(SKIP_1) | instid1(VALU_DEP_1)
	v_add_f64 v[85:86], v[85:86], v[87:88]
	s_waitcnt lgkmcnt(0)
	v_add_f64 v[85:86], v[85:86], v[89:90]
	s_delay_alu instid0(VALU_DEP_1) | instskip(SKIP_4) | instid1(VALU_DEP_1)
	v_add_f64 v[93:94], v[85:86], v[91:92]
	ds_load_2addr_b64 v[85:88], v78 offset0:8 offset1:9
	ds_load_2addr_b64 v[89:92], v78 offset0:10 offset1:11
	s_waitcnt lgkmcnt(1)
	v_add_f64 v[85:86], v[93:94], v[85:86]
	v_add_f64 v[85:86], v[85:86], v[87:88]
	s_waitcnt lgkmcnt(0)
	s_delay_alu instid0(VALU_DEP_1) | instskip(NEXT) | instid1(VALU_DEP_1)
	v_add_f64 v[85:86], v[85:86], v[89:90]
	v_add_f64 v[89:90], v[85:86], v[91:92]
	ds_load_2addr_b64 v[85:88], v78 offset0:12 offset1:13
	ds_load_b64 v[91:92], v78 offset:112
	s_waitcnt lgkmcnt(1)
	v_add_f64 v[85:86], v[89:90], v[85:86]
	s_delay_alu instid0(VALU_DEP_1) | instskip(SKIP_4) | instid1(VALU_DEP_1)
	v_add_f64 v[85:86], v[85:86], v[87:88]
	ds_load_b64 v[87:88], v79
	s_waitcnt lgkmcnt(1)
	v_add_f64 v[85:86], v[85:86], v[91:92]
	s_waitcnt lgkmcnt(0)
	v_add_f64 v[85:86], v[85:86], v[87:88]
	v_lshlrev_b64 v[87:88], 3, v[0:1]
	s_delay_alu instid0(VALU_DEP_1) | instskip(NEXT) | instid1(VALU_DEP_1)
	v_add_co_u32 v87, s3, s15, v87
	v_add_co_ci_u32_e64 v88, s3, s22, v88, s3
	global_store_b64 v[87:88], v[85:86], off
	s_branch .LBB172_74
.LBB172_79:
	v_mad_u32_u24 v0, 0x218, v72, v73
	s_or_b32 s0, s0, vcc_lo
	s_delay_alu instid0(SALU_CYCLE_1)
	s_xor_b32 s0, s0, -1
	ds_store_b64 v0, v[18:19]
	s_waitcnt lgkmcnt(0)
	s_barrier
	buffer_gl0_inv
	s_and_saveexec_b32 s1, s0
	s_cbranch_execz .LBB172_6
; %bb.80:
	ds_load_2addr_b64 v[0:3], v73 offset1:67
	s_waitcnt lgkmcnt(0)
	v_add_f64 v[4:5], v[0:1], v[2:3]
	ds_load_2addr_b64 v[0:3], v73 offset0:134 offset1:201
	s_waitcnt lgkmcnt(0)
	v_add_f64 v[0:1], v[4:5], v[0:1]
	s_delay_alu instid0(VALU_DEP_1) | instskip(SKIP_1) | instid1(VALU_DEP_1)
	v_add_f64 v[0:1], v[0:1], v[2:3]
	v_lshlrev_b64 v[2:3], 3, v[16:17]
	v_add_co_u32 v2, vcc_lo, s15, v2
	s_delay_alu instid0(VALU_DEP_2)
	v_add_co_ci_u32_e32 v3, vcc_lo, s22, v3, vcc_lo
	global_store_b64 v[2:3], v[0:1], off
	s_nop 0
	s_sendmsg sendmsg(MSG_DEALLOC_VGPRS)
	s_endpgm
	.section	.rodata,"a",@progbits
	.p2align	6, 0x0
	.amdhsa_kernel _ZL26rocblas_hemvn_kernel_lowerILb0ELi64ELi4ELi33ELi32ELi16ElPKdPKS1_PdEviT6_lT7_lT5_lS6_lS7_lS5_lT8_i
		.amdhsa_group_segment_fixed_size 9600
		.amdhsa_private_segment_fixed_size 0
		.amdhsa_kernarg_size 376
		.amdhsa_user_sgpr_count 14
		.amdhsa_user_sgpr_dispatch_ptr 0
		.amdhsa_user_sgpr_queue_ptr 0
		.amdhsa_user_sgpr_kernarg_segment_ptr 1
		.amdhsa_user_sgpr_dispatch_id 0
		.amdhsa_user_sgpr_private_segment_size 0
		.amdhsa_wavefront_size32 1
		.amdhsa_uses_dynamic_stack 0
		.amdhsa_enable_private_segment 0
		.amdhsa_system_sgpr_workgroup_id_x 1
		.amdhsa_system_sgpr_workgroup_id_y 0
		.amdhsa_system_sgpr_workgroup_id_z 1
		.amdhsa_system_sgpr_workgroup_info 0
		.amdhsa_system_vgpr_workitem_id 1
		.amdhsa_next_free_vgpr 117
		.amdhsa_next_free_sgpr 46
		.amdhsa_reserve_vcc 1
		.amdhsa_float_round_mode_32 0
		.amdhsa_float_round_mode_16_64 0
		.amdhsa_float_denorm_mode_32 3
		.amdhsa_float_denorm_mode_16_64 3
		.amdhsa_dx10_clamp 1
		.amdhsa_ieee_mode 1
		.amdhsa_fp16_overflow 0
		.amdhsa_workgroup_processor_mode 1
		.amdhsa_memory_ordered 1
		.amdhsa_forward_progress 0
		.amdhsa_shared_vgpr_count 0
		.amdhsa_exception_fp_ieee_invalid_op 0
		.amdhsa_exception_fp_denorm_src 0
		.amdhsa_exception_fp_ieee_div_zero 0
		.amdhsa_exception_fp_ieee_overflow 0
		.amdhsa_exception_fp_ieee_underflow 0
		.amdhsa_exception_fp_ieee_inexact 0
		.amdhsa_exception_int_div_zero 0
	.end_amdhsa_kernel
	.section	.text._ZL26rocblas_hemvn_kernel_lowerILb0ELi64ELi4ELi33ELi32ELi16ElPKdPKS1_PdEviT6_lT7_lT5_lS6_lS7_lS5_lT8_i,"axG",@progbits,_ZL26rocblas_hemvn_kernel_lowerILb0ELi64ELi4ELi33ELi32ELi16ElPKdPKS1_PdEviT6_lT7_lT5_lS6_lS7_lS5_lT8_i,comdat
.Lfunc_end172:
	.size	_ZL26rocblas_hemvn_kernel_lowerILb0ELi64ELi4ELi33ELi32ELi16ElPKdPKS1_PdEviT6_lT7_lT5_lS6_lS7_lS5_lT8_i, .Lfunc_end172-_ZL26rocblas_hemvn_kernel_lowerILb0ELi64ELi4ELi33ELi32ELi16ElPKdPKS1_PdEviT6_lT7_lT5_lS6_lS7_lS5_lT8_i
                                        ; -- End function
	.section	.AMDGPU.csdata,"",@progbits
; Kernel info:
; codeLenInByte = 7308
; NumSgprs: 48
; NumVgprs: 117
; ScratchSize: 0
; MemoryBound: 0
; FloatMode: 240
; IeeeMode: 1
; LDSByteSize: 9600 bytes/workgroup (compile time only)
; SGPRBlocks: 5
; VGPRBlocks: 14
; NumSGPRsForWavesPerEU: 48
; NumVGPRsForWavesPerEU: 117
; Occupancy: 12
; WaveLimiterHint : 1
; COMPUTE_PGM_RSRC2:SCRATCH_EN: 0
; COMPUTE_PGM_RSRC2:USER_SGPR: 14
; COMPUTE_PGM_RSRC2:TRAP_HANDLER: 0
; COMPUTE_PGM_RSRC2:TGID_X_EN: 1
; COMPUTE_PGM_RSRC2:TGID_Y_EN: 0
; COMPUTE_PGM_RSRC2:TGID_Z_EN: 1
; COMPUTE_PGM_RSRC2:TIDIG_COMP_CNT: 1
	.section	.text._ZL36rocblas_hemvn_kernel_lower_block_sumILi64ElPKdPKPddEviT1_lS5_lT2_lT0_lPT3_i,"axG",@progbits,_ZL36rocblas_hemvn_kernel_lower_block_sumILi64ElPKdPKPddEviT1_lS5_lT2_lT0_lPT3_i,comdat
	.globl	_ZL36rocblas_hemvn_kernel_lower_block_sumILi64ElPKdPKPddEviT1_lS5_lT2_lT0_lPT3_i ; -- Begin function _ZL36rocblas_hemvn_kernel_lower_block_sumILi64ElPKdPKPddEviT1_lS5_lT2_lT0_lPT3_i
	.p2align	8
	.type	_ZL36rocblas_hemvn_kernel_lower_block_sumILi64ElPKdPKPddEviT1_lS5_lT2_lT0_lPT3_i,@function
_ZL36rocblas_hemvn_kernel_lower_block_sumILi64ElPKdPKPddEviT1_lS5_lT2_lT0_lPT3_i: ; @_ZL36rocblas_hemvn_kernel_lower_block_sumILi64ElPKdPKPddEviT1_lS5_lT2_lT0_lPT3_i
; %bb.0:
	s_load_b256 s[16:23], s[0:1], 0x8
	s_waitcnt lgkmcnt(0)
	s_mul_i32 s3, s15, s19
	s_mul_hi_u32 s4, s15, s18
	s_mul_i32 s2, s15, s18
	s_add_i32 s3, s4, s3
	s_mul_i32 s4, s15, s23
	s_lshl_b64 s[2:3], s[2:3], 3
	s_mul_hi_u32 s5, s15, s22
	s_add_u32 s2, s16, s2
	s_addc_u32 s3, s17, s3
	s_add_i32 s5, s5, s4
	s_mul_i32 s4, s15, s22
	s_delay_alu instid0(SALU_CYCLE_1) | instskip(NEXT) | instid1(SALU_CYCLE_1)
	s_lshl_b64 s[4:5], s[4:5], 3
	s_add_u32 s4, s20, s4
	s_addc_u32 s5, s21, s5
	s_load_b64 s[10:11], s[2:3], 0x0
	s_load_b64 s[12:13], s[4:5], 0x0
	s_waitcnt lgkmcnt(0)
	v_cmp_eq_f64_e64 s2, s[10:11], 0
	v_cmp_eq_f64_e64 s3, s[12:13], 1.0
	s_delay_alu instid0(VALU_DEP_1) | instskip(NEXT) | instid1(SALU_CYCLE_1)
	s_and_b32 s2, s2, s3
	s_and_b32 vcc_lo, exec_lo, s2
	s_cbranch_vccnz .LBB173_19
; %bb.1:
	s_clause 0x1
	s_load_b64 s[2:3], s[0:1], 0x28
	s_load_b32 s16, s[0:1], 0x0
	s_mov_b32 s8, s15
	v_cmp_neq_f64_e64 s15, s[10:11], 0
	s_mov_b32 s9, 0
	s_load_b128 s[4:7], s[0:1], 0x30
	s_lshl_b64 s[18:19], s[8:9], 3
	v_lshl_or_b32 v0, s14, 6, v0
	s_waitcnt lgkmcnt(0)
	s_add_u32 s2, s2, s18
	s_addc_u32 s3, s3, s19
	s_load_b64 s[18:19], s[2:3], 0x0
	v_cmp_gt_i32_e64 s2, s16, v0
	s_lshl_b64 s[4:5], s[4:5], 3
	s_waitcnt lgkmcnt(0)
	s_add_u32 s3, s18, s4
	s_addc_u32 s4, s19, s5
	s_delay_alu instid0(VALU_DEP_3)
	s_and_b32 vcc_lo, exec_lo, s15
	s_cbranch_vccnz .LBB173_6
; %bb.2:
	s_mov_b32 s5, 0
                                        ; implicit-def: $vgpr3_vgpr4
                                        ; implicit-def: $vgpr1_vgpr2
	s_and_saveexec_b32 s15, s2
	s_cbranch_execz .LBB173_7
; %bb.3:
	v_cmp_eq_f64_e64 s2, s[12:13], 0
	v_ashrrev_i32_e32 v1, 31, v0
	v_mul_lo_u32 v3, v0, s7
	s_delay_alu instid0(VALU_DEP_2) | instskip(SKIP_1) | instid1(VALU_DEP_1)
	v_mul_lo_u32 v4, v1, s6
	v_mad_u64_u32 v[1:2], null, v0, s6, 0
	v_add3_u32 v2, v2, v3, v4
	v_mov_b32_e32 v3, 0
	v_mov_b32_e32 v4, 0
	s_and_b32 vcc_lo, exec_lo, s2
	s_cbranch_vccnz .LBB173_5
; %bb.4:
	s_delay_alu instid0(VALU_DEP_4) | instskip(NEXT) | instid1(VALU_DEP_1)
	v_lshlrev_b64 v[3:4], 3, v[1:2]
	v_add_co_u32 v3, vcc_lo, s3, v3
	s_delay_alu instid0(VALU_DEP_2)
	v_add_co_ci_u32_e32 v4, vcc_lo, s4, v4, vcc_lo
	global_load_b64 v[3:4], v[3:4], off
	s_waitcnt vmcnt(0)
	v_mul_f64 v[3:4], s[12:13], v[3:4]
.LBB173_5:
	s_mov_b32 s9, exec_lo
	s_or_b32 exec_lo, exec_lo, s15
	s_delay_alu instid0(SALU_CYCLE_1)
	s_and_b32 vcc_lo, exec_lo, s5
	s_cbranch_vccnz .LBB173_8
	s_branch .LBB173_17
.LBB173_6:
                                        ; implicit-def: $vgpr3_vgpr4
                                        ; implicit-def: $vgpr1_vgpr2
	s_cbranch_execnz .LBB173_8
	s_branch .LBB173_17
.LBB173_7:
	s_or_b32 exec_lo, exec_lo, s15
	s_delay_alu instid0(SALU_CYCLE_1)
	s_and_b32 vcc_lo, exec_lo, s5
	s_cbranch_vccz .LBB173_17
.LBB173_8:
	s_mov_b32 s2, exec_lo
                                        ; implicit-def: $vgpr3_vgpr4
                                        ; implicit-def: $vgpr1_vgpr2
	v_cmpx_gt_i32_e64 s16, v0
	s_cbranch_execz .LBB173_16
; %bb.9:
	s_load_b32 s5, s[0:1], 0x58
	v_mov_b32_e32 v5, 0
	v_mov_b32_e32 v6, 0
	s_waitcnt lgkmcnt(0)
	s_cmp_ge_i32 s14, s5
	s_cbranch_scc1 .LBB173_12
; %bb.10:
	s_load_b64 s[0:1], s[0:1], 0x48
	v_mad_u64_u32 v[1:2], null, s14, s16, v[0:1]
	s_ashr_i32 s17, s16, 31
	s_mul_hi_u32 s15, s16, s8
	s_mul_i32 s18, s17, s8
	s_mul_i32 s8, s16, s8
	s_add_i32 s15, s15, s18
	s_mul_hi_u32 s19, s8, s5
	s_delay_alu instid0(VALU_DEP_1)
	v_ashrrev_i32_e32 v2, 31, v1
	s_mul_i32 s15, s15, s5
	s_mul_i32 s18, s8, s5
	s_add_i32 s19, s19, s15
	v_mov_b32_e32 v5, 0
	v_lshlrev_b64 v[1:2], 3, v[1:2]
	s_lshl_b64 s[18:19], s[18:19], 3
	v_mov_b32_e32 v6, 0
	s_waitcnt lgkmcnt(0)
	s_add_u32 s0, s0, s18
	s_addc_u32 s1, s1, s19
	v_add_co_u32 v1, vcc_lo, s0, v1
	v_add_co_ci_u32_e32 v2, vcc_lo, s1, v2, vcc_lo
	s_lshl_b64 s[0:1], s[16:17], 3
.LBB173_11:                             ; =>This Inner Loop Header: Depth=1
	global_load_b64 v[3:4], v[1:2], off
	v_add_co_u32 v1, vcc_lo, v1, s0
	v_add_co_ci_u32_e32 v2, vcc_lo, s1, v2, vcc_lo
	s_add_i32 s14, s14, 1
	s_delay_alu instid0(SALU_CYCLE_1)
	s_cmp_ge_i32 s14, s5
	s_waitcnt vmcnt(0)
	v_add_f64 v[5:6], v[5:6], v[3:4]
	s_cbranch_scc0 .LBB173_11
.LBB173_12:
	v_cmp_eq_f64_e64 s0, s[12:13], 0
	v_ashrrev_i32_e32 v1, 31, v0
	v_mul_lo_u32 v7, v0, s7
	s_delay_alu instid0(VALU_DEP_2) | instskip(NEXT) | instid1(VALU_DEP_4)
	v_mul_lo_u32 v8, v1, s6
	s_and_b32 vcc_lo, exec_lo, s0
	s_cbranch_vccz .LBB173_20
; %bb.13:
	v_mad_u64_u32 v[1:2], null, v0, s6, 0
	v_mul_f64 v[3:4], s[10:11], v[5:6]
	s_delay_alu instid0(VALU_DEP_2)
	v_add3_u32 v2, v2, v7, v8
	s_cbranch_execnz .LBB173_15
.LBB173_14:
	v_mad_u64_u32 v[1:2], null, v0, s6, 0
	s_delay_alu instid0(VALU_DEP_1) | instskip(NEXT) | instid1(VALU_DEP_1)
	v_add3_u32 v2, v2, v7, v8
	v_lshlrev_b64 v[3:4], 3, v[1:2]
	s_delay_alu instid0(VALU_DEP_1) | instskip(NEXT) | instid1(VALU_DEP_2)
	v_add_co_u32 v3, vcc_lo, s3, v3
	v_add_co_ci_u32_e32 v4, vcc_lo, s4, v4, vcc_lo
	global_load_b64 v[3:4], v[3:4], off
	s_waitcnt vmcnt(0)
	v_mul_f64 v[3:4], s[12:13], v[3:4]
	s_delay_alu instid0(VALU_DEP_1)
	v_fma_f64 v[3:4], s[10:11], v[5:6], v[3:4]
.LBB173_15:
	s_or_b32 s9, s9, exec_lo
.LBB173_16:
	s_or_b32 exec_lo, exec_lo, s2
.LBB173_17:
	s_and_saveexec_b32 s0, s9
	s_cbranch_execz .LBB173_19
; %bb.18:
	v_lshlrev_b64 v[0:1], 3, v[1:2]
	s_delay_alu instid0(VALU_DEP_1) | instskip(NEXT) | instid1(VALU_DEP_2)
	v_add_co_u32 v0, vcc_lo, s3, v0
	v_add_co_ci_u32_e32 v1, vcc_lo, s4, v1, vcc_lo
	global_store_b64 v[0:1], v[3:4], off
.LBB173_19:
	s_nop 0
	s_sendmsg sendmsg(MSG_DEALLOC_VGPRS)
	s_endpgm
.LBB173_20:
                                        ; implicit-def: $vgpr3_vgpr4
                                        ; implicit-def: $vgpr1_vgpr2
	s_branch .LBB173_14
	.section	.rodata,"a",@progbits
	.p2align	6, 0x0
	.amdhsa_kernel _ZL36rocblas_hemvn_kernel_lower_block_sumILi64ElPKdPKPddEviT1_lS5_lT2_lT0_lPT3_i
		.amdhsa_group_segment_fixed_size 0
		.amdhsa_private_segment_fixed_size 0
		.amdhsa_kernarg_size 344
		.amdhsa_user_sgpr_count 14
		.amdhsa_user_sgpr_dispatch_ptr 0
		.amdhsa_user_sgpr_queue_ptr 0
		.amdhsa_user_sgpr_kernarg_segment_ptr 1
		.amdhsa_user_sgpr_dispatch_id 0
		.amdhsa_user_sgpr_private_segment_size 0
		.amdhsa_wavefront_size32 1
		.amdhsa_uses_dynamic_stack 0
		.amdhsa_enable_private_segment 0
		.amdhsa_system_sgpr_workgroup_id_x 1
		.amdhsa_system_sgpr_workgroup_id_y 0
		.amdhsa_system_sgpr_workgroup_id_z 1
		.amdhsa_system_sgpr_workgroup_info 0
		.amdhsa_system_vgpr_workitem_id 0
		.amdhsa_next_free_vgpr 9
		.amdhsa_next_free_sgpr 24
		.amdhsa_reserve_vcc 1
		.amdhsa_float_round_mode_32 0
		.amdhsa_float_round_mode_16_64 0
		.amdhsa_float_denorm_mode_32 3
		.amdhsa_float_denorm_mode_16_64 3
		.amdhsa_dx10_clamp 1
		.amdhsa_ieee_mode 1
		.amdhsa_fp16_overflow 0
		.amdhsa_workgroup_processor_mode 1
		.amdhsa_memory_ordered 1
		.amdhsa_forward_progress 0
		.amdhsa_shared_vgpr_count 0
		.amdhsa_exception_fp_ieee_invalid_op 0
		.amdhsa_exception_fp_denorm_src 0
		.amdhsa_exception_fp_ieee_div_zero 0
		.amdhsa_exception_fp_ieee_overflow 0
		.amdhsa_exception_fp_ieee_underflow 0
		.amdhsa_exception_fp_ieee_inexact 0
		.amdhsa_exception_int_div_zero 0
	.end_amdhsa_kernel
	.section	.text._ZL36rocblas_hemvn_kernel_lower_block_sumILi64ElPKdPKPddEviT1_lS5_lT2_lT0_lPT3_i,"axG",@progbits,_ZL36rocblas_hemvn_kernel_lower_block_sumILi64ElPKdPKPddEviT1_lS5_lT2_lT0_lPT3_i,comdat
.Lfunc_end173:
	.size	_ZL36rocblas_hemvn_kernel_lower_block_sumILi64ElPKdPKPddEviT1_lS5_lT2_lT0_lPT3_i, .Lfunc_end173-_ZL36rocblas_hemvn_kernel_lower_block_sumILi64ElPKdPKPddEviT1_lS5_lT2_lT0_lPT3_i
                                        ; -- End function
	.section	.AMDGPU.csdata,"",@progbits
; Kernel info:
; codeLenInByte = 820
; NumSgprs: 26
; NumVgprs: 9
; ScratchSize: 0
; MemoryBound: 0
; FloatMode: 240
; IeeeMode: 1
; LDSByteSize: 0 bytes/workgroup (compile time only)
; SGPRBlocks: 3
; VGPRBlocks: 1
; NumSGPRsForWavesPerEU: 26
; NumVGPRsForWavesPerEU: 9
; Occupancy: 16
; WaveLimiterHint : 1
; COMPUTE_PGM_RSRC2:SCRATCH_EN: 0
; COMPUTE_PGM_RSRC2:USER_SGPR: 14
; COMPUTE_PGM_RSRC2:TRAP_HANDLER: 0
; COMPUTE_PGM_RSRC2:TGID_X_EN: 1
; COMPUTE_PGM_RSRC2:TGID_Y_EN: 0
; COMPUTE_PGM_RSRC2:TGID_Z_EN: 1
; COMPUTE_PGM_RSRC2:TIDIG_COMP_CNT: 0
	.section	.text._ZL26rocblas_hemvn_kernel_lowerILb0ELi64ELi4ELi33ELi32ELi16EiPKdPKS1_PdEviT6_lT7_lT5_lS6_lS7_lS5_lT8_i,"axG",@progbits,_ZL26rocblas_hemvn_kernel_lowerILb0ELi64ELi4ELi33ELi32ELi16EiPKdPKS1_PdEviT6_lT7_lT5_lS6_lS7_lS5_lT8_i,comdat
	.globl	_ZL26rocblas_hemvn_kernel_lowerILb0ELi64ELi4ELi33ELi32ELi16EiPKdPKS1_PdEviT6_lT7_lT5_lS6_lS7_lS5_lT8_i ; -- Begin function _ZL26rocblas_hemvn_kernel_lowerILb0ELi64ELi4ELi33ELi32ELi16EiPKdPKS1_PdEviT6_lT7_lT5_lS6_lS7_lS5_lT8_i
	.p2align	8
	.type	_ZL26rocblas_hemvn_kernel_lowerILb0ELi64ELi4ELi33ELi32ELi16EiPKdPKS1_PdEviT6_lT7_lT5_lS6_lS7_lS5_lT8_i,@function
_ZL26rocblas_hemvn_kernel_lowerILb0ELi64ELi4ELi33ELi32ELi16EiPKdPKS1_PdEviT6_lT7_lT5_lS6_lS7_lS5_lT8_i: ; @_ZL26rocblas_hemvn_kernel_lowerILb0ELi64ELi4ELi33ELi32ELi16EiPKdPKS1_PdEviT6_lT7_lT5_lS6_lS7_lS5_lT8_i
; %bb.0:
	s_load_b64 s[4:5], s[0:1], 0x84
	s_add_u32 s2, s0, 0x78
	s_addc_u32 s3, s1, 0
	s_waitcnt lgkmcnt(0)
	s_lshr_b32 s6, s4, 16
	s_and_b32 s4, s4, 0xffff
	s_and_b32 s5, s5, 0xffff
	s_mul_i32 s4, s6, s4
	s_delay_alu instid0(SALU_CYCLE_1) | instskip(NEXT) | instid1(SALU_CYCLE_1)
	s_mul_i32 s4, s4, s5
	s_cmpk_lg_i32 s4, 0x100
	s_cbranch_scc1 .LBB174_6
; %bb.1:
	s_clause 0x1
	s_load_b256 s[4:11], s[0:1], 0x8
	s_load_b128 s[16:19], s[0:1], 0x58
	s_mov_b32 s12, s15
	s_waitcnt lgkmcnt(0)
	s_mul_i32 s7, s15, s7
	s_mul_hi_u32 s13, s15, s6
	s_mul_i32 s6, s15, s6
	s_add_i32 s7, s13, s7
	s_mul_i32 s13, s15, s19
	s_lshl_b64 s[6:7], s[6:7], 3
	s_mul_hi_u32 s15, s15, s18
	s_add_u32 s4, s4, s6
	s_addc_u32 s5, s5, s7
	s_add_i32 s7, s15, s13
	s_mul_i32 s6, s12, s18
	s_delay_alu instid0(SALU_CYCLE_1) | instskip(NEXT) | instid1(SALU_CYCLE_1)
	s_lshl_b64 s[6:7], s[6:7], 3
	s_add_u32 s16, s16, s6
	s_addc_u32 s17, s17, s7
	s_load_b64 s[6:7], s[4:5], 0x0
	s_load_b64 s[4:5], s[16:17], 0x0
	s_waitcnt lgkmcnt(0)
	v_cmp_eq_f64_e64 s13, s[6:7], 0
	v_cmp_eq_f64_e64 s4, s[4:5], 1.0
	s_delay_alu instid0(VALU_DEP_1) | instskip(NEXT) | instid1(SALU_CYCLE_1)
	s_and_b32 s4, s13, s4
	s_and_b32 vcc_lo, exec_lo, s4
	s_mov_b64 s[4:5], 0
	s_cbranch_vccnz .LBB174_6
; %bb.2:
	v_cmp_neq_f64_e64 s6, s[6:7], 0
	s_and_b32 vcc_lo, exec_lo, s13
	s_mov_b32 s13, 0
	s_cbranch_vccnz .LBB174_4
; %bb.3:
	s_lshl_b64 s[4:5], s[12:13], 3
	s_delay_alu instid0(SALU_CYCLE_1)
	s_add_u32 s4, s8, s4
	s_addc_u32 s5, s9, s5
	s_lshl_b64 s[8:9], s[10:11], 3
	s_load_b64 s[4:5], s[4:5], 0x0
	s_waitcnt lgkmcnt(0)
	s_add_u32 s4, s4, s8
	s_addc_u32 s5, s5, s9
.LBB174_4:
	s_delay_alu instid0(VALU_DEP_1)
	v_cndmask_b32_e64 v1, 0, 1, s6
	s_and_not1_b32 vcc_lo, exec_lo, s6
	s_cbranch_vccnz .LBB174_7
; %bb.5:
	s_load_b128 s[8:11], s[0:1], 0x38
	s_lshl_b64 s[6:7], s[12:13], 3
	s_waitcnt lgkmcnt(0)
	s_add_u32 s6, s8, s6
	s_addc_u32 s7, s9, s7
	s_lshl_b64 s[8:9], s[10:11], 3
	s_load_b64 s[6:7], s[6:7], 0x0
	s_waitcnt lgkmcnt(0)
	s_add_u32 s6, s6, s8
	s_addc_u32 s7, s7, s9
	v_cmp_ne_u32_e32 vcc_lo, 1, v1
	s_cbranch_vccz .LBB174_8
.LBB174_6:
	s_endpgm
.LBB174_7:
	s_mov_b64 s[6:7], 0
	s_delay_alu instid0(VALU_DEP_1)
	v_cmp_ne_u32_e32 vcc_lo, 1, v1
	s_cbranch_vccnz .LBB174_6
.LBB174_8:
	s_clause 0x1
	s_load_b32 s13, s[0:1], 0x48
	s_load_b32 s15, s[0:1], 0x0
	v_and_b32_e32 v25, 0x3ff, v0
	s_lshl_b32 s16, s14, 6
	s_load_b32 s26, s[2:3], 0x0
	s_load_b64 s[18:19], s[0:1], 0x68
	v_bfe_u32 v71, v0, 10, 10
	v_add_nc_u32_e32 v16, s16, v25
	s_waitcnt lgkmcnt(0)
	s_delay_alu instid0(VALU_DEP_1) | instskip(SKIP_1) | instid1(SALU_CYCLE_1)
	v_mul_lo_u32 v1, v16, s13
	s_ashr_i32 s27, s15, 31
	s_lshr_b32 s2, s27, 26
	s_add_i32 s8, s26, -1
	s_add_i32 s3, s15, s2
	v_cmp_ne_u32_e64 s2, 0, v71
	s_and_not1_b32 s3, s3, 63
	s_delay_alu instid0(VALU_DEP_2)
	v_ashrrev_i32_e32 v2, 31, v1
	s_sub_i32 s9, s15, s3
	v_cmp_eq_u32_e64 s3, 0, v71
	s_cmp_eq_u32 s14, s8
	s_cselect_b32 s10, s9, 0
	v_lshlrev_b64 v[0:1], 3, v[1:2]
	s_delay_alu instid0(VALU_DEP_1) | instskip(NEXT) | instid1(VALU_DEP_2)
	v_add_co_u32 v19, vcc_lo, s6, v0
	v_add_co_ci_u32_e32 v20, vcc_lo, s7, v1, vcc_lo
	s_and_saveexec_b32 s6, s3
	s_cbranch_execz .LBB174_12
; %bb.9:
	v_cmp_gt_i32_e32 vcc_lo, s10, v25
	s_cmp_eq_u32 s10, 0
	v_mov_b32_e32 v0, 0
	v_mov_b32_e32 v1, 0
	s_cselect_b32 s7, -1, 0
	s_delay_alu instid0(SALU_CYCLE_1) | instskip(NEXT) | instid1(SALU_CYCLE_1)
	s_or_b32 s8, s7, vcc_lo
	s_and_saveexec_b32 s7, s8
	s_cbranch_execz .LBB174_11
; %bb.10:
	flat_load_b64 v[0:1], v[19:20]
.LBB174_11:
	s_or_b32 exec_lo, exec_lo, s7
	v_lshlrev_b32_e32 v2, 3, v25
	s_waitcnt vmcnt(0) lgkmcnt(0)
	ds_store_b64 v2, v[0:1] offset:9088
.LBB174_12:
	s_or_b32 exec_lo, exec_lo, s6
	s_load_b32 s8, s[0:1], 0x28
	v_lshl_add_u32 v26, v71, 6, v25
	v_and_b32_e32 v0, 31, v25
	s_ashr_i32 s17, s16, 31
	s_delay_alu instid0(SALU_CYCLE_1) | instskip(NEXT) | instid1(VALU_DEP_2)
	s_lshl_b64 s[0:1], s[16:17], 3
	v_lshrrev_b32_e32 v11, 5, v26
	s_add_u32 s4, s4, s0
	s_addc_u32 s5, s5, s1
	s_waitcnt lgkmcnt(0)
	s_delay_alu instid0(VALU_DEP_1) | instskip(SKIP_1) | instid1(SALU_CYCLE_1)
	v_mad_u64_u32 v[1:2], null, v11, s8, v[0:1]
	s_mul_i32 s0, s16, s8
	s_ashr_i32 s1, s0, 31
	s_delay_alu instid0(SALU_CYCLE_1) | instskip(NEXT) | instid1(SALU_CYCLE_1)
	s_lshl_b64 s[20:21], s[0:1], 3
	s_add_u32 s0, s20, s4
	s_delay_alu instid0(VALU_DEP_1) | instskip(SKIP_3) | instid1(VALU_DEP_1)
	v_ashrrev_i32_e32 v2, 31, v1
	s_addc_u32 s1, s21, s5
	s_cmp_lg_u32 s10, 0
	s_cselect_b32 s17, -1, 0
	v_lshlrev_b64 v[21:22], 3, v[1:2]
	s_cmp_eq_u32 s10, 0
	s_cselect_b32 s7, -1, 0
	s_delay_alu instid0(VALU_DEP_1) | instskip(NEXT) | instid1(VALU_DEP_2)
	v_add_co_u32 v1, vcc_lo, s0, v21
	v_add_co_ci_u32_e32 v2, vcc_lo, s1, v22, vcc_lo
	s_and_b32 vcc_lo, exec_lo, s17
	s_mov_b32 s0, 0
	s_cbranch_vccnz .LBB174_14
; %bb.13:
	flat_load_b64 v[3:4], v[1:2]
	s_lshl_b32 s4, s8, 3
	v_mul_u32_u24_e32 v5, 33, v11
	s_ashr_i32 s5, s4, 31
	s_ashr_i32 s9, s8, 31
	s_lshl_b64 s[4:5], s[4:5], 3
	s_delay_alu instid0(VALU_DEP_1)
	v_add_lshl_u32 v7, v5, v0, 3
	v_add_co_u32 v5, vcc_lo, v1, s4
	v_add_co_ci_u32_e32 v6, vcc_lo, s5, v2, vcc_lo
	s_lshl_b64 s[4:5], s[8:9], 6
	s_waitcnt vmcnt(0) lgkmcnt(0)
	ds_store_b64 v7, v[3:4]
	flat_load_b64 v[3:4], v[5:6]
	v_add_co_u32 v5, vcc_lo, v5, s4
	v_add_co_ci_u32_e32 v6, vcc_lo, s5, v6, vcc_lo
	s_waitcnt vmcnt(0) lgkmcnt(0)
	ds_store_b64 v7, v[3:4] offset:2112
	flat_load_b64 v[3:4], v[5:6]
	v_add_co_u32 v5, vcc_lo, v5, s4
	v_add_co_ci_u32_e32 v6, vcc_lo, s5, v6, vcc_lo
	s_waitcnt vmcnt(0) lgkmcnt(0)
	ds_store_b64 v7, v[3:4] offset:4224
	flat_load_b64 v[3:4], v[5:6]
	s_waitcnt vmcnt(0) lgkmcnt(0)
	ds_store_b64 v7, v[3:4] offset:6336
	s_and_not1_b32 vcc_lo, exec_lo, s0
	s_cbranch_vccz .LBB174_15
	s_branch .LBB174_24
.LBB174_14:
.LBB174_15:
	v_dual_mov_b32 v7, 0 :: v_dual_lshlrev_b32 v12, 3, v0
	s_ashr_i32 s11, s10, 31
	s_mov_b32 s1, exec_lo
	s_lshl_b64 s[4:5], s[10:11], 3
	s_delay_alu instid0(VALU_DEP_1) | instskip(SKIP_1) | instid1(VALU_DEP_2)
	v_sub_co_u32 v3, vcc_lo, v1, v12
	v_subrev_co_ci_u32_e32 v4, vcc_lo, 0, v2, vcc_lo
	v_add_co_u32 v3, vcc_lo, v3, s4
	s_delay_alu instid0(VALU_DEP_2) | instskip(NEXT) | instid1(VALU_DEP_2)
	v_add_co_ci_u32_e32 v4, vcc_lo, s5, v4, vcc_lo
	v_add_co_u32 v3, vcc_lo, v3, -8
	s_delay_alu instid0(VALU_DEP_2) | instskip(SKIP_1) | instid1(VALU_DEP_3)
	v_add_co_ci_u32_e32 v4, vcc_lo, -1, v4, vcc_lo
	v_cmp_gt_i32_e32 vcc_lo, s10, v0
	v_dual_mov_b32 v8, 0 :: v_dual_cndmask_b32 v3, v3, v1
	s_delay_alu instid0(VALU_DEP_3) | instskip(NEXT) | instid1(VALU_DEP_2)
	v_dual_cndmask_b32 v4, v4, v2 :: v_dual_mov_b32 v5, v7
	v_mov_b32_e32 v6, v8
	v_cmpx_gt_i32_e64 s10, v11
	s_cbranch_execz .LBB174_17
; %bb.16:
	flat_load_b64 v[5:6], v[3:4]
.LBB174_17:
	s_or_b32 exec_lo, exec_lo, s1
	v_mul_u32_u24_e32 v9, 33, v11
	v_add_nc_u32_e32 v10, 8, v11
	s_mov_b32 s1, exec_lo
	s_delay_alu instid0(VALU_DEP_2)
	v_add_lshl_u32 v13, v9, v0, 3
	s_waitcnt vmcnt(0) lgkmcnt(0)
	ds_store_b64 v13, v[5:6]
	v_cmpx_gt_i32_e64 s10, v10
	s_cbranch_execz .LBB174_19
; %bb.18:
	s_lshl_b32 s22, s8, 3
	s_delay_alu instid0(SALU_CYCLE_1) | instskip(NEXT) | instid1(SALU_CYCLE_1)
	s_ashr_i32 s23, s22, 31
	s_lshl_b64 s[22:23], s[22:23], 3
	s_delay_alu instid0(SALU_CYCLE_1) | instskip(NEXT) | instid1(VALU_DEP_1)
	v_add_co_u32 v5, s0, v3, s22
	v_add_co_ci_u32_e64 v6, s0, s23, v4, s0
	flat_load_b64 v[7:8], v[5:6]
.LBB174_19:
	s_or_b32 exec_lo, exec_lo, s1
	v_mov_b32_e32 v5, 0
	v_dual_mov_b32 v6, 0 :: v_dual_add_nc_u32 v9, 16, v11
	s_waitcnt vmcnt(0) lgkmcnt(0)
	ds_store_b64 v13, v[7:8] offset:2112
	v_cmp_gt_i32_e64 s0, s10, v9
	v_dual_mov_b32 v10, v6 :: v_dual_mov_b32 v9, v5
	s_delay_alu instid0(VALU_DEP_2)
	s_and_saveexec_b32 s1, s0
	s_cbranch_execz .LBB174_21
; %bb.20:
	s_lshl_b32 s22, s8, 4
	s_delay_alu instid0(SALU_CYCLE_1) | instskip(NEXT) | instid1(SALU_CYCLE_1)
	s_ashr_i32 s23, s22, 31
	s_lshl_b64 s[22:23], s[22:23], 3
	s_delay_alu instid0(SALU_CYCLE_1) | instskip(NEXT) | instid1(VALU_DEP_1)
	v_add_co_u32 v7, s0, v3, s22
	v_add_co_ci_u32_e64 v8, s0, s23, v4, s0
	flat_load_b64 v[9:10], v[7:8]
.LBB174_21:
	s_or_b32 exec_lo, exec_lo, s1
	v_add_nc_u32_e32 v7, 24, v11
	s_mov_b32 s1, exec_lo
	s_waitcnt vmcnt(0) lgkmcnt(0)
	ds_store_b64 v13, v[9:10] offset:4224
	v_cmpx_gt_i32_e64 s10, v7
	s_cbranch_execz .LBB174_23
; %bb.22:
	s_mul_i32 s22, s8, 24
	s_delay_alu instid0(SALU_CYCLE_1) | instskip(NEXT) | instid1(SALU_CYCLE_1)
	s_ashr_i32 s23, s22, 31
	s_lshl_b64 s[22:23], s[22:23], 3
	s_delay_alu instid0(SALU_CYCLE_1) | instskip(NEXT) | instid1(VALU_DEP_1)
	v_add_co_u32 v5, s0, v3, s22
	v_add_co_ci_u32_e64 v6, s0, s23, v4, s0
	flat_load_b64 v[5:6], v[5:6]
.LBB174_23:
	s_or_b32 exec_lo, exec_lo, s1
	v_add_co_u32 v3, s0, v3, v12
	s_delay_alu instid0(VALU_DEP_1) | instskip(SKIP_3) | instid1(VALU_DEP_1)
	v_add_co_ci_u32_e64 v4, s0, 0, v4, s0
	s_waitcnt vmcnt(0) lgkmcnt(0)
	ds_store_b64 v13, v[5:6] offset:6336
	v_sub_co_u32 v3, s0, v3, s4
	v_subrev_co_ci_u32_e64 v4, s0, s5, v4, s0
	s_delay_alu instid0(VALU_DEP_2) | instskip(NEXT) | instid1(VALU_DEP_1)
	v_add_co_u32 v3, s0, v3, 8
	v_add_co_ci_u32_e64 v4, s0, 0, v4, s0
	s_delay_alu instid0(VALU_DEP_1)
	v_dual_cndmask_b32 v1, v3, v1 :: v_dual_cndmask_b32 v2, v4, v2
.LBB174_24:
	v_lshlrev_b32_e32 v3, 2, v11
	v_mul_u32_u24_e32 v27, 33, v0
	v_mul_u32_u24_e32 v4, 0x84, v11
	s_waitcnt lgkmcnt(0)
	s_barrier
	v_cmp_lt_u32_e64 s1, v3, v0
	v_add_lshl_u32 v29, v3, v27, 3
	buffer_gl0_inv
	s_and_saveexec_b32 s0, s1
	s_cbranch_execz .LBB174_26
; %bb.25:
	v_add_lshl_u32 v5, v4, v0, 3
	ds_load_b64 v[5:6], v5
	s_waitcnt lgkmcnt(0)
	ds_store_b64 v29, v[5:6]
.LBB174_26:
	s_or_b32 exec_lo, exec_lo, s0
	v_or_b32_e32 v5, 1, v3
	s_delay_alu instid0(VALU_DEP_1) | instskip(NEXT) | instid1(VALU_DEP_1)
	v_cmp_lt_u32_e64 s4, v5, v0
	s_and_saveexec_b32 s0, s4
	s_cbranch_execz .LBB174_28
; %bb.27:
	v_mul_u32_u24_e32 v5, 33, v5
	s_delay_alu instid0(VALU_DEP_1)
	v_add_lshl_u32 v5, v5, v0, 3
	ds_load_b64 v[5:6], v5
	s_waitcnt lgkmcnt(0)
	ds_store_b64 v29, v[5:6] offset:8
.LBB174_28:
	s_or_b32 exec_lo, exec_lo, s0
	v_or_b32_e32 v5, 2, v3
	s_delay_alu instid0(VALU_DEP_1) | instskip(NEXT) | instid1(VALU_DEP_1)
	v_cmp_lt_u32_e64 s5, v5, v0
	s_and_saveexec_b32 s0, s5
	s_cbranch_execz .LBB174_30
; %bb.29:
	v_mul_u32_u24_e32 v5, 33, v5
	s_delay_alu instid0(VALU_DEP_1)
	v_add_lshl_u32 v5, v5, v0, 3
	ds_load_b64 v[5:6], v5
	s_waitcnt lgkmcnt(0)
	ds_store_b64 v29, v[5:6] offset:16
.LBB174_30:
	s_or_b32 exec_lo, exec_lo, s0
	v_or_b32_e32 v5, 3, v3
	s_delay_alu instid0(VALU_DEP_1) | instskip(SKIP_1) | instid1(VALU_DEP_2)
	v_mad_u32_u24 v6, v5, 33, v0
	v_cmp_lt_u32_e64 s6, v5, v0
	v_lshlrev_b32_e32 v9, 3, v6
	s_delay_alu instid0(VALU_DEP_2)
	s_and_saveexec_b32 s0, s6
	s_cbranch_execz .LBB174_32
; %bb.31:
	ds_load_b64 v[5:6], v9
	s_waitcnt lgkmcnt(0)
	ds_store_b64 v29, v[5:6] offset:24
.LBB174_32:
	s_or_b32 exec_lo, exec_lo, s0
	v_add_lshl_u32 v10, v4, v0, 3
	v_dual_mov_b32 v17, 0 :: v_dual_lshlrev_b32 v12, 3, v3
	s_waitcnt lgkmcnt(0)
	s_barrier
	buffer_gl0_inv
	ds_load_b64 v[7:8], v10
	ds_load_b128 v[3:6], v12 offset:9088
	v_dual_mov_b32 v18, 0 :: v_dual_add_nc_u32 v13, 0xfffffdf0, v9
	v_add_lshl_u32 v28, v11, v27, 3
	v_cmp_gt_u32_e64 s0, 32, v26
	ds_load_2addr_b64 v[30:33], v13 offset1:33
	s_waitcnt lgkmcnt(1)
	v_fma_f64 v[3:4], v[7:8], v[3:4], 0
	s_waitcnt lgkmcnt(0)
	s_delay_alu instid0(VALU_DEP_1)
	v_fma_f64 v[7:8], v[30:31], v[5:6], v[3:4]
	ds_load_b128 v[3:6], v12 offset:9104
	ds_load_b64 v[14:15], v9
	s_waitcnt lgkmcnt(0)
	s_barrier
	buffer_gl0_inv
	v_fma_f64 v[3:4], v[32:33], v[3:4], v[7:8]
	s_delay_alu instid0(VALU_DEP_1)
	v_fma_f64 v[3:4], v[14:15], v[5:6], v[3:4]
	ds_store_b64 v28, v[3:4]
	s_waitcnt lgkmcnt(0)
	s_barrier
	buffer_gl0_inv
	s_and_saveexec_b32 s9, s0
	s_cbranch_execz .LBB174_34
; %bb.33:
	v_lshlrev_b32_e32 v14, 3, v27
	ds_load_2addr_b64 v[3:6], v14 offset1:1
	ds_load_2addr_b64 v[30:33], v14 offset0:2 offset1:3
	s_waitcnt lgkmcnt(1)
	v_add_f64 v[3:4], v[3:4], v[5:6]
	s_waitcnt lgkmcnt(0)
	s_delay_alu instid0(VALU_DEP_1) | instskip(NEXT) | instid1(VALU_DEP_1)
	v_add_f64 v[3:4], v[3:4], v[30:31]
	v_add_f64 v[7:8], v[3:4], v[32:33]
	ds_load_2addr_b64 v[3:6], v14 offset0:4 offset1:5
	ds_load_2addr_b64 v[30:33], v14 offset0:6 offset1:7
	s_waitcnt lgkmcnt(1)
	v_add_f64 v[3:4], v[7:8], v[3:4]
	s_delay_alu instid0(VALU_DEP_1) | instskip(SKIP_1) | instid1(VALU_DEP_1)
	v_add_f64 v[3:4], v[3:4], v[5:6]
	s_waitcnt lgkmcnt(0)
	v_add_f64 v[3:4], v[3:4], v[30:31]
	s_delay_alu instid0(VALU_DEP_1)
	v_add_f64 v[17:18], v[3:4], v[32:33]
.LBB174_34:
	s_or_b32 exec_lo, exec_lo, s9
	s_lshl_b32 s22, s8, 5
	v_cndmask_b32_e64 v14, 0, 1, s7
	s_ashr_i32 s23, s22, 31
	s_delay_alu instid0(SALU_CYCLE_1)
	s_lshl_b64 s[22:23], s[22:23], 3
	s_barrier
	v_add_co_u32 v1, vcc_lo, v1, s22
	v_add_co_ci_u32_e32 v2, vcc_lo, s23, v2, vcc_lo
	buffer_gl0_inv
	v_add_co_u32 v15, vcc_lo, 0x100, v1
	v_add_co_ci_u32_e32 v24, vcc_lo, 0, v2, vcc_lo
	s_and_not1_b32 vcc_lo, exec_lo, s7
	s_cbranch_vccnz .LBB174_36
; %bb.35:
	flat_load_b64 v[3:4], v[1:2] offset:256
	s_lshl_b32 s24, s8, 3
	v_mul_u32_u24_e32 v5, 33, v11
	s_ashr_i32 s25, s24, 31
	s_ashr_i32 s9, s8, 31
	s_lshl_b64 s[24:25], s[24:25], 3
	s_delay_alu instid0(SALU_CYCLE_1)
	v_add_co_u32 v1, vcc_lo, v1, s24
	v_add_lshl_u32 v5, v5, v0, 3
	v_add_co_ci_u32_e32 v2, vcc_lo, s25, v2, vcc_lo
	s_lshl_b64 s[24:25], s[8:9], 6
	s_waitcnt vmcnt(0) lgkmcnt(0)
	ds_store_b64 v5, v[3:4]
	flat_load_b64 v[3:4], v[1:2] offset:256
	v_add_co_u32 v1, vcc_lo, v1, s24
	v_add_co_ci_u32_e32 v2, vcc_lo, s25, v2, vcc_lo
	s_waitcnt vmcnt(0) lgkmcnt(0)
	ds_store_b64 v5, v[3:4] offset:2112
	flat_load_b64 v[3:4], v[1:2] offset:256
	v_add_co_u32 v1, vcc_lo, v1, s24
	v_add_co_ci_u32_e32 v2, vcc_lo, s25, v2, vcc_lo
	s_waitcnt vmcnt(0) lgkmcnt(0)
	ds_store_b64 v5, v[3:4] offset:4224
	flat_load_b64 v[1:2], v[1:2] offset:256
	s_waitcnt vmcnt(0) lgkmcnt(0)
	ds_store_b64 v5, v[1:2] offset:6336
	s_cbranch_execz .LBB174_37
	s_branch .LBB174_46
.LBB174_36:
.LBB174_37:
	v_or_b32_e32 v1, 32, v0
	s_ashr_i32 s11, s10, 31
	s_sub_i32 s9, s10, 32
	s_lshl_b64 s[24:25], s[10:11], 3
	s_mov_b32 s11, exec_lo
	v_dual_mov_b32 v5, 0 :: v_dual_lshlrev_b32 v2, 3, v1
	s_delay_alu instid0(VALU_DEP_1) | instskip(SKIP_1) | instid1(VALU_DEP_2)
	v_sub_co_u32 v2, vcc_lo, v15, v2
	v_subrev_co_ci_u32_e32 v3, vcc_lo, 0, v24, vcc_lo
	v_add_co_u32 v2, vcc_lo, v2, s24
	s_delay_alu instid0(VALU_DEP_2) | instskip(NEXT) | instid1(VALU_DEP_2)
	v_add_co_ci_u32_e32 v3, vcc_lo, s25, v3, vcc_lo
	v_add_co_u32 v4, vcc_lo, v2, -8
	s_delay_alu instid0(VALU_DEP_2) | instskip(SKIP_1) | instid1(VALU_DEP_3)
	v_add_co_ci_u32_e32 v2, vcc_lo, -1, v3, vcc_lo
	v_cmp_gt_i32_e32 vcc_lo, s10, v1
	v_dual_mov_b32 v6, 0 :: v_dual_cndmask_b32 v1, v4, v15
	s_delay_alu instid0(VALU_DEP_3) | instskip(NEXT) | instid1(VALU_DEP_2)
	v_dual_cndmask_b32 v2, v2, v24 :: v_dual_mov_b32 v3, v5
	v_mov_b32_e32 v4, v6
	v_cmpx_gt_i32_e64 s9, v11
	s_cbranch_execz .LBB174_39
; %bb.38:
	flat_load_b64 v[3:4], v[1:2]
.LBB174_39:
	s_or_b32 exec_lo, exec_lo, s11
	v_mul_u32_u24_e32 v7, 33, v11
	v_add_nc_u32_e32 v8, 8, v11
	s_mov_b32 s11, exec_lo
	s_delay_alu instid0(VALU_DEP_2)
	v_add_lshl_u32 v23, v7, v0, 3
	s_waitcnt vmcnt(0) lgkmcnt(0)
	ds_store_b64 v23, v[3:4]
	v_cmpx_gt_i32_e64 s9, v8
	s_cbranch_execz .LBB174_41
; %bb.40:
	s_lshl_b32 s28, s8, 3
	s_delay_alu instid0(SALU_CYCLE_1) | instskip(NEXT) | instid1(SALU_CYCLE_1)
	s_ashr_i32 s29, s28, 31
	s_lshl_b64 s[28:29], s[28:29], 3
	s_delay_alu instid0(SALU_CYCLE_1) | instskip(NEXT) | instid1(VALU_DEP_1)
	v_add_co_u32 v3, s7, v1, s28
	v_add_co_ci_u32_e64 v4, s7, s29, v2, s7
	flat_load_b64 v[5:6], v[3:4]
.LBB174_41:
	s_or_b32 exec_lo, exec_lo, s11
	v_mov_b32_e32 v3, 0
	v_dual_mov_b32 v4, 0 :: v_dual_add_nc_u32 v7, 16, v11
	s_waitcnt vmcnt(0) lgkmcnt(0)
	ds_store_b64 v23, v[5:6] offset:2112
	v_cmp_gt_i32_e64 s7, s9, v7
	v_dual_mov_b32 v8, v4 :: v_dual_mov_b32 v7, v3
	s_delay_alu instid0(VALU_DEP_2)
	s_and_saveexec_b32 s11, s7
	s_cbranch_execz .LBB174_43
; %bb.42:
	s_lshl_b32 s28, s8, 4
	s_delay_alu instid0(SALU_CYCLE_1) | instskip(NEXT) | instid1(SALU_CYCLE_1)
	s_ashr_i32 s29, s28, 31
	s_lshl_b64 s[28:29], s[28:29], 3
	s_delay_alu instid0(SALU_CYCLE_1) | instskip(NEXT) | instid1(VALU_DEP_1)
	v_add_co_u32 v5, s7, v1, s28
	v_add_co_ci_u32_e64 v6, s7, s29, v2, s7
	flat_load_b64 v[7:8], v[5:6]
.LBB174_43:
	s_or_b32 exec_lo, exec_lo, s11
	v_add_nc_u32_e32 v5, 24, v11
	s_waitcnt vmcnt(0) lgkmcnt(0)
	ds_store_b64 v23, v[7:8] offset:4224
	v_cmp_gt_i32_e64 s7, s9, v5
	s_delay_alu instid0(VALU_DEP_1)
	s_and_saveexec_b32 s9, s7
	s_cbranch_execz .LBB174_45
; %bb.44:
	s_mul_i32 s28, s8, 24
	s_delay_alu instid0(SALU_CYCLE_1) | instskip(NEXT) | instid1(SALU_CYCLE_1)
	s_ashr_i32 s29, s28, 31
	s_lshl_b64 s[28:29], s[28:29], 3
	s_delay_alu instid0(SALU_CYCLE_1) | instskip(NEXT) | instid1(VALU_DEP_1)
	v_add_co_u32 v3, s7, v1, s28
	v_add_co_ci_u32_e64 v4, s7, s29, v2, s7
	flat_load_b64 v[3:4], v[3:4]
.LBB174_45:
	s_or_b32 exec_lo, exec_lo, s9
	v_lshlrev_b32_e32 v5, 3, v0
	s_waitcnt vmcnt(0) lgkmcnt(0)
	ds_store_b64 v23, v[3:4] offset:6336
	v_add_co_u32 v1, s7, v1, v5
	s_delay_alu instid0(VALU_DEP_1) | instskip(NEXT) | instid1(VALU_DEP_2)
	v_add_co_ci_u32_e64 v2, s7, 0, v2, s7
	v_sub_co_u32 v1, s7, v1, s24
	s_delay_alu instid0(VALU_DEP_1) | instskip(NEXT) | instid1(VALU_DEP_2)
	v_subrev_co_ci_u32_e64 v2, s7, s25, v2, s7
	v_add_co_u32 v1, s7, 0x108, v1
	s_delay_alu instid0(VALU_DEP_1) | instskip(NEXT) | instid1(VALU_DEP_1)
	v_add_co_ci_u32_e64 v2, s7, 0, v2, s7
	v_dual_cndmask_b32 v15, v1, v15 :: v_dual_cndmask_b32 v24, v2, v24
.LBB174_46:
	v_add_nc_u32_e32 v12, 0x2380, v12
	s_waitcnt lgkmcnt(0)
	s_barrier
	buffer_gl0_inv
	s_and_saveexec_b32 s7, s1
	s_cbranch_execnz .LBB174_55
; %bb.47:
	s_or_b32 exec_lo, exec_lo, s7
	s_and_saveexec_b32 s1, s4
	s_cbranch_execnz .LBB174_56
.LBB174_48:
	s_or_b32 exec_lo, exec_lo, s1
	s_and_saveexec_b32 s1, s5
	s_cbranch_execnz .LBB174_57
.LBB174_49:
	s_or_b32 exec_lo, exec_lo, s1
	s_and_saveexec_b32 s1, s6
	s_cbranch_execz .LBB174_51
.LBB174_50:
	ds_load_b64 v[1:2], v9
	s_waitcnt lgkmcnt(0)
	ds_store_b64 v29, v[1:2] offset:24
.LBB174_51:
	s_or_b32 exec_lo, exec_lo, s1
	s_waitcnt lgkmcnt(0)
	s_barrier
	buffer_gl0_inv
	ds_load_b64 v[5:6], v10
	ds_load_b128 v[1:4], v12 offset:256
	v_cmp_eq_u32_e64 s1, 1, v11
	s_waitcnt lgkmcnt(0)
	v_fma_f64 v[1:2], v[5:6], v[1:2], 0
	ds_load_2addr_b64 v[5:8], v13 offset1:33
	s_waitcnt lgkmcnt(0)
	v_fma_f64 v[5:6], v[5:6], v[3:4], v[1:2]
	ds_load_b128 v[1:4], v12 offset:272
	ds_load_b64 v[9:10], v9
	s_waitcnt lgkmcnt(0)
	s_barrier
	buffer_gl0_inv
	v_fma_f64 v[1:2], v[7:8], v[1:2], v[5:6]
	s_delay_alu instid0(VALU_DEP_1)
	v_fma_f64 v[1:2], v[9:10], v[3:4], v[1:2]
	ds_store_b64 v28, v[1:2]
	s_waitcnt lgkmcnt(0)
	s_barrier
	buffer_gl0_inv
	s_and_saveexec_b32 s4, s1
	s_cbranch_execz .LBB174_53
; %bb.52:
	v_lshlrev_b32_e32 v13, 3, v27
	ds_load_2addr_b64 v[1:4], v13 offset1:1
	ds_load_2addr_b64 v[5:8], v13 offset0:2 offset1:3
	s_waitcnt lgkmcnt(1)
	v_add_f64 v[1:2], v[1:2], v[3:4]
	s_waitcnt lgkmcnt(0)
	s_delay_alu instid0(VALU_DEP_1) | instskip(NEXT) | instid1(VALU_DEP_1)
	v_add_f64 v[1:2], v[1:2], v[5:6]
	v_add_f64 v[9:10], v[1:2], v[7:8]
	ds_load_2addr_b64 v[1:4], v13 offset0:4 offset1:5
	ds_load_2addr_b64 v[5:8], v13 offset0:6 offset1:7
	s_waitcnt lgkmcnt(1)
	v_add_f64 v[1:2], v[9:10], v[1:2]
	s_delay_alu instid0(VALU_DEP_1) | instskip(SKIP_1) | instid1(VALU_DEP_1)
	v_add_f64 v[1:2], v[1:2], v[3:4]
	s_waitcnt lgkmcnt(0)
	v_add_f64 v[1:2], v[1:2], v[5:6]
	s_delay_alu instid0(VALU_DEP_1)
	v_add_f64 v[17:18], v[1:2], v[7:8]
.LBB174_53:
	s_or_b32 exec_lo, exec_lo, s4
	v_cmp_ne_u32_e32 vcc_lo, 1, v14
	v_sub_co_u32 v23, s4, v15, s22
	s_delay_alu instid0(VALU_DEP_1)
	v_subrev_co_ci_u32_e64 v24, s4, s23, v24, s4
	s_barrier
	buffer_gl0_inv
	s_cbranch_vccnz .LBB174_58
; %bb.54:
	flat_load_b64 v[1:2], v[23:24]
	s_lshl_b32 s4, s8, 3
	v_mad_u32_u24 v9, v11, 33, v0
	s_ashr_i32 s5, s4, 31
	s_ashr_i32 s9, s8, 31
	s_lshl_b64 s[4:5], s[4:5], 3
	v_add_nc_u32_e32 v10, 8, v11
	v_add_co_u32 v3, vcc_lo, v23, s4
	v_lshlrev_b32_e32 v7, 3, v9
	v_add_co_ci_u32_e32 v4, vcc_lo, s5, v24, vcc_lo
	s_lshl_b64 s[4:5], s[8:9], 6
	v_add_nc_u32_e32 v6, 0x108, v9
	v_add_nc_u32_e32 v13, 16, v11
	;; [unrolled: 1-line block ×3, first 2 shown]
	s_waitcnt vmcnt(0) lgkmcnt(0)
	ds_store_b64 v7, v[1:2]
	flat_load_b64 v[1:2], v[3:4]
	v_add_co_u32 v3, vcc_lo, v3, s4
	v_add_co_ci_u32_e32 v4, vcc_lo, s5, v4, vcc_lo
	s_waitcnt vmcnt(0) lgkmcnt(0)
	ds_store_b64 v7, v[1:2] offset:2112
	flat_load_b64 v[1:2], v[3:4]
	v_add_co_u32 v3, vcc_lo, v3, s4
	v_add_co_ci_u32_e32 v4, vcc_lo, s5, v4, vcc_lo
	s_waitcnt vmcnt(0) lgkmcnt(0)
	ds_store_b64 v7, v[1:2] offset:4224
	flat_load_b64 v[3:4], v[3:4]
	v_add_nc_u32_e32 v1, 0x210, v9
	v_add_nc_u32_e32 v2, 0x318, v9
	s_waitcnt vmcnt(0) lgkmcnt(0)
	ds_store_b64 v7, v[3:4] offset:6336
	s_cbranch_execz .LBB174_59
	s_branch .LBB174_68
.LBB174_55:
	ds_load_b64 v[1:2], v10
	s_waitcnt lgkmcnt(0)
	ds_store_b64 v29, v[1:2]
	s_or_b32 exec_lo, exec_lo, s7
	s_and_saveexec_b32 s1, s4
	s_cbranch_execz .LBB174_48
.LBB174_56:
	ds_load_b64 v[1:2], v13
	s_waitcnt lgkmcnt(0)
	ds_store_b64 v29, v[1:2] offset:8
	s_or_b32 exec_lo, exec_lo, s1
	s_and_saveexec_b32 s1, s5
	s_cbranch_execz .LBB174_49
.LBB174_57:
	ds_load_b64 v[1:2], v13 offset:264
	s_waitcnt lgkmcnt(0)
	ds_store_b64 v29, v[1:2] offset:16
	s_or_b32 exec_lo, exec_lo, s1
	s_and_saveexec_b32 s1, s6
	s_cbranch_execnz .LBB174_50
	s_branch .LBB174_51
.LBB174_58:
                                        ; implicit-def: $vgpr9
                                        ; implicit-def: $vgpr10
                                        ; implicit-def: $vgpr6
                                        ; implicit-def: $vgpr13
                                        ; implicit-def: $vgpr1
                                        ; implicit-def: $vgpr5
                                        ; implicit-def: $vgpr2
.LBB174_59:
	v_or_b32_e32 v1, 32, v0
	s_ashr_i32 s11, s10, 31
	s_mov_b32 s5, exec_lo
	s_lshl_b64 s[6:7], s[10:11], 3
	s_delay_alu instid0(VALU_DEP_1) | instskip(NEXT) | instid1(VALU_DEP_1)
	v_dual_mov_b32 v5, 0 :: v_dual_lshlrev_b32 v2, 3, v1
	v_sub_co_u32 v2, vcc_lo, v23, v2
	v_subrev_co_ci_u32_e32 v3, vcc_lo, 0, v24, vcc_lo
	s_delay_alu instid0(VALU_DEP_2) | instskip(NEXT) | instid1(VALU_DEP_2)
	v_add_co_u32 v2, vcc_lo, v2, s6
	v_add_co_ci_u32_e32 v3, vcc_lo, s7, v3, vcc_lo
	s_delay_alu instid0(VALU_DEP_2) | instskip(NEXT) | instid1(VALU_DEP_2)
	v_add_co_u32 v4, vcc_lo, v2, -8
	v_add_co_ci_u32_e32 v2, vcc_lo, -1, v3, vcc_lo
	v_cmp_gt_i32_e32 vcc_lo, s10, v1
	s_delay_alu instid0(VALU_DEP_3) | instskip(NEXT) | instid1(VALU_DEP_3)
	v_dual_mov_b32 v6, 0 :: v_dual_cndmask_b32 v1, v4, v23
	v_dual_cndmask_b32 v2, v2, v24 :: v_dual_mov_b32 v3, v5
	s_delay_alu instid0(VALU_DEP_2)
	v_mov_b32_e32 v4, v6
	v_cmpx_gt_i32_e64 s10, v11
	s_cbranch_execz .LBB174_61
; %bb.60:
	flat_load_b64 v[3:4], v[1:2]
.LBB174_61:
	s_or_b32 exec_lo, exec_lo, s5
	v_mad_u32_u24 v9, v11, 33, v0
	v_add_nc_u32_e32 v10, 8, v11
	s_mov_b32 s5, exec_lo
	s_delay_alu instid0(VALU_DEP_2)
	v_lshlrev_b32_e32 v14, 3, v9
	s_waitcnt vmcnt(0) lgkmcnt(0)
	ds_store_b64 v14, v[3:4]
	v_cmpx_gt_i32_e64 s10, v10
	s_cbranch_execz .LBB174_63
; %bb.62:
	s_lshl_b32 s22, s8, 3
	s_delay_alu instid0(SALU_CYCLE_1) | instskip(NEXT) | instid1(SALU_CYCLE_1)
	s_ashr_i32 s23, s22, 31
	s_lshl_b64 s[22:23], s[22:23], 3
	s_delay_alu instid0(SALU_CYCLE_1) | instskip(NEXT) | instid1(VALU_DEP_1)
	v_add_co_u32 v3, s4, v1, s22
	v_add_co_ci_u32_e64 v4, s4, s23, v2, s4
	flat_load_b64 v[5:6], v[3:4]
.LBB174_63:
	s_or_b32 exec_lo, exec_lo, s5
	v_mov_b32_e32 v3, 0
	v_dual_mov_b32 v4, 0 :: v_dual_add_nc_u32 v13, 16, v11
	s_mov_b32 s5, exec_lo
	s_waitcnt vmcnt(0) lgkmcnt(0)
	ds_store_b64 v14, v[5:6] offset:2112
	v_dual_mov_b32 v8, v4 :: v_dual_mov_b32 v7, v3
	v_cmpx_gt_i32_e64 s10, v13
	s_cbranch_execz .LBB174_65
; %bb.64:
	s_lshl_b32 s22, s8, 4
	s_delay_alu instid0(SALU_CYCLE_1) | instskip(NEXT) | instid1(SALU_CYCLE_1)
	s_ashr_i32 s23, s22, 31
	s_lshl_b64 s[22:23], s[22:23], 3
	s_delay_alu instid0(SALU_CYCLE_1) | instskip(NEXT) | instid1(VALU_DEP_1)
	v_add_co_u32 v5, s4, v1, s22
	v_add_co_ci_u32_e64 v6, s4, s23, v2, s4
	flat_load_b64 v[7:8], v[5:6]
.LBB174_65:
	s_or_b32 exec_lo, exec_lo, s5
	v_add_nc_u32_e32 v5, 24, v11
	s_mov_b32 s5, exec_lo
	s_waitcnt vmcnt(0) lgkmcnt(0)
	ds_store_b64 v14, v[7:8] offset:4224
	v_cmpx_gt_i32_e64 s10, v5
	s_cbranch_execz .LBB174_67
; %bb.66:
	s_mul_i32 s22, s8, 24
	s_delay_alu instid0(SALU_CYCLE_1) | instskip(NEXT) | instid1(SALU_CYCLE_1)
	s_ashr_i32 s23, s22, 31
	s_lshl_b64 s[22:23], s[22:23], 3
	s_delay_alu instid0(SALU_CYCLE_1) | instskip(NEXT) | instid1(VALU_DEP_1)
	v_add_co_u32 v3, s4, v1, s22
	v_add_co_ci_u32_e64 v4, s4, s23, v2, s4
	flat_load_b64 v[3:4], v[3:4]
.LBB174_67:
	s_or_b32 exec_lo, exec_lo, s5
	v_lshlrev_b32_e32 v0, 3, v0
	s_waitcnt vmcnt(0) lgkmcnt(0)
	ds_store_b64 v14, v[3:4] offset:6336
	v_add_co_u32 v0, s4, v1, v0
	s_delay_alu instid0(VALU_DEP_1) | instskip(SKIP_1) | instid1(VALU_DEP_3)
	v_add_co_ci_u32_e64 v1, s4, 0, v2, s4
	v_add_nc_u32_e32 v2, 0x318, v9
	v_sub_co_u32 v0, s4, v0, s6
	s_delay_alu instid0(VALU_DEP_1) | instskip(NEXT) | instid1(VALU_DEP_2)
	v_subrev_co_ci_u32_e64 v1, s4, s7, v1, s4
	v_add_co_u32 v0, s4, 0x108, v0
	s_delay_alu instid0(VALU_DEP_1) | instskip(NEXT) | instid1(VALU_DEP_2)
	v_add_co_ci_u32_e64 v7, s4, 0, v1, s4
	v_dual_cndmask_b32 v23, v0, v23 :: v_dual_add_nc_u32 v6, 0x108, v9
	s_delay_alu instid0(VALU_DEP_2)
	v_dual_cndmask_b32 v24, v7, v24 :: v_dual_add_nc_u32 v1, 0x210, v9
.LBB174_68:
	v_lshlrev_b32_e32 v0, 3, v9
	v_lshlrev_b32_e32 v7, 3, v11
	s_waitcnt lgkmcnt(0)
	s_barrier
	buffer_gl0_inv
	ds_load_b64 v[3:4], v0
	ds_load_b64 v[7:8], v7 offset:9088
	v_lshlrev_b32_e32 v0, 3, v6
	v_lshlrev_b32_e32 v6, 3, v10
	;; [unrolled: 1-line block ×4, first 2 shown]
	ds_load_b64 v[9:10], v0
	ds_load_b64 v[14:15], v6 offset:9088
	v_lshlrev_b32_e32 v0, 3, v1
	v_lshlrev_b32_e32 v6, 3, v13
	s_waitcnt lgkmcnt(2)
	v_fma_f64 v[3:4], v[3:4], v[7:8], 0
	ds_load_b64 v[0:1], v0
	ds_load_b64 v[6:7], v6 offset:9088
	s_waitcnt lgkmcnt(2)
	v_fma_f64 v[3:4], v[9:10], v[14:15], v[3:4]
	ds_load_b64 v[8:9], v2
	ds_load_b64 v[10:11], v5 offset:9088
	s_waitcnt lgkmcnt(2)
	v_fma_f64 v[0:1], v[0:1], v[6:7], v[3:4]
	s_waitcnt lgkmcnt(0)
	s_delay_alu instid0(VALU_DEP_1)
	v_fma_f64 v[30:31], v[8:9], v[10:11], v[0:1]
	ds_load_b128 v[8:11], v12 offset:256
	ds_load_b128 v[0:3], v12 offset:272
	ds_load_2addr_b64 v[12:15], v29 offset1:1
	ds_load_2addr_b64 v[4:7], v29 offset0:2 offset1:3
	s_waitcnt lgkmcnt(0)
	s_barrier
	buffer_gl0_inv
	ds_store_b64 v28, v[30:31]
	s_waitcnt lgkmcnt(0)
	s_barrier
	buffer_gl0_inv
	s_and_saveexec_b32 s4, s1
	s_cbranch_execz .LBB174_70
; %bb.69:
	v_lshlrev_b32_e32 v37, 3, v27
	ds_load_2addr_b64 v[29:32], v37 offset1:1
	ds_load_2addr_b64 v[33:36], v37 offset0:2 offset1:3
	s_waitcnt lgkmcnt(1)
	v_add_f64 v[17:18], v[17:18], v[29:30]
	s_delay_alu instid0(VALU_DEP_1) | instskip(SKIP_1) | instid1(VALU_DEP_1)
	v_add_f64 v[17:18], v[17:18], v[31:32]
	s_waitcnt lgkmcnt(0)
	v_add_f64 v[17:18], v[17:18], v[33:34]
	s_delay_alu instid0(VALU_DEP_1) | instskip(SKIP_4) | instid1(VALU_DEP_1)
	v_add_f64 v[17:18], v[17:18], v[35:36]
	ds_load_2addr_b64 v[29:32], v37 offset0:4 offset1:5
	ds_load_2addr_b64 v[33:36], v37 offset0:6 offset1:7
	s_waitcnt lgkmcnt(1)
	v_add_f64 v[17:18], v[17:18], v[29:30]
	v_add_f64 v[17:18], v[17:18], v[31:32]
	s_waitcnt lgkmcnt(0)
	s_delay_alu instid0(VALU_DEP_1) | instskip(NEXT) | instid1(VALU_DEP_1)
	v_add_f64 v[17:18], v[17:18], v[33:34]
	v_add_f64 v[17:18], v[17:18], v[35:36]
.LBB174_70:
	s_or_b32 exec_lo, exec_lo, s4
	v_fma_f64 v[8:9], v[12:13], v[8:9], 0
	s_barrier
	buffer_gl0_inv
	v_fma_f64 v[8:9], v[14:15], v[10:11], v[8:9]
	s_delay_alu instid0(VALU_DEP_1) | instskip(NEXT) | instid1(VALU_DEP_1)
	v_fma_f64 v[0:1], v[4:5], v[0:1], v[8:9]
	v_fma_f64 v[0:1], v[6:7], v[2:3], v[0:1]
	ds_store_b64 v28, v[0:1]
	s_waitcnt lgkmcnt(0)
	s_barrier
	buffer_gl0_inv
	s_and_saveexec_b32 s1, s0
	s_cbranch_execz .LBB174_72
; %bb.71:
	v_lshlrev_b32_e32 v10, 3, v27
	ds_load_2addr_b64 v[0:3], v10 offset1:1
	ds_load_2addr_b64 v[4:7], v10 offset0:2 offset1:3
	s_waitcnt lgkmcnt(1)
	v_add_f64 v[0:1], v[17:18], v[0:1]
	s_delay_alu instid0(VALU_DEP_1) | instskip(SKIP_1) | instid1(VALU_DEP_1)
	v_add_f64 v[0:1], v[0:1], v[2:3]
	s_waitcnt lgkmcnt(0)
	v_add_f64 v[0:1], v[0:1], v[4:5]
	s_delay_alu instid0(VALU_DEP_1) | instskip(SKIP_4) | instid1(VALU_DEP_1)
	v_add_f64 v[8:9], v[0:1], v[6:7]
	ds_load_2addr_b64 v[0:3], v10 offset0:4 offset1:5
	ds_load_2addr_b64 v[4:7], v10 offset0:6 offset1:7
	s_waitcnt lgkmcnt(1)
	v_add_f64 v[0:1], v[8:9], v[0:1]
	v_add_f64 v[0:1], v[0:1], v[2:3]
	s_waitcnt lgkmcnt(0)
	s_delay_alu instid0(VALU_DEP_1) | instskip(NEXT) | instid1(VALU_DEP_1)
	v_add_f64 v[0:1], v[0:1], v[4:5]
	v_add_f64 v[17:18], v[0:1], v[6:7]
.LBB174_72:
	s_or_b32 exec_lo, exec_lo, s1
	s_mul_hi_u32 s0, s15, s12
	s_mul_i32 s27, s27, s12
	s_mul_i32 s1, s15, s12
	s_add_i32 s0, s0, s27
	s_mul_hi_u32 s5, s1, s26
	s_mul_i32 s4, s0, s26
	s_mul_i32 s0, s1, s26
	s_add_i32 s1, s5, s4
	s_mul_i32 s4, s14, s15
	s_lshl_b64 s[0:1], s[0:1], 3
	v_cmp_le_i32_e32 vcc_lo, s10, v25
	s_add_u32 s6, s18, s0
	s_addc_u32 s7, s19, s1
	s_ashr_i32 s5, s4, 31
	v_lshlrev_b32_e32 v72, 3, v25
	s_lshl_b64 s[0:1], s[4:5], 3
	s_delay_alu instid0(SALU_CYCLE_1)
	s_add_u32 s15, s6, s0
	s_addc_u32 s18, s7, s1
	s_and_b32 vcc_lo, s17, vcc_lo
	s_cmp_lt_i32 s14, 1
	s_barrier
	buffer_gl0_inv
	s_cbranch_scc1 .LBB174_79
; %bb.73:
	v_mul_lo_u32 v0, v71, s8
	s_ashr_i32 s11, s10, 31
	v_dual_mov_b32 v1, 0 :: v_dual_and_b32 v4, 15, v25
	s_lshl_b64 s[6:7], s[10:11], 3
	v_lshrrev_b32_e32 v5, 4, v26
	v_and_b32_e32 v7, 48, v25
	s_mul_i32 s4, s16, s13
	s_delay_alu instid0(VALU_DEP_4) | instskip(SKIP_1) | instid1(VALU_DEP_1)
	v_lshl_add_u32 v2, v0, 2, v25
	v_sub_co_u32 v0, s0, v23, s20
	v_subrev_co_ci_u32_e64 v6, s0, s21, v24, s0
	s_delay_alu instid0(VALU_DEP_3) | instskip(NEXT) | instid1(VALU_DEP_3)
	v_ashrrev_i32_e32 v3, 31, v2
	v_sub_co_u32 v0, s0, v0, v21
	s_delay_alu instid0(VALU_DEP_1) | instskip(NEXT) | instid1(VALU_DEP_3)
	v_sub_co_ci_u32_e64 v6, s0, v6, v22, s0
	v_lshlrev_b64 v[2:3], 3, v[2:3]
	s_ashr_i32 s5, s4, 31
	v_lshlrev_b32_e32 v8, 3, v7
	s_lshl_b64 s[4:5], s[4:5], 3
	v_lshl_add_u32 v80, v71, 5, 0x2180
	v_mad_u32_u24 v81, 0x860, v71, v72
	v_add_co_u32 v0, s0, v0, v2
	s_delay_alu instid0(VALU_DEP_1) | instskip(SKIP_1) | instid1(VALU_DEP_3)
	v_add_co_ci_u32_e64 v2, s0, v6, v3, s0
	v_mad_u32_u24 v77, 0x218, v4, v8
	v_add_co_u32 v0, s0, 0xffffff00, v0
	s_delay_alu instid0(VALU_DEP_1) | instskip(SKIP_1) | instid1(VALU_DEP_2)
	v_add_co_ci_u32_e64 v2, s0, -1, v2, s0
	s_ashr_i32 s9, s8, 31
	v_sub_co_u32 v3, s0, v0, v72
	s_delay_alu instid0(VALU_DEP_1) | instskip(SKIP_1) | instid1(VALU_DEP_2)
	v_subrev_co_ci_u32_e64 v6, s0, 0, v2, s0
	s_lshl_b32 s19, s13, 6
	v_add_co_u32 v3, s0, v3, s6
	s_delay_alu instid0(VALU_DEP_1) | instskip(SKIP_1) | instid1(VALU_DEP_2)
	v_add_co_ci_u32_e64 v6, s0, s7, v6, s0
	s_lshl_b64 s[6:7], s[8:9], 4
	v_add_co_u32 v9, s0, v3, -8
	s_delay_alu instid0(VALU_DEP_1) | instskip(SKIP_3) | instid1(VALU_DEP_4)
	v_add_co_ci_u32_e64 v3, s0, -1, v6, s0
	v_add_nc_u32_e32 v73, 0x2180, v72
	v_lshlrev_b32_e32 v6, 5, v5
	v_sub_co_u32 v74, s0, v19, s4
	v_dual_cndmask_b32 v3, v2, v3 :: v_dual_add_nc_u32 v76, 0x2380, v72
	v_cndmask_b32_e32 v2, v0, v9, vcc_lo
	v_or_b32_e32 v0, 0x78, v72
	v_subrev_co_ci_u32_e64 v75, s0, s5, v20, s0
	v_cmp_gt_u32_e64 s0, 64, v26
	v_mad_u32_u24 v79, 0x218, v4, v6
	s_delay_alu instid0(VALU_DEP_4)
	v_mad_u32_u24 v78, 0x218, v4, v0
	v_lshlrev_b32_e32 v0, 3, v5
	s_lshl_b64 s[4:5], s[8:9], 3
	s_lshl_b64 s[10:11], s[8:9], 9
	s_mul_hi_i32 s20, s8, 24
	s_mul_i32 s21, s8, 24
	v_mad_u32_u24 v82, 0x218, v4, v0
	v_or_b32_e32 v0, v7, v4
	s_lshl_b64 s[12:13], s[8:9], 7
	s_mul_hi_i32 s22, s8, 0x90
	s_mul_i32 s23, s8, 0x90
	s_mul_hi_i32 s24, s8, 0x98
	s_mul_i32 s25, s8, 0x98
	s_lshl_b64 s[16:17], s[8:9], 8
	s_mul_hi_i32 s26, s8, 0x110
	s_mul_i32 s27, s8, 0x110
	s_mul_hi_i32 s28, s8, 0x118
	s_mul_i32 s29, s8, 0x118
	;; [unrolled: 2-line block ×8, first 2 shown]
	s_mov_b32 s8, 0
	s_branch .LBB174_75
.LBB174_74:                             ;   in Loop: Header=BB174_75 Depth=1
	s_or_b32 exec_lo, exec_lo, s9
	v_fma_f64 v[4:5], v[4:5], v[12:13], v[17:18]
	v_add_co_u32 v2, s1, v2, s10
	s_delay_alu instid0(VALU_DEP_1)
	v_add_co_ci_u32_e64 v3, s1, s11, v3, s1
	v_add_nc_u32_e32 v0, 64, v0
	s_add_i32 s14, s14, -1
	s_add_i32 s8, s8, s19
	s_cmp_eq_u32 s14, 0
	s_waitcnt_vscnt null, 0x0
	s_barrier
	buffer_gl0_inv
	v_fma_f64 v[4:5], v[6:7], v[14:15], v[4:5]
	s_delay_alu instid0(VALU_DEP_1) | instskip(NEXT) | instid1(VALU_DEP_1)
	v_fma_f64 v[4:5], v[8:9], v[19:20], v[4:5]
	v_fma_f64 v[4:5], v[10:11], v[21:22], v[4:5]
	s_delay_alu instid0(VALU_DEP_1) | instskip(NEXT) | instid1(VALU_DEP_1)
	v_fma_f64 v[4:5], v[23:24], v[31:32], v[4:5]
	;; [unrolled: 3-line block ×7, first 2 shown]
	v_fma_f64 v[17:18], v[61:62], v[69:70], v[4:5]
	s_cbranch_scc1 .LBB174_79
.LBB174_75:                             ; =>This Inner Loop Header: Depth=1
	s_and_saveexec_b32 s43, s3
	s_cbranch_execz .LBB174_77
; %bb.76:                               ;   in Loop: Header=BB174_75 Depth=1
	s_ashr_i32 s9, s8, 31
	s_delay_alu instid0(SALU_CYCLE_1) | instskip(NEXT) | instid1(SALU_CYCLE_1)
	s_lshl_b64 s[44:45], s[8:9], 3
	v_add_co_u32 v4, s1, v74, s44
	s_delay_alu instid0(VALU_DEP_1)
	v_add_co_ci_u32_e64 v5, s1, s45, v75, s1
	flat_load_b64 v[4:5], v[4:5]
	s_waitcnt vmcnt(0) lgkmcnt(0)
	ds_store_b64 v73, v[4:5]
.LBB174_77:                             ;   in Loop: Header=BB174_75 Depth=1
	s_or_b32 exec_lo, exec_lo, s43
	v_add_co_u32 v6, s1, v2, s4
	s_delay_alu instid0(VALU_DEP_1) | instskip(SKIP_1) | instid1(VALU_DEP_1)
	v_add_co_ci_u32_e64 v7, s1, s5, v3, s1
	v_add_co_u32 v8, s1, v2, s6
	v_add_co_ci_u32_e64 v9, s1, s7, v3, s1
	v_add_co_u32 v10, s1, v2, s21
	s_waitcnt lgkmcnt(0)
	s_barrier
	buffer_gl0_inv
	flat_load_b64 v[4:5], v[2:3]
	v_add_co_ci_u32_e64 v11, s1, s20, v3, s1
	s_clause 0x2
	flat_load_b64 v[6:7], v[6:7]
	flat_load_b64 v[8:9], v[8:9]
	;; [unrolled: 1-line block ×3, first 2 shown]
	ds_load_b64 v[14:15], v76
	ds_load_b64 v[12:13], v80
	v_add_co_u32 v27, s1, v2, s12
	s_delay_alu instid0(VALU_DEP_1) | instskip(SKIP_1) | instid1(VALU_DEP_1)
	v_add_co_ci_u32_e64 v28, s1, s13, v3, s1
	v_add_co_u32 v29, s1, v2, s42
	v_add_co_ci_u32_e64 v30, s1, s41, v3, s1
	v_add_co_u32 v31, s1, v2, s23
	s_delay_alu instid0(VALU_DEP_1) | instskip(SKIP_1) | instid1(VALU_DEP_1)
	v_add_co_ci_u32_e64 v32, s1, s22, v3, s1
	v_add_co_u32 v33, s1, v2, s25
	v_add_co_ci_u32_e64 v34, s1, s24, v3, s1
	v_add_co_u32 v43, s1, v2, s16
	s_delay_alu instid0(VALU_DEP_1) | instskip(SKIP_1) | instid1(VALU_DEP_1)
	v_add_co_ci_u32_e64 v44, s1, s17, v3, s1
	v_add_co_u32 v45, s1, v2, s40
	v_add_co_ci_u32_e64 v46, s1, s39, v3, s1
	v_add_co_u32 v47, s1, v2, s27
	s_delay_alu instid0(VALU_DEP_1) | instskip(SKIP_1) | instid1(VALU_DEP_1)
	v_add_co_ci_u32_e64 v48, s1, s26, v3, s1
	v_add_co_u32 v49, s1, v2, s29
	v_add_co_ci_u32_e64 v50, s1, s28, v3, s1
	v_add_co_u32 v59, s1, v2, s31
	s_delay_alu instid0(VALU_DEP_1) | instskip(SKIP_1) | instid1(VALU_DEP_1)
	v_add_co_ci_u32_e64 v60, s1, s30, v3, s1
	v_add_co_u32 v61, s1, v2, s38
	v_add_co_ci_u32_e64 v62, s1, s37, v3, s1
	v_add_co_u32 v63, s1, v2, s34
	s_delay_alu instid0(VALU_DEP_1) | instskip(SKIP_1) | instid1(VALU_DEP_1)
	v_add_co_ci_u32_e64 v64, s1, s33, v3, s1
	v_add_co_u32 v65, s1, v2, s36
	v_add_co_ci_u32_e64 v66, s1, s35, v3, s1
	s_waitcnt vmcnt(3) lgkmcnt(1)
	v_mul_f64 v[19:20], v[4:5], v[14:15]
	s_waitcnt vmcnt(2)
	v_mul_f64 v[21:22], v[6:7], v[14:15]
	s_waitcnt vmcnt(1)
	;; [unrolled: 2-line block ×3, first 2 shown]
	v_mul_f64 v[25:26], v[10:11], v[14:15]
	ds_store_b64 v81, v[19:20]
	ds_load_b64 v[14:15], v80 offset:8
	ds_store_b64 v81, v[21:22] offset:536
	ds_load_b64 v[19:20], v80 offset:16
	ds_store_b64 v81, v[23:24] offset:1072
	ds_load_b64 v[21:22], v80 offset:24
	ds_store_b64 v81, v[25:26] offset:1608
	s_waitcnt lgkmcnt(0)
	s_barrier
	buffer_gl0_inv
	ds_load_2addr_b64 v[83:86], v79 offset1:1
	ds_load_2addr_b64 v[87:90], v79 offset0:2 offset1:3
	s_waitcnt lgkmcnt(0)
	s_barrier
	buffer_gl0_inv
	s_clause 0x3
	flat_load_b64 v[23:24], v[27:28]
	flat_load_b64 v[25:26], v[29:30]
	flat_load_b64 v[27:28], v[31:32]
	flat_load_b64 v[29:30], v[33:34]
	ds_load_b64 v[33:34], v76
	ds_load_b64 v[31:32], v80 offset:128
	v_add_f64 v[83:84], v[83:84], 0
	s_delay_alu instid0(VALU_DEP_1) | instskip(NEXT) | instid1(VALU_DEP_1)
	v_add_f64 v[83:84], v[83:84], v[85:86]
	v_add_f64 v[83:84], v[83:84], v[87:88]
	s_delay_alu instid0(VALU_DEP_1)
	v_add_f64 v[83:84], v[83:84], v[89:90]
	s_waitcnt vmcnt(2) lgkmcnt(1)
	v_mul_f64 v[37:38], v[25:26], v[33:34]
	v_mul_f64 v[35:36], v[23:24], v[33:34]
	s_waitcnt vmcnt(1)
	v_mul_f64 v[39:40], v[27:28], v[33:34]
	s_waitcnt vmcnt(0)
	v_mul_f64 v[41:42], v[29:30], v[33:34]
	ds_store_b64 v81, v[35:36]
	ds_load_b64 v[33:34], v80 offset:136
	ds_store_b64 v81, v[37:38] offset:536
	ds_load_b64 v[35:36], v80 offset:144
	ds_store_b64 v81, v[39:40] offset:1072
	ds_load_b64 v[37:38], v80 offset:152
	ds_store_b64 v81, v[41:42] offset:1608
	s_waitcnt lgkmcnt(0)
	s_barrier
	buffer_gl0_inv
	ds_load_2addr_b64 v[91:94], v79 offset1:1
	ds_load_2addr_b64 v[95:98], v79 offset0:2 offset1:3
	s_waitcnt lgkmcnt(0)
	s_barrier
	buffer_gl0_inv
	s_clause 0x3
	flat_load_b64 v[39:40], v[43:44]
	flat_load_b64 v[41:42], v[45:46]
	flat_load_b64 v[43:44], v[47:48]
	flat_load_b64 v[45:46], v[49:50]
	ds_load_b64 v[49:50], v76
	ds_load_b64 v[47:48], v80 offset:256
	v_add_f64 v[91:92], v[91:92], 0
	s_delay_alu instid0(VALU_DEP_1) | instskip(NEXT) | instid1(VALU_DEP_1)
	v_add_f64 v[85:86], v[91:92], v[93:94]
	v_add_f64 v[85:86], v[85:86], v[95:96]
	s_delay_alu instid0(VALU_DEP_1)
	v_add_f64 v[85:86], v[85:86], v[97:98]
	s_waitcnt vmcnt(2) lgkmcnt(1)
	v_mul_f64 v[53:54], v[41:42], v[49:50]
	v_mul_f64 v[51:52], v[39:40], v[49:50]
	s_waitcnt vmcnt(1)
	v_mul_f64 v[55:56], v[43:44], v[49:50]
	s_waitcnt vmcnt(0)
	;; [unrolled: 35-line block ×3, first 2 shown]
	v_mul_f64 v[109:110], v[61:62], v[65:66]
	ds_store_b64 v81, v[67:68]
	ds_load_b64 v[65:66], v80 offset:392
	ds_store_b64 v81, v[69:70] offset:536
	ds_load_b64 v[67:68], v80 offset:400
	ds_store_b64 v81, v[107:108] offset:1072
	;; [unrolled: 2-line block ×3, first 2 shown]
	s_waitcnt lgkmcnt(0)
	s_barrier
	buffer_gl0_inv
	ds_load_2addr_b64 v[107:110], v79 offset1:1
	ds_load_2addr_b64 v[111:114], v79 offset0:2 offset1:3
	s_waitcnt lgkmcnt(0)
	s_barrier
	buffer_gl0_inv
	v_add_f64 v[107:108], v[107:108], 0
	s_delay_alu instid0(VALU_DEP_1) | instskip(NEXT) | instid1(VALU_DEP_1)
	v_add_f64 v[93:94], v[107:108], v[109:110]
	v_add_f64 v[91:92], v[93:94], v[111:112]
	s_delay_alu instid0(VALU_DEP_1)
	v_add_f64 v[89:90], v[91:92], v[113:114]
	ds_store_2addr_b64 v82, v[83:84], v[85:86] offset1:16
	ds_store_2addr_b64 v82, v[87:88], v[89:90] offset0:32 offset1:48
	s_waitcnt lgkmcnt(0)
	s_barrier
	buffer_gl0_inv
	s_and_saveexec_b32 s9, s0
	s_cbranch_execz .LBB174_74
; %bb.78:                               ;   in Loop: Header=BB174_75 Depth=1
	ds_load_2addr_b64 v[83:86], v77 offset1:1
	ds_load_2addr_b64 v[87:90], v77 offset0:2 offset1:3
	s_waitcnt lgkmcnt(1)
	v_add_f64 v[83:84], v[83:84], v[85:86]
	s_waitcnt lgkmcnt(0)
	s_delay_alu instid0(VALU_DEP_1) | instskip(NEXT) | instid1(VALU_DEP_1)
	v_add_f64 v[83:84], v[83:84], v[87:88]
	v_add_f64 v[91:92], v[83:84], v[89:90]
	ds_load_2addr_b64 v[83:86], v77 offset0:4 offset1:5
	ds_load_2addr_b64 v[87:90], v77 offset0:6 offset1:7
	s_waitcnt lgkmcnt(1)
	v_add_f64 v[83:84], v[91:92], v[83:84]
	s_delay_alu instid0(VALU_DEP_1) | instskip(SKIP_1) | instid1(VALU_DEP_1)
	v_add_f64 v[83:84], v[83:84], v[85:86]
	s_waitcnt lgkmcnt(0)
	v_add_f64 v[83:84], v[83:84], v[87:88]
	s_delay_alu instid0(VALU_DEP_1) | instskip(SKIP_4) | instid1(VALU_DEP_1)
	v_add_f64 v[91:92], v[83:84], v[89:90]
	ds_load_2addr_b64 v[83:86], v77 offset0:8 offset1:9
	ds_load_2addr_b64 v[87:90], v77 offset0:10 offset1:11
	s_waitcnt lgkmcnt(1)
	v_add_f64 v[83:84], v[91:92], v[83:84]
	v_add_f64 v[83:84], v[83:84], v[85:86]
	s_waitcnt lgkmcnt(0)
	s_delay_alu instid0(VALU_DEP_1) | instskip(NEXT) | instid1(VALU_DEP_1)
	v_add_f64 v[83:84], v[83:84], v[87:88]
	v_add_f64 v[87:88], v[83:84], v[89:90]
	ds_load_2addr_b64 v[83:86], v77 offset0:12 offset1:13
	ds_load_b64 v[89:90], v77 offset:112
	s_waitcnt lgkmcnt(1)
	v_add_f64 v[83:84], v[87:88], v[83:84]
	s_delay_alu instid0(VALU_DEP_1) | instskip(SKIP_4) | instid1(VALU_DEP_1)
	v_add_f64 v[83:84], v[83:84], v[85:86]
	ds_load_b64 v[85:86], v78
	s_waitcnt lgkmcnt(1)
	v_add_f64 v[83:84], v[83:84], v[89:90]
	s_waitcnt lgkmcnt(0)
	v_add_f64 v[83:84], v[83:84], v[85:86]
	v_lshlrev_b64 v[85:86], 3, v[0:1]
	s_delay_alu instid0(VALU_DEP_1) | instskip(NEXT) | instid1(VALU_DEP_1)
	v_add_co_u32 v85, s1, s15, v85
	v_add_co_ci_u32_e64 v86, s1, s18, v86, s1
	global_store_b64 v[85:86], v[83:84], off
	s_branch .LBB174_74
.LBB174_79:
	v_mad_u32_u24 v0, 0x218, v71, v72
	s_or_b32 s0, s2, vcc_lo
	s_delay_alu instid0(SALU_CYCLE_1)
	s_xor_b32 s0, s0, -1
	ds_store_b64 v0, v[17:18]
	s_waitcnt lgkmcnt(0)
	s_barrier
	buffer_gl0_inv
	s_and_saveexec_b32 s1, s0
	s_cbranch_execz .LBB174_6
; %bb.80:
	ds_load_2addr_b64 v[0:3], v72 offset1:67
	v_ashrrev_i32_e32 v17, 31, v16
	s_waitcnt lgkmcnt(0)
	v_add_f64 v[4:5], v[0:1], v[2:3]
	ds_load_2addr_b64 v[0:3], v72 offset0:134 offset1:201
	s_waitcnt lgkmcnt(0)
	v_add_f64 v[0:1], v[4:5], v[0:1]
	s_delay_alu instid0(VALU_DEP_1) | instskip(SKIP_1) | instid1(VALU_DEP_1)
	v_add_f64 v[0:1], v[0:1], v[2:3]
	v_lshlrev_b64 v[2:3], 3, v[16:17]
	v_add_co_u32 v2, vcc_lo, s15, v2
	s_delay_alu instid0(VALU_DEP_2)
	v_add_co_ci_u32_e32 v3, vcc_lo, s18, v3, vcc_lo
	global_store_b64 v[2:3], v[0:1], off
	s_nop 0
	s_sendmsg sendmsg(MSG_DEALLOC_VGPRS)
	s_endpgm
	.section	.rodata,"a",@progbits
	.p2align	6, 0x0
	.amdhsa_kernel _ZL26rocblas_hemvn_kernel_lowerILb0ELi64ELi4ELi33ELi32ELi16EiPKdPKS1_PdEviT6_lT7_lT5_lS6_lS7_lS5_lT8_i
		.amdhsa_group_segment_fixed_size 9600
		.amdhsa_private_segment_fixed_size 0
		.amdhsa_kernarg_size 376
		.amdhsa_user_sgpr_count 14
		.amdhsa_user_sgpr_dispatch_ptr 0
		.amdhsa_user_sgpr_queue_ptr 0
		.amdhsa_user_sgpr_kernarg_segment_ptr 1
		.amdhsa_user_sgpr_dispatch_id 0
		.amdhsa_user_sgpr_private_segment_size 0
		.amdhsa_wavefront_size32 1
		.amdhsa_uses_dynamic_stack 0
		.amdhsa_enable_private_segment 0
		.amdhsa_system_sgpr_workgroup_id_x 1
		.amdhsa_system_sgpr_workgroup_id_y 0
		.amdhsa_system_sgpr_workgroup_id_z 1
		.amdhsa_system_sgpr_workgroup_info 0
		.amdhsa_system_vgpr_workitem_id 1
		.amdhsa_next_free_vgpr 115
		.amdhsa_next_free_sgpr 46
		.amdhsa_reserve_vcc 1
		.amdhsa_float_round_mode_32 0
		.amdhsa_float_round_mode_16_64 0
		.amdhsa_float_denorm_mode_32 3
		.amdhsa_float_denorm_mode_16_64 3
		.amdhsa_dx10_clamp 1
		.amdhsa_ieee_mode 1
		.amdhsa_fp16_overflow 0
		.amdhsa_workgroup_processor_mode 1
		.amdhsa_memory_ordered 1
		.amdhsa_forward_progress 0
		.amdhsa_shared_vgpr_count 0
		.amdhsa_exception_fp_ieee_invalid_op 0
		.amdhsa_exception_fp_denorm_src 0
		.amdhsa_exception_fp_ieee_div_zero 0
		.amdhsa_exception_fp_ieee_overflow 0
		.amdhsa_exception_fp_ieee_underflow 0
		.amdhsa_exception_fp_ieee_inexact 0
		.amdhsa_exception_int_div_zero 0
	.end_amdhsa_kernel
	.section	.text._ZL26rocblas_hemvn_kernel_lowerILb0ELi64ELi4ELi33ELi32ELi16EiPKdPKS1_PdEviT6_lT7_lT5_lS6_lS7_lS5_lT8_i,"axG",@progbits,_ZL26rocblas_hemvn_kernel_lowerILb0ELi64ELi4ELi33ELi32ELi16EiPKdPKS1_PdEviT6_lT7_lT5_lS6_lS7_lS5_lT8_i,comdat
.Lfunc_end174:
	.size	_ZL26rocblas_hemvn_kernel_lowerILb0ELi64ELi4ELi33ELi32ELi16EiPKdPKS1_PdEviT6_lT7_lT5_lS6_lS7_lS5_lT8_i, .Lfunc_end174-_ZL26rocblas_hemvn_kernel_lowerILb0ELi64ELi4ELi33ELi32ELi16EiPKdPKS1_PdEviT6_lT7_lT5_lS6_lS7_lS5_lT8_i
                                        ; -- End function
	.section	.AMDGPU.csdata,"",@progbits
; Kernel info:
; codeLenInByte = 7192
; NumSgprs: 48
; NumVgprs: 115
; ScratchSize: 0
; MemoryBound: 0
; FloatMode: 240
; IeeeMode: 1
; LDSByteSize: 9600 bytes/workgroup (compile time only)
; SGPRBlocks: 5
; VGPRBlocks: 14
; NumSGPRsForWavesPerEU: 48
; NumVGPRsForWavesPerEU: 115
; Occupancy: 12
; WaveLimiterHint : 1
; COMPUTE_PGM_RSRC2:SCRATCH_EN: 0
; COMPUTE_PGM_RSRC2:USER_SGPR: 14
; COMPUTE_PGM_RSRC2:TRAP_HANDLER: 0
; COMPUTE_PGM_RSRC2:TGID_X_EN: 1
; COMPUTE_PGM_RSRC2:TGID_Y_EN: 0
; COMPUTE_PGM_RSRC2:TGID_Z_EN: 1
; COMPUTE_PGM_RSRC2:TIDIG_COMP_CNT: 1
	.section	.text._ZL36rocblas_hemvn_kernel_lower_block_sumILi64EiPKdPKPddEviT1_lS5_lT2_lT0_lPT3_i,"axG",@progbits,_ZL36rocblas_hemvn_kernel_lower_block_sumILi64EiPKdPKPddEviT1_lS5_lT2_lT0_lPT3_i,comdat
	.globl	_ZL36rocblas_hemvn_kernel_lower_block_sumILi64EiPKdPKPddEviT1_lS5_lT2_lT0_lPT3_i ; -- Begin function _ZL36rocblas_hemvn_kernel_lower_block_sumILi64EiPKdPKPddEviT1_lS5_lT2_lT0_lPT3_i
	.p2align	8
	.type	_ZL36rocblas_hemvn_kernel_lower_block_sumILi64EiPKdPKPddEviT1_lS5_lT2_lT0_lPT3_i,@function
_ZL36rocblas_hemvn_kernel_lower_block_sumILi64EiPKdPKPddEviT1_lS5_lT2_lT0_lPT3_i: ; @_ZL36rocblas_hemvn_kernel_lower_block_sumILi64EiPKdPKPddEviT1_lS5_lT2_lT0_lPT3_i
; %bb.0:
	s_load_b256 s[16:23], s[0:1], 0x8
	s_waitcnt lgkmcnt(0)
	s_mul_i32 s3, s15, s19
	s_mul_hi_u32 s5, s15, s18
	s_mul_i32 s2, s15, s18
	s_add_i32 s3, s5, s3
	s_mul_i32 s5, s15, s23
	s_lshl_b64 s[2:3], s[2:3], 3
	s_mul_hi_u32 s6, s15, s22
	s_add_u32 s2, s16, s2
	s_addc_u32 s3, s17, s3
	s_add_i32 s7, s6, s5
	s_mul_i32 s6, s15, s22
	s_delay_alu instid0(SALU_CYCLE_1) | instskip(NEXT) | instid1(SALU_CYCLE_1)
	s_lshl_b64 s[6:7], s[6:7], 3
	s_add_u32 s8, s20, s6
	s_addc_u32 s9, s21, s7
	s_load_b64 s[6:7], s[2:3], 0x0
	s_load_b64 s[8:9], s[8:9], 0x0
	s_waitcnt lgkmcnt(0)
	v_cmp_eq_f64_e64 s2, s[6:7], 0
	v_cmp_eq_f64_e64 s3, s[8:9], 1.0
	s_delay_alu instid0(VALU_DEP_1) | instskip(NEXT) | instid1(SALU_CYCLE_1)
	s_and_b32 s2, s2, s3
	s_and_b32 vcc_lo, exec_lo, s2
	s_cbranch_vccnz .LBB175_19
; %bb.1:
	s_clause 0x1
	s_load_b128 s[16:19], s[0:1], 0x28
	s_load_b32 s13, s[0:1], 0x38
	v_cmp_neq_f64_e64 s11, s[6:7], 0
	s_mov_b32 s4, s15
	s_mov_b32 s5, 0
	s_load_b32 s10, s[0:1], 0x0
	s_lshl_b64 s[2:3], s[4:5], 3
	v_lshl_or_b32 v0, s14, 6, v0
	s_waitcnt lgkmcnt(0)
	s_add_u32 s2, s16, s2
	s_addc_u32 s3, s17, s3
	s_lshl_b64 s[18:19], s[18:19], 3
	s_load_b64 s[16:17], s[2:3], 0x0
	v_cmp_gt_i32_e64 s2, s10, v0
	s_waitcnt lgkmcnt(0)
	s_add_u32 s3, s16, s18
	s_addc_u32 s12, s17, s19
	s_delay_alu instid0(VALU_DEP_3)
	s_and_b32 vcc_lo, exec_lo, s11
	s_cbranch_vccnz .LBB175_6
; %bb.2:
	s_mov_b32 s11, 0
                                        ; implicit-def: $vgpr3_vgpr4
                                        ; implicit-def: $vgpr1_vgpr2
	s_and_saveexec_b32 s15, s2
	s_cbranch_execz .LBB175_7
; %bb.3:
	v_cmp_eq_f64_e64 s2, s[8:9], 0
	v_mul_lo_u32 v1, v0, s13
	v_mov_b32_e32 v3, 0
	v_mov_b32_e32 v4, 0
	s_delay_alu instid0(VALU_DEP_3)
	v_ashrrev_i32_e32 v2, 31, v1
	s_and_b32 vcc_lo, exec_lo, s2
	s_cbranch_vccnz .LBB175_5
; %bb.4:
	s_delay_alu instid0(VALU_DEP_1) | instskip(NEXT) | instid1(VALU_DEP_1)
	v_lshlrev_b64 v[3:4], 3, v[1:2]
	v_add_co_u32 v3, vcc_lo, s3, v3
	s_delay_alu instid0(VALU_DEP_2)
	v_add_co_ci_u32_e32 v4, vcc_lo, s12, v4, vcc_lo
	global_load_b64 v[3:4], v[3:4], off
	s_waitcnt vmcnt(0)
	v_mul_f64 v[3:4], s[8:9], v[3:4]
.LBB175_5:
	s_mov_b32 s5, exec_lo
	s_or_b32 exec_lo, exec_lo, s15
	s_delay_alu instid0(SALU_CYCLE_1)
	s_and_b32 vcc_lo, exec_lo, s11
	s_cbranch_vccnz .LBB175_8
	s_branch .LBB175_17
.LBB175_6:
                                        ; implicit-def: $vgpr3_vgpr4
                                        ; implicit-def: $vgpr1_vgpr2
	s_cbranch_execnz .LBB175_8
	s_branch .LBB175_17
.LBB175_7:
	s_or_b32 exec_lo, exec_lo, s15
	s_delay_alu instid0(SALU_CYCLE_1)
	s_and_b32 vcc_lo, exec_lo, s11
	s_cbranch_vccz .LBB175_17
.LBB175_8:
	s_mov_b32 s2, exec_lo
                                        ; implicit-def: $vgpr3_vgpr4
                                        ; implicit-def: $vgpr1_vgpr2
	v_cmpx_gt_i32_e64 s10, v0
	s_cbranch_execz .LBB175_16
; %bb.9:
	s_load_b32 s15, s[0:1], 0x58
	v_mov_b32_e32 v5, 0
	v_mov_b32_e32 v6, 0
	s_waitcnt lgkmcnt(0)
	s_cmp_ge_i32 s14, s15
	s_cbranch_scc1 .LBB175_12
; %bb.10:
	s_load_b64 s[0:1], s[0:1], 0x48
	v_mad_u64_u32 v[1:2], null, s14, s10, v[0:1]
	s_ashr_i32 s11, s10, 31
	s_mul_hi_u32 s16, s10, s4
	s_mul_i32 s17, s11, s4
	s_mul_i32 s4, s10, s4
	s_add_i32 s16, s16, s17
	s_mul_hi_u32 s17, s4, s15
	s_delay_alu instid0(VALU_DEP_1)
	v_ashrrev_i32_e32 v2, 31, v1
	s_mul_i32 s18, s16, s15
	s_mul_i32 s16, s4, s15
	s_add_i32 s17, s17, s18
	v_mov_b32_e32 v5, 0
	v_lshlrev_b64 v[1:2], 3, v[1:2]
	s_lshl_b64 s[16:17], s[16:17], 3
	v_mov_b32_e32 v6, 0
	s_waitcnt lgkmcnt(0)
	s_add_u32 s0, s0, s16
	s_addc_u32 s1, s1, s17
	v_add_co_u32 v1, vcc_lo, s0, v1
	v_add_co_ci_u32_e32 v2, vcc_lo, s1, v2, vcc_lo
	s_lshl_b64 s[0:1], s[10:11], 3
.LBB175_11:                             ; =>This Inner Loop Header: Depth=1
	global_load_b64 v[3:4], v[1:2], off
	v_add_co_u32 v1, vcc_lo, v1, s0
	v_add_co_ci_u32_e32 v2, vcc_lo, s1, v2, vcc_lo
	s_add_i32 s14, s14, 1
	s_delay_alu instid0(SALU_CYCLE_1)
	s_cmp_ge_i32 s14, s15
	s_waitcnt vmcnt(0)
	v_add_f64 v[5:6], v[5:6], v[3:4]
	s_cbranch_scc0 .LBB175_11
.LBB175_12:
	v_cmp_eq_f64_e64 s0, s[8:9], 0
	v_mul_lo_u32 v1, v0, s13
	s_delay_alu instid0(VALU_DEP_1) | instskip(NEXT) | instid1(VALU_DEP_3)
	v_ashrrev_i32_e32 v2, 31, v1
	s_and_b32 vcc_lo, exec_lo, s0
	s_cbranch_vccz .LBB175_20
; %bb.13:
	s_delay_alu instid0(VALU_DEP_4)
	v_mul_f64 v[3:4], s[6:7], v[5:6]
	s_cbranch_execnz .LBB175_15
.LBB175_14:
	s_delay_alu instid0(VALU_DEP_1) | instskip(NEXT) | instid1(VALU_DEP_1)
	v_lshlrev_b64 v[3:4], 3, v[1:2]
	v_add_co_u32 v3, vcc_lo, s3, v3
	s_delay_alu instid0(VALU_DEP_2) | instskip(SKIP_3) | instid1(VALU_DEP_1)
	v_add_co_ci_u32_e32 v4, vcc_lo, s12, v4, vcc_lo
	global_load_b64 v[3:4], v[3:4], off
	s_waitcnt vmcnt(0)
	v_mul_f64 v[3:4], s[8:9], v[3:4]
	v_fma_f64 v[3:4], s[6:7], v[5:6], v[3:4]
.LBB175_15:
	s_or_b32 s5, s5, exec_lo
.LBB175_16:
	s_or_b32 exec_lo, exec_lo, s2
.LBB175_17:
	s_and_saveexec_b32 s0, s5
	s_cbranch_execz .LBB175_19
; %bb.18:
	v_lshlrev_b64 v[0:1], 3, v[1:2]
	s_delay_alu instid0(VALU_DEP_1) | instskip(NEXT) | instid1(VALU_DEP_2)
	v_add_co_u32 v0, vcc_lo, s3, v0
	v_add_co_ci_u32_e32 v1, vcc_lo, s12, v1, vcc_lo
	global_store_b64 v[0:1], v[3:4], off
.LBB175_19:
	s_nop 0
	s_sendmsg sendmsg(MSG_DEALLOC_VGPRS)
	s_endpgm
.LBB175_20:
                                        ; implicit-def: $vgpr3_vgpr4
	s_branch .LBB175_14
	.section	.rodata,"a",@progbits
	.p2align	6, 0x0
	.amdhsa_kernel _ZL36rocblas_hemvn_kernel_lower_block_sumILi64EiPKdPKPddEviT1_lS5_lT2_lT0_lPT3_i
		.amdhsa_group_segment_fixed_size 0
		.amdhsa_private_segment_fixed_size 0
		.amdhsa_kernarg_size 344
		.amdhsa_user_sgpr_count 14
		.amdhsa_user_sgpr_dispatch_ptr 0
		.amdhsa_user_sgpr_queue_ptr 0
		.amdhsa_user_sgpr_kernarg_segment_ptr 1
		.amdhsa_user_sgpr_dispatch_id 0
		.amdhsa_user_sgpr_private_segment_size 0
		.amdhsa_wavefront_size32 1
		.amdhsa_uses_dynamic_stack 0
		.amdhsa_enable_private_segment 0
		.amdhsa_system_sgpr_workgroup_id_x 1
		.amdhsa_system_sgpr_workgroup_id_y 0
		.amdhsa_system_sgpr_workgroup_id_z 1
		.amdhsa_system_sgpr_workgroup_info 0
		.amdhsa_system_vgpr_workitem_id 0
		.amdhsa_next_free_vgpr 7
		.amdhsa_next_free_sgpr 24
		.amdhsa_reserve_vcc 1
		.amdhsa_float_round_mode_32 0
		.amdhsa_float_round_mode_16_64 0
		.amdhsa_float_denorm_mode_32 3
		.amdhsa_float_denorm_mode_16_64 3
		.amdhsa_dx10_clamp 1
		.amdhsa_ieee_mode 1
		.amdhsa_fp16_overflow 0
		.amdhsa_workgroup_processor_mode 1
		.amdhsa_memory_ordered 1
		.amdhsa_forward_progress 0
		.amdhsa_shared_vgpr_count 0
		.amdhsa_exception_fp_ieee_invalid_op 0
		.amdhsa_exception_fp_denorm_src 0
		.amdhsa_exception_fp_ieee_div_zero 0
		.amdhsa_exception_fp_ieee_overflow 0
		.amdhsa_exception_fp_ieee_underflow 0
		.amdhsa_exception_fp_ieee_inexact 0
		.amdhsa_exception_int_div_zero 0
	.end_amdhsa_kernel
	.section	.text._ZL36rocblas_hemvn_kernel_lower_block_sumILi64EiPKdPKPddEviT1_lS5_lT2_lT0_lPT3_i,"axG",@progbits,_ZL36rocblas_hemvn_kernel_lower_block_sumILi64EiPKdPKPddEviT1_lS5_lT2_lT0_lPT3_i,comdat
.Lfunc_end175:
	.size	_ZL36rocblas_hemvn_kernel_lower_block_sumILi64EiPKdPKPddEviT1_lS5_lT2_lT0_lPT3_i, .Lfunc_end175-_ZL36rocblas_hemvn_kernel_lower_block_sumILi64EiPKdPKPddEviT1_lS5_lT2_lT0_lPT3_i
                                        ; -- End function
	.section	.AMDGPU.csdata,"",@progbits
; Kernel info:
; codeLenInByte = 752
; NumSgprs: 26
; NumVgprs: 7
; ScratchSize: 0
; MemoryBound: 0
; FloatMode: 240
; IeeeMode: 1
; LDSByteSize: 0 bytes/workgroup (compile time only)
; SGPRBlocks: 3
; VGPRBlocks: 0
; NumSGPRsForWavesPerEU: 26
; NumVGPRsForWavesPerEU: 7
; Occupancy: 16
; WaveLimiterHint : 1
; COMPUTE_PGM_RSRC2:SCRATCH_EN: 0
; COMPUTE_PGM_RSRC2:USER_SGPR: 14
; COMPUTE_PGM_RSRC2:TRAP_HANDLER: 0
; COMPUTE_PGM_RSRC2:TGID_X_EN: 1
; COMPUTE_PGM_RSRC2:TGID_Y_EN: 0
; COMPUTE_PGM_RSRC2:TGID_Z_EN: 1
; COMPUTE_PGM_RSRC2:TIDIG_COMP_CNT: 0
	.section	.text._ZL26rocblas_hemvn_kernel_lowerILb0ELi64ELi4ELi33ELi32ELi16EldPKPKdPdEviT6_lT7_lT5_lS6_lS7_lS5_lT8_i,"axG",@progbits,_ZL26rocblas_hemvn_kernel_lowerILb0ELi64ELi4ELi33ELi32ELi16EldPKPKdPdEviT6_lT7_lT5_lS6_lS7_lS5_lT8_i,comdat
	.globl	_ZL26rocblas_hemvn_kernel_lowerILb0ELi64ELi4ELi33ELi32ELi16EldPKPKdPdEviT6_lT7_lT5_lS6_lS7_lS5_lT8_i ; -- Begin function _ZL26rocblas_hemvn_kernel_lowerILb0ELi64ELi4ELi33ELi32ELi16EldPKPKdPdEviT6_lT7_lT5_lS6_lS7_lS5_lT8_i
	.p2align	8
	.type	_ZL26rocblas_hemvn_kernel_lowerILb0ELi64ELi4ELi33ELi32ELi16EldPKPKdPdEviT6_lT7_lT5_lS6_lS7_lS5_lT8_i,@function
_ZL26rocblas_hemvn_kernel_lowerILb0ELi64ELi4ELi33ELi32ELi16EldPKPKdPdEviT6_lT7_lT5_lS6_lS7_lS5_lT8_i: ; @_ZL26rocblas_hemvn_kernel_lowerILb0ELi64ELi4ELi33ELi32ELi16EldPKPKdPdEviT6_lT7_lT5_lS6_lS7_lS5_lT8_i
; %bb.0:
	s_load_b64 s[4:5], s[0:1], 0x84
	s_add_u32 s2, s0, 0x78
	s_addc_u32 s3, s1, 0
	s_waitcnt lgkmcnt(0)
	s_lshr_b32 s6, s4, 16
	s_and_b32 s4, s4, 0xffff
	s_and_b32 s5, s5, 0xffff
	s_mul_i32 s4, s6, s4
	s_delay_alu instid0(SALU_CYCLE_1) | instskip(NEXT) | instid1(SALU_CYCLE_1)
	s_mul_i32 s4, s4, s5
	s_cmpk_lg_i32 s4, 0x100
	s_cbranch_scc1 .LBB176_6
; %bb.1:
	s_clause 0x1
	s_load_b64 s[4:5], s[0:1], 0x8
	s_load_b64 s[6:7], s[0:1], 0x58
	s_mov_b64 s[8:9], 0
	s_waitcnt lgkmcnt(0)
	v_cmp_eq_f64_e64 s10, s[4:5], 0
	v_cmp_eq_f64_e64 s6, s[6:7], 1.0
	s_delay_alu instid0(VALU_DEP_1) | instskip(NEXT) | instid1(SALU_CYCLE_1)
	s_and_b32 s6, s10, s6
	s_and_b32 vcc_lo, exec_lo, s6
	s_cbranch_vccnz .LBB176_6
; %bb.2:
	v_cmp_neq_f64_e64 s12, s[4:5], 0
	s_clause 0x1
	s_load_b128 s[4:7], s[0:1], 0x18
	s_load_b64 s[16:17], s[0:1], 0x28
	s_mov_b32 s18, s15
	s_and_b32 vcc_lo, exec_lo, s10
	s_cbranch_vccnz .LBB176_4
; %bb.3:
	s_mov_b32 s19, 0
	s_delay_alu instid0(SALU_CYCLE_1)
	s_lshl_b64 s[8:9], s[18:19], 3
	s_waitcnt lgkmcnt(0)
	s_add_u32 s4, s4, s8
	s_addc_u32 s5, s5, s9
	s_lshl_b64 s[6:7], s[6:7], 3
	s_load_b64 s[4:5], s[4:5], 0x0
	s_waitcnt lgkmcnt(0)
	s_add_u32 s8, s4, s6
	s_addc_u32 s9, s5, s7
.LBB176_4:
	s_waitcnt lgkmcnt(0)
	s_clause 0x1
	s_load_b128 s[4:7], s[0:1], 0x38
	s_load_b64 s[10:11], s[0:1], 0x48
	s_delay_alu instid0(VALU_DEP_1)
	v_cndmask_b32_e64 v1, 0, 1, s12
	s_and_not1_b32 vcc_lo, exec_lo, s12
	s_cbranch_vccnz .LBB176_7
; %bb.5:
	s_mov_b32 s19, 0
	s_delay_alu instid0(SALU_CYCLE_1)
	s_lshl_b64 s[12:13], s[18:19], 3
	s_waitcnt lgkmcnt(0)
	s_add_u32 s4, s4, s12
	s_addc_u32 s5, s5, s13
	s_lshl_b64 s[6:7], s[6:7], 3
	s_load_b64 s[4:5], s[4:5], 0x0
	s_waitcnt lgkmcnt(0)
	s_add_u32 s4, s4, s6
	s_addc_u32 s5, s5, s7
	v_cmp_ne_u32_e32 vcc_lo, 1, v1
	s_cbranch_vccz .LBB176_8
.LBB176_6:
	s_endpgm
.LBB176_7:
	s_waitcnt lgkmcnt(0)
	s_mov_b64 s[4:5], 0
	v_cmp_ne_u32_e32 vcc_lo, 1, v1
	s_cbranch_vccnz .LBB176_6
.LBB176_8:
	v_and_b32_e32 v26, 0x3ff, v0
	s_lshl_b32 s20, s14, 6
	s_load_b32 s15, s[0:1], 0x0
	s_load_b32 s19, s[2:3], 0x0
	v_bfe_u32 v72, v0, 10, 10
	v_add_nc_u32_e32 v16, s20, v26
	s_delay_alu instid0(VALU_DEP_1) | instskip(SKIP_2) | instid1(VALU_DEP_3)
	v_ashrrev_i32_e32 v17, 31, v16
	v_mul_lo_u32 v3, v16, s11
	v_mad_u64_u32 v[1:2], null, v16, s10, 0
	v_mul_lo_u32 v4, v17, s10
	s_waitcnt lgkmcnt(0)
	s_ashr_i32 s28, s15, 31
	s_delay_alu instid0(VALU_DEP_1)
	v_add3_u32 v2, v2, v3, v4
	s_lshr_b32 s2, s28, 26
	s_add_i32 s6, s19, -1
	s_add_i32 s3, s15, s2
	v_cmp_ne_u32_e64 s2, 0, v72
	v_lshlrev_b64 v[0:1], 3, v[1:2]
	s_and_not1_b32 s3, s3, 63
	s_delay_alu instid0(SALU_CYCLE_1) | instskip(SKIP_2) | instid1(VALU_DEP_2)
	s_sub_i32 s7, s15, s3
	v_cmp_eq_u32_e64 s3, 0, v72
	s_cmp_eq_u32 s14, s6
	v_add_co_u32 v20, vcc_lo, s4, v0
	v_add_co_ci_u32_e32 v21, vcc_lo, s5, v1, vcc_lo
	s_cselect_b32 s22, s7, 0
	s_and_saveexec_b32 s4, s3
	s_cbranch_execz .LBB176_12
; %bb.9:
	v_cmp_gt_i32_e32 vcc_lo, s22, v26
	s_cmp_eq_u32 s22, 0
	v_mov_b32_e32 v0, 0
	v_mov_b32_e32 v1, 0
	s_cselect_b32 s5, -1, 0
	s_delay_alu instid0(SALU_CYCLE_1) | instskip(NEXT) | instid1(SALU_CYCLE_1)
	s_or_b32 s6, s5, vcc_lo
	s_and_saveexec_b32 s5, s6
	s_cbranch_execz .LBB176_11
; %bb.10:
	flat_load_b64 v[0:1], v[20:21]
.LBB176_11:
	s_or_b32 exec_lo, exec_lo, s5
	v_lshlrev_b32_e32 v2, 3, v26
	s_waitcnt vmcnt(0) lgkmcnt(0)
	ds_store_b64 v2, v[0:1] offset:9088
.LBB176_12:
	s_or_b32 exec_lo, exec_lo, s4
	v_lshl_add_u32 v27, v72, 6, v26
	v_dual_mov_b32 v1, 0 :: v_dual_and_b32 v0, 31, v26
	s_ashr_i32 s21, s20, 31
	s_mul_i32 s6, s20, s17
	s_delay_alu instid0(VALU_DEP_2)
	v_lshrrev_b32_e32 v11, 5, v27
	s_lshl_b64 s[4:5], s[20:21], 3
	s_mul_hi_u32 s7, s20, s16
	s_add_u32 s8, s8, s4
	s_mul_i32 s12, s21, s16
	v_mad_u64_u32 v[2:3], null, v11, s16, v[0:1]
	s_addc_u32 s9, s9, s5
	s_add_i32 s5, s7, s6
	s_mul_i32 s4, s20, s16
	s_add_i32 s5, s5, s12
	s_delay_alu instid0(SALU_CYCLE_1) | instskip(NEXT) | instid1(VALU_DEP_1)
	s_lshl_b64 s[24:25], s[4:5], 3
	v_mov_b32_e32 v1, v3
	s_add_u32 s4, s24, s8
	s_addc_u32 s5, s25, s9
	s_cmp_lg_u32 s22, 0
	s_cselect_b32 s29, -1, 0
	v_mad_u64_u32 v[3:4], null, v11, s17, v[1:2]
	s_cmp_eq_u32 s22, 0
	s_cselect_b32 s9, -1, 0
	s_delay_alu instid0(VALU_DEP_1) | instskip(NEXT) | instid1(VALU_DEP_1)
	v_lshlrev_b64 v[22:23], 3, v[2:3]
	v_add_co_u32 v1, vcc_lo, s4, v22
	s_delay_alu instid0(VALU_DEP_2)
	v_add_co_ci_u32_e32 v2, vcc_lo, s5, v23, vcc_lo
	s_and_b32 vcc_lo, exec_lo, s29
	s_mov_b32 s4, 0
	s_cbranch_vccnz .LBB176_14
; %bb.13:
	flat_load_b64 v[3:4], v[1:2]
	v_mul_u32_u24_e32 v5, 33, v11
	s_lshl_b64 s[6:7], s[16:17], 6
	s_delay_alu instid0(VALU_DEP_1)
	v_add_lshl_u32 v9, v5, v0, 3
	v_add_co_u32 v5, vcc_lo, v1, s6
	v_add_co_ci_u32_e32 v6, vcc_lo, s7, v2, vcc_lo
	s_waitcnt vmcnt(0) lgkmcnt(0)
	ds_store_b64 v9, v[3:4]
	flat_load_b64 v[3:4], v[5:6]
	v_add_co_u32 v5, vcc_lo, v5, s6
	v_add_co_ci_u32_e32 v6, vcc_lo, s7, v6, vcc_lo
	s_waitcnt vmcnt(0) lgkmcnt(0)
	ds_store_b64 v9, v[3:4] offset:2112
	flat_load_b64 v[3:4], v[5:6]
	v_mad_u64_u32 v[5:6], null, 0xc0, s16, v[1:2]
	s_delay_alu instid0(VALU_DEP_1) | instskip(NEXT) | instid1(VALU_DEP_1)
	v_mad_u64_u32 v[7:8], null, 0xc0, s17, v[6:7]
	v_mov_b32_e32 v6, v7
	s_waitcnt vmcnt(0) lgkmcnt(0)
	ds_store_b64 v9, v[3:4] offset:4224
	flat_load_b64 v[3:4], v[5:6]
	s_waitcnt vmcnt(0) lgkmcnt(0)
	ds_store_b64 v9, v[3:4] offset:6336
	s_and_not1_b32 vcc_lo, exec_lo, s4
	s_cbranch_vccz .LBB176_15
	s_branch .LBB176_24
.LBB176_14:
.LBB176_15:
	v_dual_mov_b32 v5, 0 :: v_dual_lshlrev_b32 v12, 3, v0
	s_ashr_i32 s23, s22, 31
	s_mov_b32 s5, exec_lo
	s_lshl_b64 s[6:7], s[22:23], 3
	s_delay_alu instid0(VALU_DEP_1) | instskip(SKIP_1) | instid1(VALU_DEP_2)
	v_sub_co_u32 v3, vcc_lo, v1, v12
	v_subrev_co_ci_u32_e32 v4, vcc_lo, 0, v2, vcc_lo
	v_add_co_u32 v3, vcc_lo, v3, s6
	s_delay_alu instid0(VALU_DEP_2) | instskip(NEXT) | instid1(VALU_DEP_2)
	v_add_co_ci_u32_e32 v4, vcc_lo, s7, v4, vcc_lo
	v_add_co_u32 v3, vcc_lo, v3, -8
	s_delay_alu instid0(VALU_DEP_2) | instskip(SKIP_1) | instid1(VALU_DEP_3)
	v_add_co_ci_u32_e32 v4, vcc_lo, -1, v4, vcc_lo
	v_cmp_gt_i32_e32 vcc_lo, s22, v0
	v_dual_mov_b32 v6, 0 :: v_dual_cndmask_b32 v3, v3, v1
	s_delay_alu instid0(VALU_DEP_1) | instskip(NEXT) | instid1(VALU_DEP_4)
	v_mov_b32_e32 v8, v6
	v_dual_cndmask_b32 v4, v4, v2 :: v_dual_mov_b32 v7, v5
	v_cmpx_gt_i32_e64 s22, v11
	s_cbranch_execz .LBB176_17
; %bb.16:
	flat_load_b64 v[7:8], v[3:4]
.LBB176_17:
	s_or_b32 exec_lo, exec_lo, s5
	v_mul_u32_u24_e32 v9, 33, v11
	v_add_nc_u32_e32 v10, 8, v11
	s_mov_b32 s5, exec_lo
	s_delay_alu instid0(VALU_DEP_2)
	v_add_lshl_u32 v13, v9, v0, 3
	s_waitcnt vmcnt(0) lgkmcnt(0)
	ds_store_b64 v13, v[7:8]
	v_cmpx_gt_i32_e64 s22, v10
	s_cbranch_execz .LBB176_19
; %bb.18:
	s_lshl_b64 s[12:13], s[16:17], 6
	s_delay_alu instid0(SALU_CYCLE_1) | instskip(NEXT) | instid1(VALU_DEP_1)
	v_add_co_u32 v5, s4, v3, s12
	v_add_co_ci_u32_e64 v6, s4, s13, v4, s4
	flat_load_b64 v[5:6], v[5:6]
.LBB176_19:
	s_or_b32 exec_lo, exec_lo, s5
	v_mov_b32_e32 v7, 0
	v_dual_mov_b32 v8, 0 :: v_dual_add_nc_u32 v9, 16, v11
	s_waitcnt vmcnt(0) lgkmcnt(0)
	ds_store_b64 v13, v[5:6] offset:2112
	v_cmp_gt_i32_e64 s4, s22, v9
	v_dual_mov_b32 v10, v8 :: v_dual_mov_b32 v9, v7
	s_delay_alu instid0(VALU_DEP_2)
	s_and_saveexec_b32 s5, s4
	s_cbranch_execz .LBB176_21
; %bb.20:
	s_lshl_b64 s[12:13], s[16:17], 7
	s_delay_alu instid0(SALU_CYCLE_1) | instskip(NEXT) | instid1(VALU_DEP_1)
	v_add_co_u32 v5, s4, v3, s12
	v_add_co_ci_u32_e64 v6, s4, s13, v4, s4
	flat_load_b64 v[9:10], v[5:6]
.LBB176_21:
	s_or_b32 exec_lo, exec_lo, s5
	v_add_nc_u32_e32 v5, 24, v11
	s_mov_b32 s5, exec_lo
	s_waitcnt vmcnt(0) lgkmcnt(0)
	ds_store_b64 v13, v[9:10] offset:4224
	v_cmpx_gt_i32_e64 s22, v5
	s_cbranch_execz .LBB176_23
; %bb.22:
	v_mad_u64_u32 v[5:6], null, 0xc0, s16, v[3:4]
	s_delay_alu instid0(VALU_DEP_1) | instskip(NEXT) | instid1(VALU_DEP_1)
	v_mad_u64_u32 v[7:8], null, 0xc0, s17, v[6:7]
	v_mov_b32_e32 v6, v7
	flat_load_b64 v[7:8], v[5:6]
.LBB176_23:
	s_or_b32 exec_lo, exec_lo, s5
	v_add_co_u32 v3, s4, v3, v12
	s_delay_alu instid0(VALU_DEP_1) | instskip(SKIP_3) | instid1(VALU_DEP_1)
	v_add_co_ci_u32_e64 v4, s4, 0, v4, s4
	s_waitcnt vmcnt(0) lgkmcnt(0)
	ds_store_b64 v13, v[7:8] offset:6336
	v_sub_co_u32 v3, s4, v3, s6
	v_subrev_co_ci_u32_e64 v4, s4, s7, v4, s4
	s_delay_alu instid0(VALU_DEP_2) | instskip(NEXT) | instid1(VALU_DEP_1)
	v_add_co_u32 v3, s4, v3, 8
	v_add_co_ci_u32_e64 v4, s4, 0, v4, s4
	s_delay_alu instid0(VALU_DEP_1)
	v_dual_cndmask_b32 v1, v3, v1 :: v_dual_cndmask_b32 v2, v4, v2
.LBB176_24:
	v_lshlrev_b32_e32 v3, 2, v11
	v_mul_u32_u24_e32 v28, 33, v0
	v_mul_u32_u24_e32 v4, 0x84, v11
	s_waitcnt lgkmcnt(0)
	s_barrier
	v_cmp_lt_u32_e64 s5, v3, v0
	v_add_lshl_u32 v30, v3, v28, 3
	buffer_gl0_inv
	s_and_saveexec_b32 s4, s5
	s_cbranch_execz .LBB176_26
; %bb.25:
	v_add_lshl_u32 v5, v4, v0, 3
	ds_load_b64 v[5:6], v5
	s_waitcnt lgkmcnt(0)
	ds_store_b64 v30, v[5:6]
.LBB176_26:
	s_or_b32 exec_lo, exec_lo, s4
	v_or_b32_e32 v5, 1, v3
	s_delay_alu instid0(VALU_DEP_1) | instskip(NEXT) | instid1(VALU_DEP_1)
	v_cmp_lt_u32_e64 s6, v5, v0
	s_and_saveexec_b32 s4, s6
	s_cbranch_execz .LBB176_28
; %bb.27:
	v_mul_u32_u24_e32 v5, 33, v5
	s_delay_alu instid0(VALU_DEP_1)
	v_add_lshl_u32 v5, v5, v0, 3
	ds_load_b64 v[5:6], v5
	s_waitcnt lgkmcnt(0)
	ds_store_b64 v30, v[5:6] offset:8
.LBB176_28:
	s_or_b32 exec_lo, exec_lo, s4
	v_or_b32_e32 v5, 2, v3
	s_delay_alu instid0(VALU_DEP_1) | instskip(NEXT) | instid1(VALU_DEP_1)
	v_cmp_lt_u32_e64 s7, v5, v0
	s_and_saveexec_b32 s4, s7
	s_cbranch_execz .LBB176_30
; %bb.29:
	v_mul_u32_u24_e32 v5, 33, v5
	s_delay_alu instid0(VALU_DEP_1)
	v_add_lshl_u32 v5, v5, v0, 3
	ds_load_b64 v[5:6], v5
	s_waitcnt lgkmcnt(0)
	ds_store_b64 v30, v[5:6] offset:16
.LBB176_30:
	s_or_b32 exec_lo, exec_lo, s4
	v_or_b32_e32 v5, 3, v3
	s_delay_alu instid0(VALU_DEP_1) | instskip(SKIP_1) | instid1(VALU_DEP_2)
	v_mad_u32_u24 v6, v5, 33, v0
	v_cmp_lt_u32_e64 s8, v5, v0
	v_lshlrev_b32_e32 v9, 3, v6
	s_delay_alu instid0(VALU_DEP_2)
	s_and_saveexec_b32 s4, s8
	s_cbranch_execz .LBB176_32
; %bb.31:
	ds_load_b64 v[5:6], v9
	s_waitcnt lgkmcnt(0)
	ds_store_b64 v30, v[5:6] offset:24
.LBB176_32:
	s_or_b32 exec_lo, exec_lo, s4
	v_add_lshl_u32 v10, v4, v0, 3
	v_lshlrev_b32_e32 v12, 3, v3
	v_dual_mov_b32 v18, 0 :: v_dual_add_nc_u32 v13, 0xfffffdf0, v9
	s_waitcnt lgkmcnt(0)
	s_barrier
	buffer_gl0_inv
	v_mov_b32_e32 v19, 0
	ds_load_b64 v[7:8], v10
	ds_load_b128 v[3:6], v12 offset:9088
	ds_load_2addr_b64 v[31:34], v13 offset1:33
	v_add_lshl_u32 v29, v11, v28, 3
	v_cmp_gt_u32_e64 s4, 32, v27
	s_waitcnt lgkmcnt(1)
	v_fma_f64 v[3:4], v[7:8], v[3:4], 0
	s_waitcnt lgkmcnt(0)
	s_delay_alu instid0(VALU_DEP_1)
	v_fma_f64 v[7:8], v[31:32], v[5:6], v[3:4]
	ds_load_b128 v[3:6], v12 offset:9104
	ds_load_b64 v[14:15], v9
	s_waitcnt lgkmcnt(0)
	s_barrier
	buffer_gl0_inv
	v_fma_f64 v[3:4], v[33:34], v[3:4], v[7:8]
	s_delay_alu instid0(VALU_DEP_1)
	v_fma_f64 v[3:4], v[14:15], v[5:6], v[3:4]
	ds_store_b64 v29, v[3:4]
	s_waitcnt lgkmcnt(0)
	s_barrier
	buffer_gl0_inv
	s_and_saveexec_b32 s12, s4
	s_cbranch_execz .LBB176_34
; %bb.33:
	v_lshlrev_b32_e32 v14, 3, v28
	ds_load_2addr_b64 v[3:6], v14 offset1:1
	ds_load_2addr_b64 v[31:34], v14 offset0:2 offset1:3
	s_waitcnt lgkmcnt(1)
	v_add_f64 v[3:4], v[3:4], v[5:6]
	s_waitcnt lgkmcnt(0)
	s_delay_alu instid0(VALU_DEP_1) | instskip(NEXT) | instid1(VALU_DEP_1)
	v_add_f64 v[3:4], v[3:4], v[31:32]
	v_add_f64 v[7:8], v[3:4], v[33:34]
	ds_load_2addr_b64 v[3:6], v14 offset0:4 offset1:5
	ds_load_2addr_b64 v[31:34], v14 offset0:6 offset1:7
	s_waitcnt lgkmcnt(1)
	v_add_f64 v[3:4], v[7:8], v[3:4]
	s_delay_alu instid0(VALU_DEP_1) | instskip(SKIP_1) | instid1(VALU_DEP_1)
	v_add_f64 v[3:4], v[3:4], v[5:6]
	s_waitcnt lgkmcnt(0)
	v_add_f64 v[3:4], v[3:4], v[31:32]
	s_delay_alu instid0(VALU_DEP_1)
	v_add_f64 v[18:19], v[3:4], v[33:34]
.LBB176_34:
	s_or_b32 exec_lo, exec_lo, s12
	s_lshl_b64 s[12:13], s[16:17], 8
	v_cndmask_b32_e64 v14, 0, 1, s9
	v_add_co_u32 v1, vcc_lo, v1, s12
	v_add_co_ci_u32_e32 v2, vcc_lo, s13, v2, vcc_lo
	s_delay_alu instid0(VALU_DEP_2) | instskip(NEXT) | instid1(VALU_DEP_2)
	v_add_co_u32 v15, vcc_lo, 0x100, v1
	v_add_co_ci_u32_e32 v25, vcc_lo, 0, v2, vcc_lo
	s_and_not1_b32 vcc_lo, exec_lo, s9
	s_barrier
	buffer_gl0_inv
	s_cbranch_vccnz .LBB176_36
; %bb.35:
	flat_load_b64 v[3:4], v[1:2] offset:256
	v_mul_u32_u24_e32 v5, 33, v11
	s_lshl_b64 s[26:27], s[16:17], 6
	s_delay_alu instid0(VALU_DEP_1)
	v_add_lshl_u32 v8, v5, v0, 3
	v_add_co_u32 v5, vcc_lo, v1, s26
	v_add_co_ci_u32_e32 v6, vcc_lo, s27, v2, vcc_lo
	s_waitcnt vmcnt(0) lgkmcnt(0)
	ds_store_b64 v8, v[3:4]
	flat_load_b64 v[3:4], v[5:6] offset:256
	v_add_co_u32 v5, vcc_lo, v5, s26
	v_add_co_ci_u32_e32 v6, vcc_lo, s27, v6, vcc_lo
	s_waitcnt vmcnt(0) lgkmcnt(0)
	ds_store_b64 v8, v[3:4] offset:2112
	flat_load_b64 v[3:4], v[5:6] offset:256
	v_mad_u64_u32 v[5:6], null, 0xc0, s16, v[1:2]
	s_delay_alu instid0(VALU_DEP_1) | instskip(NEXT) | instid1(VALU_DEP_1)
	v_mov_b32_e32 v1, v6
	v_mad_u64_u32 v[6:7], null, 0xc0, s17, v[1:2]
	s_waitcnt vmcnt(0) lgkmcnt(0)
	ds_store_b64 v8, v[3:4] offset:4224
	flat_load_b64 v[1:2], v[5:6] offset:256
	s_waitcnt vmcnt(0) lgkmcnt(0)
	ds_store_b64 v8, v[1:2] offset:6336
	s_cbranch_execz .LBB176_37
	s_branch .LBB176_46
.LBB176_36:
.LBB176_37:
	v_or_b32_e32 v1, 32, v0
	s_ashr_i32 s23, s22, 31
	s_mov_b32 s30, exec_lo
	s_lshl_b64 s[26:27], s[22:23], 3
	s_sub_i32 s23, s22, 32
	v_lshlrev_b32_e32 v2, 3, v1
	s_delay_alu instid0(VALU_DEP_1) | instskip(SKIP_1) | instid1(VALU_DEP_2)
	v_sub_co_u32 v2, vcc_lo, v15, v2
	v_subrev_co_ci_u32_e32 v3, vcc_lo, 0, v25, vcc_lo
	v_add_co_u32 v2, vcc_lo, v2, s26
	s_delay_alu instid0(VALU_DEP_2) | instskip(SKIP_1) | instid1(VALU_DEP_3)
	v_add_co_ci_u32_e32 v5, vcc_lo, s27, v3, vcc_lo
	v_mov_b32_e32 v3, 0
	v_add_co_u32 v6, vcc_lo, v2, -8
	s_delay_alu instid0(VALU_DEP_3) | instskip(SKIP_1) | instid1(VALU_DEP_3)
	v_add_co_ci_u32_e32 v2, vcc_lo, -1, v5, vcc_lo
	v_cmp_gt_i32_e32 vcc_lo, s22, v1
	v_dual_mov_b32 v4, 0 :: v_dual_cndmask_b32 v1, v6, v15
	s_delay_alu instid0(VALU_DEP_1) | instskip(NEXT) | instid1(VALU_DEP_4)
	v_mov_b32_e32 v6, v4
	v_dual_cndmask_b32 v2, v2, v25 :: v_dual_mov_b32 v5, v3
	v_cmpx_gt_i32_e64 s23, v11
	s_cbranch_execz .LBB176_39
; %bb.38:
	flat_load_b64 v[5:6], v[1:2]
.LBB176_39:
	s_or_b32 exec_lo, exec_lo, s30
	v_mul_u32_u24_e32 v7, 33, v11
	v_add_nc_u32_e32 v8, 8, v11
	s_mov_b32 s30, exec_lo
	s_delay_alu instid0(VALU_DEP_2)
	v_add_lshl_u32 v24, v7, v0, 3
	s_waitcnt vmcnt(0) lgkmcnt(0)
	ds_store_b64 v24, v[5:6]
	v_cmpx_gt_i32_e64 s23, v8
	s_cbranch_execz .LBB176_41
; %bb.40:
	s_lshl_b64 s[34:35], s[16:17], 6
	s_delay_alu instid0(SALU_CYCLE_1) | instskip(NEXT) | instid1(VALU_DEP_1)
	v_add_co_u32 v3, s9, v1, s34
	v_add_co_ci_u32_e64 v4, s9, s35, v2, s9
	flat_load_b64 v[3:4], v[3:4]
.LBB176_41:
	s_or_b32 exec_lo, exec_lo, s30
	v_mov_b32_e32 v5, 0
	v_dual_mov_b32 v6, 0 :: v_dual_add_nc_u32 v7, 16, v11
	s_waitcnt vmcnt(0) lgkmcnt(0)
	ds_store_b64 v24, v[3:4] offset:2112
	v_cmp_gt_i32_e64 s9, s23, v7
	v_dual_mov_b32 v8, v6 :: v_dual_mov_b32 v7, v5
	s_delay_alu instid0(VALU_DEP_2)
	s_and_saveexec_b32 s30, s9
	s_cbranch_execz .LBB176_43
; %bb.42:
	s_lshl_b64 s[34:35], s[16:17], 7
	s_delay_alu instid0(SALU_CYCLE_1) | instskip(NEXT) | instid1(VALU_DEP_1)
	v_add_co_u32 v3, s9, v1, s34
	v_add_co_ci_u32_e64 v4, s9, s35, v2, s9
	flat_load_b64 v[7:8], v[3:4]
.LBB176_43:
	s_or_b32 exec_lo, exec_lo, s30
	v_add_nc_u32_e32 v3, 24, v11
	s_waitcnt vmcnt(0) lgkmcnt(0)
	ds_store_b64 v24, v[7:8] offset:4224
	v_cmp_gt_i32_e64 s9, s23, v3
	s_delay_alu instid0(VALU_DEP_1)
	s_and_saveexec_b32 s23, s9
	s_cbranch_execz .LBB176_45
; %bb.44:
	v_mad_u64_u32 v[3:4], null, 0xc0, s16, v[1:2]
	s_delay_alu instid0(VALU_DEP_1) | instskip(NEXT) | instid1(VALU_DEP_1)
	v_mad_u64_u32 v[5:6], null, 0xc0, s17, v[4:5]
	v_mov_b32_e32 v4, v5
	flat_load_b64 v[5:6], v[3:4]
.LBB176_45:
	s_or_b32 exec_lo, exec_lo, s23
	v_lshlrev_b32_e32 v3, 3, v0
	s_waitcnt vmcnt(0) lgkmcnt(0)
	ds_store_b64 v24, v[5:6] offset:6336
	v_add_co_u32 v1, s9, v1, v3
	s_delay_alu instid0(VALU_DEP_1) | instskip(NEXT) | instid1(VALU_DEP_2)
	v_add_co_ci_u32_e64 v2, s9, 0, v2, s9
	v_sub_co_u32 v1, s9, v1, s26
	s_delay_alu instid0(VALU_DEP_1) | instskip(NEXT) | instid1(VALU_DEP_2)
	v_subrev_co_ci_u32_e64 v2, s9, s27, v2, s9
	v_add_co_u32 v1, s9, 0x108, v1
	s_delay_alu instid0(VALU_DEP_1) | instskip(NEXT) | instid1(VALU_DEP_2)
	v_add_co_ci_u32_e64 v2, s9, 0, v2, s9
	v_cndmask_b32_e32 v15, v1, v15, vcc_lo
	s_delay_alu instid0(VALU_DEP_2)
	v_cndmask_b32_e32 v25, v2, v25, vcc_lo
.LBB176_46:
	v_add_nc_u32_e32 v12, 0x2380, v12
	s_lshl_b64 s[26:27], s[16:17], 5
	s_waitcnt lgkmcnt(0)
	s_barrier
	buffer_gl0_inv
	s_and_saveexec_b32 s9, s5
	s_cbranch_execnz .LBB176_55
; %bb.47:
	s_or_b32 exec_lo, exec_lo, s9
	s_and_saveexec_b32 s5, s6
	s_cbranch_execnz .LBB176_56
.LBB176_48:
	s_or_b32 exec_lo, exec_lo, s5
	s_and_saveexec_b32 s5, s7
	s_cbranch_execnz .LBB176_57
.LBB176_49:
	s_or_b32 exec_lo, exec_lo, s5
	s_and_saveexec_b32 s5, s8
	s_cbranch_execz .LBB176_51
.LBB176_50:
	ds_load_b64 v[1:2], v9
	s_waitcnt lgkmcnt(0)
	ds_store_b64 v30, v[1:2] offset:24
.LBB176_51:
	s_or_b32 exec_lo, exec_lo, s5
	s_waitcnt lgkmcnt(0)
	s_barrier
	buffer_gl0_inv
	ds_load_b64 v[5:6], v10
	ds_load_b128 v[1:4], v12 offset:256
	v_cmp_eq_u32_e64 s5, 1, v11
	s_waitcnt lgkmcnt(0)
	v_fma_f64 v[1:2], v[5:6], v[1:2], 0
	ds_load_2addr_b64 v[5:8], v13 offset1:33
	s_waitcnt lgkmcnt(0)
	v_fma_f64 v[5:6], v[5:6], v[3:4], v[1:2]
	ds_load_b128 v[1:4], v12 offset:272
	ds_load_b64 v[9:10], v9
	s_waitcnt lgkmcnt(0)
	s_barrier
	buffer_gl0_inv
	v_fma_f64 v[1:2], v[7:8], v[1:2], v[5:6]
	s_delay_alu instid0(VALU_DEP_1)
	v_fma_f64 v[1:2], v[9:10], v[3:4], v[1:2]
	ds_store_b64 v29, v[1:2]
	s_waitcnt lgkmcnt(0)
	s_barrier
	buffer_gl0_inv
	s_and_saveexec_b32 s6, s5
	s_cbranch_execz .LBB176_53
; %bb.52:
	v_lshlrev_b32_e32 v13, 3, v28
	ds_load_2addr_b64 v[1:4], v13 offset1:1
	ds_load_2addr_b64 v[5:8], v13 offset0:2 offset1:3
	s_waitcnt lgkmcnt(1)
	v_add_f64 v[1:2], v[1:2], v[3:4]
	s_waitcnt lgkmcnt(0)
	s_delay_alu instid0(VALU_DEP_1) | instskip(NEXT) | instid1(VALU_DEP_1)
	v_add_f64 v[1:2], v[1:2], v[5:6]
	v_add_f64 v[9:10], v[1:2], v[7:8]
	ds_load_2addr_b64 v[1:4], v13 offset0:4 offset1:5
	ds_load_2addr_b64 v[5:8], v13 offset0:6 offset1:7
	s_waitcnt lgkmcnt(1)
	v_add_f64 v[1:2], v[9:10], v[1:2]
	s_delay_alu instid0(VALU_DEP_1) | instskip(SKIP_1) | instid1(VALU_DEP_1)
	v_add_f64 v[1:2], v[1:2], v[3:4]
	s_waitcnt lgkmcnt(0)
	v_add_f64 v[1:2], v[1:2], v[5:6]
	s_delay_alu instid0(VALU_DEP_1)
	v_add_f64 v[18:19], v[1:2], v[7:8]
.LBB176_53:
	s_or_b32 exec_lo, exec_lo, s6
	s_lshl_b64 s[6:7], s[26:27], 3
	v_cmp_ne_u32_e32 vcc_lo, 1, v14
	v_sub_co_u32 v24, s6, v15, s6
	s_delay_alu instid0(VALU_DEP_1)
	v_subrev_co_ci_u32_e64 v25, s6, s7, v25, s6
	s_barrier
	buffer_gl0_inv
	s_cbranch_vccnz .LBB176_58
; %bb.54:
	flat_load_b64 v[1:2], v[24:25]
	v_mad_u32_u24 v9, v11, 33, v0
	s_lshl_b64 s[6:7], s[16:17], 6
	v_add_nc_u32_e32 v10, 8, v11
	v_add_co_u32 v3, vcc_lo, v24, s6
	s_delay_alu instid0(VALU_DEP_3)
	v_lshlrev_b32_e32 v7, 3, v9
	v_add_co_ci_u32_e32 v4, vcc_lo, s7, v25, vcc_lo
	v_add_nc_u32_e32 v13, 16, v11
	s_waitcnt vmcnt(0) lgkmcnt(0)
	ds_store_b64 v7, v[1:2]
	flat_load_b64 v[1:2], v[3:4]
	v_add_co_u32 v3, vcc_lo, v3, s6
	v_add_co_ci_u32_e32 v4, vcc_lo, s7, v4, vcc_lo
	s_waitcnt vmcnt(0) lgkmcnt(0)
	ds_store_b64 v7, v[1:2] offset:2112
	flat_load_b64 v[1:2], v[3:4]
	v_mad_u64_u32 v[3:4], null, 0xc0, s16, v[24:25]
	s_delay_alu instid0(VALU_DEP_1) | instskip(SKIP_1) | instid1(VALU_DEP_2)
	v_mad_u64_u32 v[5:6], null, 0xc0, s17, v[4:5]
	v_add_nc_u32_e32 v6, 0x108, v9
	v_dual_mov_b32 v4, v5 :: v_dual_add_nc_u32 v5, 24, v11
	s_waitcnt vmcnt(0) lgkmcnt(0)
	ds_store_b64 v7, v[1:2] offset:4224
	flat_load_b64 v[3:4], v[3:4]
	v_add_nc_u32_e32 v1, 0x210, v9
	v_add_nc_u32_e32 v2, 0x318, v9
	s_waitcnt vmcnt(0) lgkmcnt(0)
	ds_store_b64 v7, v[3:4] offset:6336
	s_cbranch_execz .LBB176_59
	s_branch .LBB176_68
.LBB176_55:
	ds_load_b64 v[1:2], v10
	s_waitcnt lgkmcnt(0)
	ds_store_b64 v30, v[1:2]
	s_or_b32 exec_lo, exec_lo, s9
	s_and_saveexec_b32 s5, s6
	s_cbranch_execz .LBB176_48
.LBB176_56:
	ds_load_b64 v[1:2], v13
	s_waitcnt lgkmcnt(0)
	ds_store_b64 v30, v[1:2] offset:8
	s_or_b32 exec_lo, exec_lo, s5
	s_and_saveexec_b32 s5, s7
	s_cbranch_execz .LBB176_49
.LBB176_57:
	ds_load_b64 v[1:2], v13 offset:264
	s_waitcnt lgkmcnt(0)
	ds_store_b64 v30, v[1:2] offset:16
	s_or_b32 exec_lo, exec_lo, s5
	s_and_saveexec_b32 s5, s8
	s_cbranch_execnz .LBB176_50
	s_branch .LBB176_51
.LBB176_58:
                                        ; implicit-def: $vgpr9
                                        ; implicit-def: $vgpr10
                                        ; implicit-def: $vgpr6
                                        ; implicit-def: $vgpr13
                                        ; implicit-def: $vgpr1
                                        ; implicit-def: $vgpr5
                                        ; implicit-def: $vgpr2
.LBB176_59:
	v_or_b32_e32 v1, 32, v0
	s_ashr_i32 s23, s22, 31
	s_mov_b32 s7, exec_lo
	s_lshl_b64 s[8:9], s[22:23], 3
	s_delay_alu instid0(VALU_DEP_1) | instskip(NEXT) | instid1(VALU_DEP_1)
	v_dual_mov_b32 v5, 0 :: v_dual_lshlrev_b32 v2, 3, v1
	v_sub_co_u32 v2, vcc_lo, v24, v2
	v_subrev_co_ci_u32_e32 v3, vcc_lo, 0, v25, vcc_lo
	s_delay_alu instid0(VALU_DEP_2) | instskip(NEXT) | instid1(VALU_DEP_2)
	v_add_co_u32 v2, vcc_lo, v2, s8
	v_add_co_ci_u32_e32 v3, vcc_lo, s9, v3, vcc_lo
	s_delay_alu instid0(VALU_DEP_2) | instskip(NEXT) | instid1(VALU_DEP_2)
	v_add_co_u32 v4, vcc_lo, v2, -8
	v_add_co_ci_u32_e32 v2, vcc_lo, -1, v3, vcc_lo
	v_cmp_gt_i32_e32 vcc_lo, s22, v1
	s_delay_alu instid0(VALU_DEP_3) | instskip(NEXT) | instid1(VALU_DEP_3)
	v_dual_mov_b32 v6, 0 :: v_dual_cndmask_b32 v1, v4, v24
	v_dual_cndmask_b32 v2, v2, v25 :: v_dual_mov_b32 v3, v5
	s_delay_alu instid0(VALU_DEP_2)
	v_mov_b32_e32 v4, v6
	v_cmpx_gt_i32_e64 s22, v11
	s_cbranch_execz .LBB176_61
; %bb.60:
	flat_load_b64 v[3:4], v[1:2]
.LBB176_61:
	s_or_b32 exec_lo, exec_lo, s7
	v_mad_u32_u24 v9, v11, 33, v0
	v_add_nc_u32_e32 v10, 8, v11
	s_mov_b32 s7, exec_lo
	s_delay_alu instid0(VALU_DEP_2)
	v_lshlrev_b32_e32 v14, 3, v9
	s_waitcnt vmcnt(0) lgkmcnt(0)
	ds_store_b64 v14, v[3:4]
	v_cmpx_gt_i32_e64 s22, v10
	s_cbranch_execz .LBB176_63
; %bb.62:
	s_lshl_b64 s[26:27], s[16:17], 6
	s_delay_alu instid0(SALU_CYCLE_1) | instskip(NEXT) | instid1(VALU_DEP_1)
	v_add_co_u32 v3, s6, v1, s26
	v_add_co_ci_u32_e64 v4, s6, s27, v2, s6
	flat_load_b64 v[5:6], v[3:4]
.LBB176_63:
	s_or_b32 exec_lo, exec_lo, s7
	v_mov_b32_e32 v3, 0
	v_dual_mov_b32 v4, 0 :: v_dual_add_nc_u32 v13, 16, v11
	s_mov_b32 s7, exec_lo
	s_waitcnt vmcnt(0) lgkmcnt(0)
	ds_store_b64 v14, v[5:6] offset:2112
	v_dual_mov_b32 v8, v4 :: v_dual_mov_b32 v7, v3
	v_cmpx_gt_i32_e64 s22, v13
	s_cbranch_execz .LBB176_65
; %bb.64:
	s_lshl_b64 s[26:27], s[16:17], 7
	s_delay_alu instid0(SALU_CYCLE_1) | instskip(NEXT) | instid1(VALU_DEP_1)
	v_add_co_u32 v5, s6, v1, s26
	v_add_co_ci_u32_e64 v6, s6, s27, v2, s6
	flat_load_b64 v[7:8], v[5:6]
.LBB176_65:
	s_or_b32 exec_lo, exec_lo, s7
	v_add_nc_u32_e32 v5, 24, v11
	s_mov_b32 s7, exec_lo
	s_waitcnt vmcnt(0) lgkmcnt(0)
	ds_store_b64 v14, v[7:8] offset:4224
	v_cmpx_gt_i32_e64 s22, v5
	s_cbranch_execz .LBB176_67
; %bb.66:
	v_mad_u64_u32 v[3:4], null, 0xc0, s16, v[1:2]
	s_delay_alu instid0(VALU_DEP_1) | instskip(NEXT) | instid1(VALU_DEP_1)
	v_mad_u64_u32 v[6:7], null, 0xc0, s17, v[4:5]
	v_mov_b32_e32 v4, v6
	flat_load_b64 v[3:4], v[3:4]
.LBB176_67:
	s_or_b32 exec_lo, exec_lo, s7
	v_lshlrev_b32_e32 v0, 3, v0
	v_add_nc_u32_e32 v6, 0x108, v9
	s_waitcnt vmcnt(0) lgkmcnt(0)
	ds_store_b64 v14, v[3:4] offset:6336
	v_add_co_u32 v0, s6, v1, v0
	s_delay_alu instid0(VALU_DEP_1) | instskip(SKIP_1) | instid1(VALU_DEP_3)
	v_add_co_ci_u32_e64 v1, s6, 0, v2, s6
	v_add_nc_u32_e32 v2, 0x318, v9
	v_sub_co_u32 v0, s6, v0, s8
	s_delay_alu instid0(VALU_DEP_1) | instskip(NEXT) | instid1(VALU_DEP_2)
	v_subrev_co_ci_u32_e64 v1, s6, s9, v1, s6
	v_add_co_u32 v0, s6, 0x108, v0
	s_delay_alu instid0(VALU_DEP_1) | instskip(NEXT) | instid1(VALU_DEP_2)
	v_add_co_ci_u32_e64 v7, s6, 0, v1, s6
	v_dual_cndmask_b32 v24, v0, v24 :: v_dual_add_nc_u32 v1, 0x210, v9
	s_delay_alu instid0(VALU_DEP_2)
	v_cndmask_b32_e32 v25, v7, v25, vcc_lo
.LBB176_68:
	v_lshlrev_b32_e32 v0, 3, v9
	v_lshlrev_b32_e32 v7, 3, v11
	s_waitcnt lgkmcnt(0)
	s_barrier
	buffer_gl0_inv
	ds_load_b64 v[3:4], v0
	ds_load_b64 v[7:8], v7 offset:9088
	v_lshlrev_b32_e32 v0, 3, v6
	v_lshlrev_b32_e32 v6, 3, v10
	;; [unrolled: 1-line block ×4, first 2 shown]
	ds_load_b64 v[9:10], v0
	ds_load_b64 v[14:15], v6 offset:9088
	v_lshlrev_b32_e32 v0, 3, v1
	v_lshlrev_b32_e32 v6, 3, v13
	s_waitcnt lgkmcnt(2)
	v_fma_f64 v[3:4], v[3:4], v[7:8], 0
	ds_load_b64 v[0:1], v0
	ds_load_b64 v[6:7], v6 offset:9088
	s_waitcnt lgkmcnt(2)
	v_fma_f64 v[3:4], v[9:10], v[14:15], v[3:4]
	ds_load_b64 v[8:9], v2
	ds_load_b64 v[10:11], v5 offset:9088
	s_waitcnt lgkmcnt(2)
	v_fma_f64 v[0:1], v[0:1], v[6:7], v[3:4]
	s_waitcnt lgkmcnt(0)
	s_delay_alu instid0(VALU_DEP_1)
	v_fma_f64 v[31:32], v[8:9], v[10:11], v[0:1]
	ds_load_b128 v[8:11], v12 offset:256
	ds_load_b128 v[0:3], v12 offset:272
	ds_load_2addr_b64 v[12:15], v30 offset1:1
	ds_load_2addr_b64 v[4:7], v30 offset0:2 offset1:3
	s_waitcnt lgkmcnt(0)
	s_barrier
	buffer_gl0_inv
	ds_store_b64 v29, v[31:32]
	s_waitcnt lgkmcnt(0)
	s_barrier
	buffer_gl0_inv
	s_and_saveexec_b32 s6, s5
	s_cbranch_execz .LBB176_70
; %bb.69:
	v_lshlrev_b32_e32 v38, 3, v28
	ds_load_2addr_b64 v[30:33], v38 offset1:1
	ds_load_2addr_b64 v[34:37], v38 offset0:2 offset1:3
	s_waitcnt lgkmcnt(1)
	v_add_f64 v[18:19], v[18:19], v[30:31]
	s_delay_alu instid0(VALU_DEP_1) | instskip(SKIP_1) | instid1(VALU_DEP_1)
	v_add_f64 v[18:19], v[18:19], v[32:33]
	s_waitcnt lgkmcnt(0)
	v_add_f64 v[18:19], v[18:19], v[34:35]
	s_delay_alu instid0(VALU_DEP_1) | instskip(SKIP_4) | instid1(VALU_DEP_1)
	v_add_f64 v[18:19], v[18:19], v[36:37]
	ds_load_2addr_b64 v[30:33], v38 offset0:4 offset1:5
	ds_load_2addr_b64 v[34:37], v38 offset0:6 offset1:7
	s_waitcnt lgkmcnt(1)
	v_add_f64 v[18:19], v[18:19], v[30:31]
	v_add_f64 v[18:19], v[18:19], v[32:33]
	s_waitcnt lgkmcnt(0)
	s_delay_alu instid0(VALU_DEP_1) | instskip(NEXT) | instid1(VALU_DEP_1)
	v_add_f64 v[18:19], v[18:19], v[34:35]
	v_add_f64 v[18:19], v[18:19], v[36:37]
.LBB176_70:
	s_or_b32 exec_lo, exec_lo, s6
	v_fma_f64 v[8:9], v[12:13], v[8:9], 0
	s_barrier
	buffer_gl0_inv
	v_fma_f64 v[8:9], v[14:15], v[10:11], v[8:9]
	s_delay_alu instid0(VALU_DEP_1) | instskip(NEXT) | instid1(VALU_DEP_1)
	v_fma_f64 v[0:1], v[4:5], v[0:1], v[8:9]
	v_fma_f64 v[0:1], v[6:7], v[2:3], v[0:1]
	ds_store_b64 v29, v[0:1]
	s_waitcnt lgkmcnt(0)
	s_barrier
	buffer_gl0_inv
	s_and_saveexec_b32 s5, s4
	s_cbranch_execz .LBB176_72
; %bb.71:
	v_lshlrev_b32_e32 v10, 3, v28
	ds_load_2addr_b64 v[0:3], v10 offset1:1
	ds_load_2addr_b64 v[4:7], v10 offset0:2 offset1:3
	s_waitcnt lgkmcnt(1)
	v_add_f64 v[0:1], v[18:19], v[0:1]
	s_delay_alu instid0(VALU_DEP_1) | instskip(SKIP_1) | instid1(VALU_DEP_1)
	v_add_f64 v[0:1], v[0:1], v[2:3]
	s_waitcnt lgkmcnt(0)
	v_add_f64 v[0:1], v[0:1], v[4:5]
	s_delay_alu instid0(VALU_DEP_1) | instskip(SKIP_4) | instid1(VALU_DEP_1)
	v_add_f64 v[8:9], v[0:1], v[6:7]
	ds_load_2addr_b64 v[0:3], v10 offset0:4 offset1:5
	ds_load_2addr_b64 v[4:7], v10 offset0:6 offset1:7
	s_waitcnt lgkmcnt(1)
	v_add_f64 v[0:1], v[8:9], v[0:1]
	v_add_f64 v[0:1], v[0:1], v[2:3]
	s_waitcnt lgkmcnt(0)
	s_delay_alu instid0(VALU_DEP_1) | instskip(NEXT) | instid1(VALU_DEP_1)
	v_add_f64 v[0:1], v[0:1], v[4:5]
	v_add_f64 v[18:19], v[0:1], v[6:7]
.LBB176_72:
	s_or_b32 exec_lo, exec_lo, s5
	s_load_b64 s[0:1], s[0:1], 0x68
	s_mul_hi_u32 s4, s15, s18
	s_mul_i32 s28, s28, s18
	s_mul_i32 s5, s15, s18
	s_add_i32 s4, s4, s28
	s_mul_hi_u32 s6, s5, s19
	s_mul_i32 s7, s4, s19
	s_mul_i32 s4, s5, s19
	s_add_i32 s5, s6, s7
	s_mul_i32 s6, s14, s15
	s_lshl_b64 s[4:5], s[4:5], 3
	v_cmp_le_i32_e32 vcc_lo, s22, v26
	v_lshlrev_b32_e32 v73, 3, v26
	s_waitcnt lgkmcnt(0)
	s_barrier
	buffer_gl0_inv
	s_add_u32 s4, s0, s4
	s_addc_u32 s5, s1, s5
	s_ashr_i32 s7, s6, 31
	s_delay_alu instid0(SALU_CYCLE_1) | instskip(NEXT) | instid1(SALU_CYCLE_1)
	s_lshl_b64 s[0:1], s[6:7], 3
	s_add_u32 s15, s4, s0
	s_addc_u32 s26, s5, s1
	s_and_b32 vcc_lo, s29, vcc_lo
	s_cmp_lt_i32 s14, 1
	s_cbranch_scc1 .LBB176_79
; %bb.73:
	v_lshlrev_b32_e32 v1, 2, v72
	s_mul_i32 s1, s20, s11
	s_mul_hi_u32 s5, s20, s10
	s_ashr_i32 s23, s22, 31
	s_mul_i32 s8, s21, s10
	v_mad_u64_u32 v[2:3], null, v1, s16, 0
	s_add_i32 s1, s5, s1
	s_lshl_b64 s[6:7], s[22:23], 3
	s_add_i32 s5, s1, s8
	s_mul_i32 s1, s17, 24
	s_mul_hi_u32 s18, s16, 24
	s_mul_i32 s4, s20, s10
	s_delay_alu instid0(VALU_DEP_1)
	v_mov_b32_e32 v0, v3
	s_add_i32 s20, s18, s1
	s_mul_i32 s1, s17, 0x90
	s_mul_hi_u32 s22, s16, 0x90
	v_and_b32_e32 v7, 48, v26
	v_mad_u64_u32 v[3:4], null, v1, s17, v[0:1]
	v_sub_co_u32 v0, s0, v24, s24
	s_delay_alu instid0(VALU_DEP_1) | instskip(SKIP_1) | instid1(VALU_DEP_2)
	v_subrev_co_ci_u32_e64 v4, s0, s25, v25, s0
	s_add_i32 s22, s22, s1
	v_sub_co_u32 v0, s0, v0, v22
	s_delay_alu instid0(VALU_DEP_4) | instskip(NEXT) | instid1(VALU_DEP_3)
	v_lshlrev_b64 v[2:3], 3, v[2:3]
	v_sub_co_ci_u32_e64 v4, s0, v4, v23, s0
	s_mul_i32 s1, s17, 0x98
	s_mul_hi_u32 s24, s16, 0x98
	s_mul_hi_u32 s27, s16, 0x110
	s_delay_alu instid0(VALU_DEP_2) | instskip(NEXT) | instid1(VALU_DEP_1)
	v_add_co_u32 v0, s0, v0, v2
	v_add_co_ci_u32_e64 v2, s0, v4, v3, s0
	s_add_i32 s24, s24, s1
	s_delay_alu instid0(VALU_DEP_2) | instskip(NEXT) | instid1(VALU_DEP_1)
	v_add_co_u32 v0, s0, 0xffffff00, v0
	v_add_co_ci_u32_e64 v2, s0, -1, v2, s0
	s_mul_i32 s1, s17, 0x110
	s_delay_alu instid0(VALU_DEP_2) | instskip(NEXT) | instid1(VALU_DEP_1)
	v_add_co_u32 v3, s0, v0, s6
	v_add_co_ci_u32_e64 v8, s0, s7, v2, s0
	v_add_co_u32 v0, s0, v0, v73
	s_delay_alu instid0(VALU_DEP_1) | instskip(NEXT) | instid1(VALU_DEP_4)
	v_add_co_ci_u32_e64 v2, s0, 0, v2, s0
	v_add_co_u32 v9, s0, v3, -8
	s_add_i32 s27, s27, s1
	s_mul_i32 s1, s17, 0x118
	s_mul_hi_u32 s29, s16, 0x118
	v_and_b32_e32 v5, 15, v26
	v_lshrrev_b32_e32 v6, 4, v27
	v_lshlrev_b32_e32 v4, 3, v7
	v_add_co_ci_u32_e64 v3, s0, -1, v8, s0
	s_add_i32 s29, s29, s1
	s_mul_i32 s1, s17, 0x180
	s_mul_hi_u32 s31, s16, 0x180
	s_mul_hi_u32 s34, s16, 0x190
	s_add_i32 s31, s31, s1
	s_mul_i32 s1, s17, 0x190
	s_lshl_b64 s[4:5], s[4:5], 3
	v_dual_cndmask_b32 v3, v2, v3 :: v_dual_lshlrev_b32 v8, 5, v6
	v_cndmask_b32_e32 v2, v0, v9, vcc_lo
	v_or_b32_e32 v0, 0x78, v73
	v_mad_u32_u24 v78, 0x218, v5, v4
	v_lshlrev_b32_e32 v4, 3, v6
	s_add_i32 s34, s34, s1
	s_mul_i32 s1, s17, 0x198
	s_mul_hi_u32 s36, s16, 0x198
	v_sub_co_u32 v76, s0, v20, s4
	s_add_i32 s36, s36, s1
	s_mul_i32 s1, s17, 0x188
	s_mul_hi_u32 s38, s16, 0x188
	v_subrev_co_ci_u32_e64 v77, s0, s5, v21, s0
	s_add_i32 s38, s38, s1
	s_mul_i32 s1, s17, 0x108
	s_mul_hi_u32 s40, s16, 0x108
	v_dual_mov_b32 v1, 0 :: v_dual_add_nc_u32 v74, 0x2180, v73
	v_add_nc_u32_e32 v75, 0x2380, v73
	v_cmp_gt_u32_e64 s0, 64, v27
	v_mad_u32_u24 v79, 0x218, v5, v0
	v_mad_u32_u24 v80, 0x218, v5, v8
	v_lshl_add_u32 v81, v72, 5, 0x2180
	v_mad_u32_u24 v82, 0x860, v72, v73
	v_mad_u32_u24 v83, 0x218, v5, v4
	v_or_b32_e32 v84, v7, v5
	s_lshl_b64 s[4:5], s[16:17], 3
	s_lshl_b64 s[6:7], s[16:17], 4
	;; [unrolled: 1-line block ×4, first 2 shown]
	s_add_i32 s40, s40, s1
	s_mul_i32 s1, s17, 0x88
	s_mul_hi_u32 s17, s16, 0x88
	s_mul_i32 s21, s16, 24
	s_mul_i32 s23, s16, 0x90
	;; [unrolled: 1-line block ×10, first 2 shown]
	s_add_i32 s17, s17, s1
	s_mulk_i32 s16, 0x88
	s_mov_b32 s42, 0
	s_branch .LBB176_75
.LBB176_74:                             ;   in Loop: Header=BB176_75 Depth=1
	s_or_b32 exec_lo, exec_lo, s43
	v_fma_f64 v[4:5], v[4:5], v[12:13], v[18:19]
	v_add_co_u32 v2, s1, v2, s8
	s_delay_alu instid0(VALU_DEP_1)
	v_add_co_ci_u32_e64 v3, s1, s9, v3, s1
	s_add_i32 s14, s14, -1
	s_add_i32 s42, s42, 64
	s_cmp_eq_u32 s14, 0
	s_waitcnt_vscnt null, 0x0
	s_barrier
	buffer_gl0_inv
	v_fma_f64 v[4:5], v[6:7], v[14:15], v[4:5]
	s_delay_alu instid0(VALU_DEP_1) | instskip(NEXT) | instid1(VALU_DEP_1)
	v_fma_f64 v[4:5], v[8:9], v[20:21], v[4:5]
	v_fma_f64 v[4:5], v[10:11], v[22:23], v[4:5]
	s_delay_alu instid0(VALU_DEP_1) | instskip(NEXT) | instid1(VALU_DEP_1)
	v_fma_f64 v[4:5], v[24:25], v[32:33], v[4:5]
	;; [unrolled: 3-line block ×7, first 2 shown]
	v_fma_f64 v[18:19], v[62:63], v[70:71], v[4:5]
	s_cbranch_scc1 .LBB176_79
.LBB176_75:                             ; =>This Inner Loop Header: Depth=1
	s_and_saveexec_b32 s43, s3
	s_cbranch_execz .LBB176_77
; %bb.76:                               ;   in Loop: Header=BB176_75 Depth=1
	s_mul_i32 s1, s42, s11
	s_mul_hi_u32 s45, s42, s10
	s_mul_i32 s44, s42, s10
	s_add_i32 s45, s45, s1
	s_delay_alu instid0(SALU_CYCLE_1) | instskip(NEXT) | instid1(SALU_CYCLE_1)
	s_lshl_b64 s[44:45], s[44:45], 3
	v_add_co_u32 v4, s1, v76, s44
	s_delay_alu instid0(VALU_DEP_1)
	v_add_co_ci_u32_e64 v5, s1, s45, v77, s1
	flat_load_b64 v[4:5], v[4:5]
	s_waitcnt vmcnt(0) lgkmcnt(0)
	ds_store_b64 v74, v[4:5]
.LBB176_77:                             ;   in Loop: Header=BB176_75 Depth=1
	s_or_b32 exec_lo, exec_lo, s43
	v_add_co_u32 v6, s1, v2, s4
	s_delay_alu instid0(VALU_DEP_1) | instskip(SKIP_1) | instid1(VALU_DEP_1)
	v_add_co_ci_u32_e64 v7, s1, s5, v3, s1
	v_add_co_u32 v8, s1, v2, s6
	v_add_co_ci_u32_e64 v9, s1, s7, v3, s1
	v_add_co_u32 v10, s1, v2, s21
	s_waitcnt lgkmcnt(0)
	s_barrier
	buffer_gl0_inv
	flat_load_b64 v[4:5], v[2:3]
	v_add_co_ci_u32_e64 v11, s1, s20, v3, s1
	s_clause 0x2
	flat_load_b64 v[6:7], v[6:7]
	flat_load_b64 v[8:9], v[8:9]
	;; [unrolled: 1-line block ×3, first 2 shown]
	ds_load_b64 v[14:15], v75
	ds_load_b64 v[12:13], v81
	v_add_co_u32 v28, s1, v2, s18
	s_delay_alu instid0(VALU_DEP_1) | instskip(SKIP_1) | instid1(VALU_DEP_1)
	v_add_co_ci_u32_e64 v29, s1, s19, v3, s1
	v_add_co_u32 v30, s1, v2, s16
	v_add_co_ci_u32_e64 v31, s1, s17, v3, s1
	v_add_co_u32 v32, s1, v2, s23
	s_delay_alu instid0(VALU_DEP_1) | instskip(SKIP_1) | instid1(VALU_DEP_1)
	v_add_co_ci_u32_e64 v33, s1, s22, v3, s1
	v_add_co_u32 v34, s1, v2, s25
	v_add_co_ci_u32_e64 v35, s1, s24, v3, s1
	;; [unrolled: 5-line block ×6, first 2 shown]
	s_waitcnt vmcnt(3) lgkmcnt(1)
	v_mul_f64 v[20:21], v[4:5], v[14:15]
	s_waitcnt vmcnt(2)
	v_mul_f64 v[22:23], v[6:7], v[14:15]
	s_waitcnt vmcnt(1)
	;; [unrolled: 2-line block ×3, first 2 shown]
	v_mul_f64 v[26:27], v[10:11], v[14:15]
	ds_store_b64 v82, v[20:21]
	ds_load_b64 v[14:15], v81 offset:8
	ds_store_b64 v82, v[22:23] offset:536
	ds_load_b64 v[20:21], v81 offset:16
	ds_store_b64 v82, v[24:25] offset:1072
	ds_load_b64 v[22:23], v81 offset:24
	ds_store_b64 v82, v[26:27] offset:1608
	s_waitcnt lgkmcnt(0)
	s_barrier
	buffer_gl0_inv
	ds_load_2addr_b64 v[85:88], v80 offset1:1
	ds_load_2addr_b64 v[89:92], v80 offset0:2 offset1:3
	s_waitcnt lgkmcnt(0)
	s_barrier
	buffer_gl0_inv
	s_clause 0x3
	flat_load_b64 v[24:25], v[28:29]
	flat_load_b64 v[26:27], v[30:31]
	flat_load_b64 v[28:29], v[32:33]
	flat_load_b64 v[30:31], v[34:35]
	ds_load_b64 v[34:35], v75
	ds_load_b64 v[32:33], v81 offset:128
	v_add_f64 v[85:86], v[85:86], 0
	s_delay_alu instid0(VALU_DEP_1) | instskip(NEXT) | instid1(VALU_DEP_1)
	v_add_f64 v[85:86], v[85:86], v[87:88]
	v_add_f64 v[85:86], v[85:86], v[89:90]
	s_delay_alu instid0(VALU_DEP_1)
	v_add_f64 v[85:86], v[85:86], v[91:92]
	s_waitcnt vmcnt(2) lgkmcnt(1)
	v_mul_f64 v[38:39], v[26:27], v[34:35]
	v_mul_f64 v[36:37], v[24:25], v[34:35]
	s_waitcnt vmcnt(1)
	v_mul_f64 v[40:41], v[28:29], v[34:35]
	s_waitcnt vmcnt(0)
	v_mul_f64 v[42:43], v[30:31], v[34:35]
	ds_store_b64 v82, v[36:37]
	ds_load_b64 v[34:35], v81 offset:136
	ds_store_b64 v82, v[38:39] offset:536
	ds_load_b64 v[36:37], v81 offset:144
	ds_store_b64 v82, v[40:41] offset:1072
	ds_load_b64 v[38:39], v81 offset:152
	ds_store_b64 v82, v[42:43] offset:1608
	s_waitcnt lgkmcnt(0)
	s_barrier
	buffer_gl0_inv
	ds_load_2addr_b64 v[93:96], v80 offset1:1
	ds_load_2addr_b64 v[97:100], v80 offset0:2 offset1:3
	s_waitcnt lgkmcnt(0)
	s_barrier
	buffer_gl0_inv
	s_clause 0x3
	flat_load_b64 v[40:41], v[44:45]
	flat_load_b64 v[42:43], v[46:47]
	flat_load_b64 v[44:45], v[48:49]
	flat_load_b64 v[46:47], v[50:51]
	ds_load_b64 v[50:51], v75
	ds_load_b64 v[48:49], v81 offset:256
	v_add_f64 v[93:94], v[93:94], 0
	s_delay_alu instid0(VALU_DEP_1) | instskip(NEXT) | instid1(VALU_DEP_1)
	v_add_f64 v[87:88], v[93:94], v[95:96]
	v_add_f64 v[87:88], v[87:88], v[97:98]
	s_delay_alu instid0(VALU_DEP_1)
	v_add_f64 v[87:88], v[87:88], v[99:100]
	s_waitcnt vmcnt(2) lgkmcnt(1)
	v_mul_f64 v[54:55], v[42:43], v[50:51]
	v_mul_f64 v[52:53], v[40:41], v[50:51]
	s_waitcnt vmcnt(1)
	v_mul_f64 v[56:57], v[44:45], v[50:51]
	s_waitcnt vmcnt(0)
	;; [unrolled: 35-line block ×3, first 2 shown]
	v_mul_f64 v[111:112], v[62:63], v[66:67]
	ds_store_b64 v82, v[68:69]
	ds_load_b64 v[66:67], v81 offset:392
	ds_store_b64 v82, v[70:71] offset:536
	ds_load_b64 v[68:69], v81 offset:400
	ds_store_b64 v82, v[109:110] offset:1072
	;; [unrolled: 2-line block ×3, first 2 shown]
	s_waitcnt lgkmcnt(0)
	s_barrier
	buffer_gl0_inv
	ds_load_2addr_b64 v[109:112], v80 offset1:1
	ds_load_2addr_b64 v[113:116], v80 offset0:2 offset1:3
	s_waitcnt lgkmcnt(0)
	s_barrier
	buffer_gl0_inv
	v_add_f64 v[109:110], v[109:110], 0
	s_delay_alu instid0(VALU_DEP_1) | instskip(NEXT) | instid1(VALU_DEP_1)
	v_add_f64 v[95:96], v[109:110], v[111:112]
	v_add_f64 v[93:94], v[95:96], v[113:114]
	s_delay_alu instid0(VALU_DEP_1)
	v_add_f64 v[91:92], v[93:94], v[115:116]
	ds_store_2addr_b64 v83, v[85:86], v[87:88] offset1:16
	ds_store_2addr_b64 v83, v[89:90], v[91:92] offset0:32 offset1:48
	s_waitcnt lgkmcnt(0)
	s_barrier
	buffer_gl0_inv
	s_and_saveexec_b32 s43, s0
	s_cbranch_execz .LBB176_74
; %bb.78:                               ;   in Loop: Header=BB176_75 Depth=1
	ds_load_2addr_b64 v[85:88], v78 offset1:1
	ds_load_2addr_b64 v[89:92], v78 offset0:2 offset1:3
	v_add_nc_u32_e32 v0, s42, v84
	s_waitcnt lgkmcnt(1)
	v_add_f64 v[85:86], v[85:86], v[87:88]
	s_waitcnt lgkmcnt(0)
	s_delay_alu instid0(VALU_DEP_1) | instskip(NEXT) | instid1(VALU_DEP_1)
	v_add_f64 v[85:86], v[85:86], v[89:90]
	v_add_f64 v[93:94], v[85:86], v[91:92]
	ds_load_2addr_b64 v[85:88], v78 offset0:4 offset1:5
	ds_load_2addr_b64 v[89:92], v78 offset0:6 offset1:7
	s_waitcnt lgkmcnt(1)
	v_add_f64 v[85:86], v[93:94], v[85:86]
	s_delay_alu instid0(VALU_DEP_1) | instskip(SKIP_1) | instid1(VALU_DEP_1)
	v_add_f64 v[85:86], v[85:86], v[87:88]
	s_waitcnt lgkmcnt(0)
	v_add_f64 v[85:86], v[85:86], v[89:90]
	s_delay_alu instid0(VALU_DEP_1) | instskip(SKIP_4) | instid1(VALU_DEP_1)
	v_add_f64 v[93:94], v[85:86], v[91:92]
	ds_load_2addr_b64 v[85:88], v78 offset0:8 offset1:9
	ds_load_2addr_b64 v[89:92], v78 offset0:10 offset1:11
	s_waitcnt lgkmcnt(1)
	v_add_f64 v[85:86], v[93:94], v[85:86]
	v_add_f64 v[85:86], v[85:86], v[87:88]
	s_waitcnt lgkmcnt(0)
	s_delay_alu instid0(VALU_DEP_1) | instskip(NEXT) | instid1(VALU_DEP_1)
	v_add_f64 v[85:86], v[85:86], v[89:90]
	v_add_f64 v[89:90], v[85:86], v[91:92]
	ds_load_2addr_b64 v[85:88], v78 offset0:12 offset1:13
	ds_load_b64 v[91:92], v78 offset:112
	s_waitcnt lgkmcnt(1)
	v_add_f64 v[85:86], v[89:90], v[85:86]
	s_delay_alu instid0(VALU_DEP_1) | instskip(SKIP_4) | instid1(VALU_DEP_1)
	v_add_f64 v[85:86], v[85:86], v[87:88]
	ds_load_b64 v[87:88], v79
	s_waitcnt lgkmcnt(1)
	v_add_f64 v[85:86], v[85:86], v[91:92]
	s_waitcnt lgkmcnt(0)
	v_add_f64 v[85:86], v[85:86], v[87:88]
	v_lshlrev_b64 v[87:88], 3, v[0:1]
	s_delay_alu instid0(VALU_DEP_1) | instskip(NEXT) | instid1(VALU_DEP_1)
	v_add_co_u32 v87, s1, s15, v87
	v_add_co_ci_u32_e64 v88, s1, s26, v88, s1
	global_store_b64 v[87:88], v[85:86], off
	s_branch .LBB176_74
.LBB176_79:
	v_mad_u32_u24 v0, 0x218, v72, v73
	s_or_b32 s0, s2, vcc_lo
	s_delay_alu instid0(SALU_CYCLE_1)
	s_xor_b32 s0, s0, -1
	ds_store_b64 v0, v[18:19]
	s_waitcnt lgkmcnt(0)
	s_barrier
	buffer_gl0_inv
	s_and_saveexec_b32 s1, s0
	s_cbranch_execz .LBB176_6
; %bb.80:
	ds_load_2addr_b64 v[0:3], v73 offset1:67
	s_waitcnt lgkmcnt(0)
	v_add_f64 v[4:5], v[0:1], v[2:3]
	ds_load_2addr_b64 v[0:3], v73 offset0:134 offset1:201
	s_waitcnt lgkmcnt(0)
	v_add_f64 v[0:1], v[4:5], v[0:1]
	s_delay_alu instid0(VALU_DEP_1) | instskip(SKIP_1) | instid1(VALU_DEP_1)
	v_add_f64 v[0:1], v[0:1], v[2:3]
	v_lshlrev_b64 v[2:3], 3, v[16:17]
	v_add_co_u32 v2, vcc_lo, s15, v2
	s_delay_alu instid0(VALU_DEP_2)
	v_add_co_ci_u32_e32 v3, vcc_lo, s26, v3, vcc_lo
	global_store_b64 v[2:3], v[0:1], off
	s_nop 0
	s_sendmsg sendmsg(MSG_DEALLOC_VGPRS)
	s_endpgm
	.section	.rodata,"a",@progbits
	.p2align	6, 0x0
	.amdhsa_kernel _ZL26rocblas_hemvn_kernel_lowerILb0ELi64ELi4ELi33ELi32ELi16EldPKPKdPdEviT6_lT7_lT5_lS6_lS7_lS5_lT8_i
		.amdhsa_group_segment_fixed_size 9600
		.amdhsa_private_segment_fixed_size 0
		.amdhsa_kernarg_size 376
		.amdhsa_user_sgpr_count 14
		.amdhsa_user_sgpr_dispatch_ptr 0
		.amdhsa_user_sgpr_queue_ptr 0
		.amdhsa_user_sgpr_kernarg_segment_ptr 1
		.amdhsa_user_sgpr_dispatch_id 0
		.amdhsa_user_sgpr_private_segment_size 0
		.amdhsa_wavefront_size32 1
		.amdhsa_uses_dynamic_stack 0
		.amdhsa_enable_private_segment 0
		.amdhsa_system_sgpr_workgroup_id_x 1
		.amdhsa_system_sgpr_workgroup_id_y 0
		.amdhsa_system_sgpr_workgroup_id_z 1
		.amdhsa_system_sgpr_workgroup_info 0
		.amdhsa_system_vgpr_workitem_id 1
		.amdhsa_next_free_vgpr 117
		.amdhsa_next_free_sgpr 46
		.amdhsa_reserve_vcc 1
		.amdhsa_float_round_mode_32 0
		.amdhsa_float_round_mode_16_64 0
		.amdhsa_float_denorm_mode_32 3
		.amdhsa_float_denorm_mode_16_64 3
		.amdhsa_dx10_clamp 1
		.amdhsa_ieee_mode 1
		.amdhsa_fp16_overflow 0
		.amdhsa_workgroup_processor_mode 1
		.amdhsa_memory_ordered 1
		.amdhsa_forward_progress 0
		.amdhsa_shared_vgpr_count 0
		.amdhsa_exception_fp_ieee_invalid_op 0
		.amdhsa_exception_fp_denorm_src 0
		.amdhsa_exception_fp_ieee_div_zero 0
		.amdhsa_exception_fp_ieee_overflow 0
		.amdhsa_exception_fp_ieee_underflow 0
		.amdhsa_exception_fp_ieee_inexact 0
		.amdhsa_exception_int_div_zero 0
	.end_amdhsa_kernel
	.section	.text._ZL26rocblas_hemvn_kernel_lowerILb0ELi64ELi4ELi33ELi32ELi16EldPKPKdPdEviT6_lT7_lT5_lS6_lS7_lS5_lT8_i,"axG",@progbits,_ZL26rocblas_hemvn_kernel_lowerILb0ELi64ELi4ELi33ELi32ELi16EldPKPKdPdEviT6_lT7_lT5_lS6_lS7_lS5_lT8_i,comdat
.Lfunc_end176:
	.size	_ZL26rocblas_hemvn_kernel_lowerILb0ELi64ELi4ELi33ELi32ELi16EldPKPKdPdEviT6_lT7_lT5_lS6_lS7_lS5_lT8_i, .Lfunc_end176-_ZL26rocblas_hemvn_kernel_lowerILb0ELi64ELi4ELi33ELi32ELi16EldPKPKdPdEviT6_lT7_lT5_lS6_lS7_lS5_lT8_i
                                        ; -- End function
	.section	.AMDGPU.csdata,"",@progbits
; Kernel info:
; codeLenInByte = 7256
; NumSgprs: 48
; NumVgprs: 117
; ScratchSize: 0
; MemoryBound: 0
; FloatMode: 240
; IeeeMode: 1
; LDSByteSize: 9600 bytes/workgroup (compile time only)
; SGPRBlocks: 5
; VGPRBlocks: 14
; NumSGPRsForWavesPerEU: 48
; NumVGPRsForWavesPerEU: 117
; Occupancy: 12
; WaveLimiterHint : 1
; COMPUTE_PGM_RSRC2:SCRATCH_EN: 0
; COMPUTE_PGM_RSRC2:USER_SGPR: 14
; COMPUTE_PGM_RSRC2:TRAP_HANDLER: 0
; COMPUTE_PGM_RSRC2:TGID_X_EN: 1
; COMPUTE_PGM_RSRC2:TGID_Y_EN: 0
; COMPUTE_PGM_RSRC2:TGID_Z_EN: 1
; COMPUTE_PGM_RSRC2:TIDIG_COMP_CNT: 1
	.section	.text._ZL36rocblas_hemvn_kernel_lower_block_sumILi64EldPKPddEviT1_lS3_lT2_lT0_lPT3_i,"axG",@progbits,_ZL36rocblas_hemvn_kernel_lower_block_sumILi64EldPKPddEviT1_lS3_lT2_lT0_lPT3_i,comdat
	.globl	_ZL36rocblas_hemvn_kernel_lower_block_sumILi64EldPKPddEviT1_lS3_lT2_lT0_lPT3_i ; -- Begin function _ZL36rocblas_hemvn_kernel_lower_block_sumILi64EldPKPddEviT1_lS3_lT2_lT0_lPT3_i
	.p2align	8
	.type	_ZL36rocblas_hemvn_kernel_lower_block_sumILi64EldPKPddEviT1_lS3_lT2_lT0_lPT3_i,@function
_ZL36rocblas_hemvn_kernel_lower_block_sumILi64EldPKPddEviT1_lS3_lT2_lT0_lPT3_i: ; @_ZL36rocblas_hemvn_kernel_lower_block_sumILi64EldPKPddEviT1_lS3_lT2_lT0_lPT3_i
; %bb.0:
	s_clause 0x1
	s_load_b64 s[10:11], s[0:1], 0x8
	s_load_b64 s[12:13], s[0:1], 0x18
	s_waitcnt lgkmcnt(0)
	v_cmp_eq_f64_e64 s2, s[10:11], 0
	v_cmp_eq_f64_e64 s3, s[12:13], 1.0
	s_delay_alu instid0(VALU_DEP_1) | instskip(NEXT) | instid1(SALU_CYCLE_1)
	s_and_b32 s2, s2, s3
	s_and_b32 vcc_lo, exec_lo, s2
	s_cbranch_vccnz .LBB177_19
; %bb.1:
	s_clause 0x1
	s_load_b64 s[2:3], s[0:1], 0x28
	s_load_b32 s16, s[0:1], 0x0
	s_mov_b32 s8, s15
	v_cmp_neq_f64_e64 s15, s[10:11], 0
	s_mov_b32 s9, 0
	s_load_b128 s[4:7], s[0:1], 0x30
	s_lshl_b64 s[18:19], s[8:9], 3
	v_lshl_or_b32 v0, s14, 6, v0
	s_waitcnt lgkmcnt(0)
	s_add_u32 s2, s2, s18
	s_addc_u32 s3, s3, s19
	s_load_b64 s[18:19], s[2:3], 0x0
	v_cmp_gt_i32_e64 s2, s16, v0
	s_lshl_b64 s[4:5], s[4:5], 3
	s_waitcnt lgkmcnt(0)
	s_add_u32 s3, s18, s4
	s_addc_u32 s4, s19, s5
	s_delay_alu instid0(VALU_DEP_3)
	s_and_b32 vcc_lo, exec_lo, s15
	s_cbranch_vccnz .LBB177_6
; %bb.2:
	s_mov_b32 s5, 0
                                        ; implicit-def: $vgpr3_vgpr4
                                        ; implicit-def: $vgpr1_vgpr2
	s_and_saveexec_b32 s15, s2
	s_cbranch_execz .LBB177_7
; %bb.3:
	v_cmp_eq_f64_e64 s2, s[12:13], 0
	v_ashrrev_i32_e32 v1, 31, v0
	v_mul_lo_u32 v3, v0, s7
	s_delay_alu instid0(VALU_DEP_2) | instskip(SKIP_1) | instid1(VALU_DEP_1)
	v_mul_lo_u32 v4, v1, s6
	v_mad_u64_u32 v[1:2], null, v0, s6, 0
	v_add3_u32 v2, v2, v3, v4
	v_mov_b32_e32 v3, 0
	v_mov_b32_e32 v4, 0
	s_and_b32 vcc_lo, exec_lo, s2
	s_cbranch_vccnz .LBB177_5
; %bb.4:
	s_delay_alu instid0(VALU_DEP_4) | instskip(NEXT) | instid1(VALU_DEP_1)
	v_lshlrev_b64 v[3:4], 3, v[1:2]
	v_add_co_u32 v3, vcc_lo, s3, v3
	s_delay_alu instid0(VALU_DEP_2)
	v_add_co_ci_u32_e32 v4, vcc_lo, s4, v4, vcc_lo
	global_load_b64 v[3:4], v[3:4], off
	s_waitcnt vmcnt(0)
	v_mul_f64 v[3:4], v[3:4], s[12:13]
.LBB177_5:
	s_mov_b32 s9, exec_lo
	s_or_b32 exec_lo, exec_lo, s15
	s_delay_alu instid0(SALU_CYCLE_1)
	s_and_b32 vcc_lo, exec_lo, s5
	s_cbranch_vccnz .LBB177_8
	s_branch .LBB177_17
.LBB177_6:
                                        ; implicit-def: $vgpr3_vgpr4
                                        ; implicit-def: $vgpr1_vgpr2
	s_cbranch_execnz .LBB177_8
	s_branch .LBB177_17
.LBB177_7:
	s_or_b32 exec_lo, exec_lo, s15
	s_delay_alu instid0(SALU_CYCLE_1)
	s_and_b32 vcc_lo, exec_lo, s5
	s_cbranch_vccz .LBB177_17
.LBB177_8:
	s_mov_b32 s2, exec_lo
                                        ; implicit-def: $vgpr3_vgpr4
                                        ; implicit-def: $vgpr1_vgpr2
	v_cmpx_gt_i32_e64 s16, v0
	s_cbranch_execz .LBB177_16
; %bb.9:
	s_load_b32 s5, s[0:1], 0x58
	v_mov_b32_e32 v5, 0
	v_mov_b32_e32 v6, 0
	s_waitcnt lgkmcnt(0)
	s_cmp_ge_i32 s14, s5
	s_cbranch_scc1 .LBB177_12
; %bb.10:
	s_load_b64 s[0:1], s[0:1], 0x48
	v_mad_u64_u32 v[1:2], null, s14, s16, v[0:1]
	s_ashr_i32 s17, s16, 31
	s_mul_hi_u32 s15, s16, s8
	s_mul_i32 s18, s17, s8
	s_mul_i32 s8, s16, s8
	s_add_i32 s15, s15, s18
	s_mul_hi_u32 s19, s8, s5
	s_delay_alu instid0(VALU_DEP_1)
	v_ashrrev_i32_e32 v2, 31, v1
	s_mul_i32 s15, s15, s5
	s_mul_i32 s18, s8, s5
	s_add_i32 s19, s19, s15
	v_mov_b32_e32 v5, 0
	v_lshlrev_b64 v[1:2], 3, v[1:2]
	s_lshl_b64 s[18:19], s[18:19], 3
	v_mov_b32_e32 v6, 0
	s_waitcnt lgkmcnt(0)
	s_add_u32 s0, s0, s18
	s_addc_u32 s1, s1, s19
	v_add_co_u32 v1, vcc_lo, s0, v1
	v_add_co_ci_u32_e32 v2, vcc_lo, s1, v2, vcc_lo
	s_lshl_b64 s[0:1], s[16:17], 3
.LBB177_11:                             ; =>This Inner Loop Header: Depth=1
	global_load_b64 v[3:4], v[1:2], off
	v_add_co_u32 v1, vcc_lo, v1, s0
	v_add_co_ci_u32_e32 v2, vcc_lo, s1, v2, vcc_lo
	s_add_i32 s14, s14, 1
	s_delay_alu instid0(SALU_CYCLE_1)
	s_cmp_ge_i32 s14, s5
	s_waitcnt vmcnt(0)
	v_add_f64 v[5:6], v[5:6], v[3:4]
	s_cbranch_scc0 .LBB177_11
.LBB177_12:
	v_cmp_eq_f64_e64 s0, s[12:13], 0
	v_ashrrev_i32_e32 v1, 31, v0
	v_mul_lo_u32 v7, v0, s7
	s_delay_alu instid0(VALU_DEP_2) | instskip(NEXT) | instid1(VALU_DEP_4)
	v_mul_lo_u32 v8, v1, s6
	s_and_b32 vcc_lo, exec_lo, s0
	s_cbranch_vccz .LBB177_20
; %bb.13:
	v_mad_u64_u32 v[1:2], null, v0, s6, 0
	v_mul_f64 v[3:4], v[5:6], s[10:11]
	s_delay_alu instid0(VALU_DEP_2)
	v_add3_u32 v2, v2, v7, v8
	s_cbranch_execnz .LBB177_15
.LBB177_14:
	v_mad_u64_u32 v[1:2], null, v0, s6, 0
	s_delay_alu instid0(VALU_DEP_1) | instskip(NEXT) | instid1(VALU_DEP_1)
	v_add3_u32 v2, v2, v7, v8
	v_lshlrev_b64 v[3:4], 3, v[1:2]
	s_delay_alu instid0(VALU_DEP_1) | instskip(NEXT) | instid1(VALU_DEP_2)
	v_add_co_u32 v3, vcc_lo, s3, v3
	v_add_co_ci_u32_e32 v4, vcc_lo, s4, v4, vcc_lo
	global_load_b64 v[3:4], v[3:4], off
	s_waitcnt vmcnt(0)
	v_mul_f64 v[3:4], v[3:4], s[12:13]
	s_delay_alu instid0(VALU_DEP_1)
	v_fma_f64 v[3:4], v[5:6], s[10:11], v[3:4]
.LBB177_15:
	s_or_b32 s9, s9, exec_lo
.LBB177_16:
	s_or_b32 exec_lo, exec_lo, s2
.LBB177_17:
	s_and_saveexec_b32 s0, s9
	s_cbranch_execz .LBB177_19
; %bb.18:
	v_lshlrev_b64 v[0:1], 3, v[1:2]
	s_delay_alu instid0(VALU_DEP_1) | instskip(NEXT) | instid1(VALU_DEP_2)
	v_add_co_u32 v0, vcc_lo, s3, v0
	v_add_co_ci_u32_e32 v1, vcc_lo, s4, v1, vcc_lo
	global_store_b64 v[0:1], v[3:4], off
.LBB177_19:
	s_nop 0
	s_sendmsg sendmsg(MSG_DEALLOC_VGPRS)
	s_endpgm
.LBB177_20:
                                        ; implicit-def: $vgpr3_vgpr4
                                        ; implicit-def: $vgpr1_vgpr2
	s_branch .LBB177_14
	.section	.rodata,"a",@progbits
	.p2align	6, 0x0
	.amdhsa_kernel _ZL36rocblas_hemvn_kernel_lower_block_sumILi64EldPKPddEviT1_lS3_lT2_lT0_lPT3_i
		.amdhsa_group_segment_fixed_size 0
		.amdhsa_private_segment_fixed_size 0
		.amdhsa_kernarg_size 344
		.amdhsa_user_sgpr_count 14
		.amdhsa_user_sgpr_dispatch_ptr 0
		.amdhsa_user_sgpr_queue_ptr 0
		.amdhsa_user_sgpr_kernarg_segment_ptr 1
		.amdhsa_user_sgpr_dispatch_id 0
		.amdhsa_user_sgpr_private_segment_size 0
		.amdhsa_wavefront_size32 1
		.amdhsa_uses_dynamic_stack 0
		.amdhsa_enable_private_segment 0
		.amdhsa_system_sgpr_workgroup_id_x 1
		.amdhsa_system_sgpr_workgroup_id_y 0
		.amdhsa_system_sgpr_workgroup_id_z 1
		.amdhsa_system_sgpr_workgroup_info 0
		.amdhsa_system_vgpr_workitem_id 0
		.amdhsa_next_free_vgpr 9
		.amdhsa_next_free_sgpr 20
		.amdhsa_reserve_vcc 1
		.amdhsa_float_round_mode_32 0
		.amdhsa_float_round_mode_16_64 0
		.amdhsa_float_denorm_mode_32 3
		.amdhsa_float_denorm_mode_16_64 3
		.amdhsa_dx10_clamp 1
		.amdhsa_ieee_mode 1
		.amdhsa_fp16_overflow 0
		.amdhsa_workgroup_processor_mode 1
		.amdhsa_memory_ordered 1
		.amdhsa_forward_progress 0
		.amdhsa_shared_vgpr_count 0
		.amdhsa_exception_fp_ieee_invalid_op 0
		.amdhsa_exception_fp_denorm_src 0
		.amdhsa_exception_fp_ieee_div_zero 0
		.amdhsa_exception_fp_ieee_overflow 0
		.amdhsa_exception_fp_ieee_underflow 0
		.amdhsa_exception_fp_ieee_inexact 0
		.amdhsa_exception_int_div_zero 0
	.end_amdhsa_kernel
	.section	.text._ZL36rocblas_hemvn_kernel_lower_block_sumILi64EldPKPddEviT1_lS3_lT2_lT0_lPT3_i,"axG",@progbits,_ZL36rocblas_hemvn_kernel_lower_block_sumILi64EldPKPddEviT1_lS3_lT2_lT0_lPT3_i,comdat
.Lfunc_end177:
	.size	_ZL36rocblas_hemvn_kernel_lower_block_sumILi64EldPKPddEviT1_lS3_lT2_lT0_lPT3_i, .Lfunc_end177-_ZL36rocblas_hemvn_kernel_lower_block_sumILi64EldPKPddEviT1_lS3_lT2_lT0_lPT3_i
                                        ; -- End function
	.section	.AMDGPU.csdata,"",@progbits
; Kernel info:
; codeLenInByte = 752
; NumSgprs: 22
; NumVgprs: 9
; ScratchSize: 0
; MemoryBound: 0
; FloatMode: 240
; IeeeMode: 1
; LDSByteSize: 0 bytes/workgroup (compile time only)
; SGPRBlocks: 2
; VGPRBlocks: 1
; NumSGPRsForWavesPerEU: 22
; NumVGPRsForWavesPerEU: 9
; Occupancy: 16
; WaveLimiterHint : 1
; COMPUTE_PGM_RSRC2:SCRATCH_EN: 0
; COMPUTE_PGM_RSRC2:USER_SGPR: 14
; COMPUTE_PGM_RSRC2:TRAP_HANDLER: 0
; COMPUTE_PGM_RSRC2:TGID_X_EN: 1
; COMPUTE_PGM_RSRC2:TGID_Y_EN: 0
; COMPUTE_PGM_RSRC2:TGID_Z_EN: 1
; COMPUTE_PGM_RSRC2:TIDIG_COMP_CNT: 0
	.section	.text._ZL26rocblas_hemvn_kernel_lowerILb0ELi64ELi4ELi33ELi32ELi16EidPKPKdPdEviT6_lT7_lT5_lS6_lS7_lS5_lT8_i,"axG",@progbits,_ZL26rocblas_hemvn_kernel_lowerILb0ELi64ELi4ELi33ELi32ELi16EidPKPKdPdEviT6_lT7_lT5_lS6_lS7_lS5_lT8_i,comdat
	.globl	_ZL26rocblas_hemvn_kernel_lowerILb0ELi64ELi4ELi33ELi32ELi16EidPKPKdPdEviT6_lT7_lT5_lS6_lS7_lS5_lT8_i ; -- Begin function _ZL26rocblas_hemvn_kernel_lowerILb0ELi64ELi4ELi33ELi32ELi16EidPKPKdPdEviT6_lT7_lT5_lS6_lS7_lS5_lT8_i
	.p2align	8
	.type	_ZL26rocblas_hemvn_kernel_lowerILb0ELi64ELi4ELi33ELi32ELi16EidPKPKdPdEviT6_lT7_lT5_lS6_lS7_lS5_lT8_i,@function
_ZL26rocblas_hemvn_kernel_lowerILb0ELi64ELi4ELi33ELi32ELi16EidPKPKdPdEviT6_lT7_lT5_lS6_lS7_lS5_lT8_i: ; @_ZL26rocblas_hemvn_kernel_lowerILb0ELi64ELi4ELi33ELi32ELi16EidPKPKdPdEviT6_lT7_lT5_lS6_lS7_lS5_lT8_i
; %bb.0:
	s_load_b64 s[4:5], s[0:1], 0x84
	s_add_u32 s2, s0, 0x78
	s_addc_u32 s3, s1, 0
	s_waitcnt lgkmcnt(0)
	s_lshr_b32 s6, s4, 16
	s_and_b32 s4, s4, 0xffff
	s_and_b32 s5, s5, 0xffff
	s_mul_i32 s4, s6, s4
	s_delay_alu instid0(SALU_CYCLE_1) | instskip(NEXT) | instid1(SALU_CYCLE_1)
	s_mul_i32 s4, s4, s5
	s_cmpk_lg_i32 s4, 0x100
	s_cbranch_scc1 .LBB178_6
; %bb.1:
	s_clause 0x1
	s_load_b64 s[6:7], s[0:1], 0x8
	s_load_b64 s[4:5], s[0:1], 0x58
	s_waitcnt lgkmcnt(0)
	v_cmp_eq_f64_e64 s8, s[6:7], 0
	v_cmp_eq_f64_e64 s4, s[4:5], 1.0
	s_delay_alu instid0(VALU_DEP_1) | instskip(NEXT) | instid1(SALU_CYCLE_1)
	s_and_b32 s4, s8, s4
	s_and_b32 vcc_lo, exec_lo, s4
	s_mov_b64 s[4:5], 0
	s_cbranch_vccnz .LBB178_6
; %bb.2:
	v_cmp_neq_f64_e64 s6, s[6:7], 0
	s_mov_b32 s12, s15
	s_and_b32 vcc_lo, exec_lo, s8
	s_cbranch_vccnz .LBB178_4
; %bb.3:
	s_load_b128 s[8:11], s[0:1], 0x18
	s_mov_b32 s13, 0
	s_delay_alu instid0(SALU_CYCLE_1)
	s_lshl_b64 s[4:5], s[12:13], 3
	s_waitcnt lgkmcnt(0)
	s_add_u32 s4, s8, s4
	s_addc_u32 s5, s9, s5
	s_lshl_b64 s[8:9], s[10:11], 3
	s_load_b64 s[4:5], s[4:5], 0x0
	s_waitcnt lgkmcnt(0)
	s_add_u32 s4, s4, s8
	s_addc_u32 s5, s5, s9
.LBB178_4:
	s_delay_alu instid0(VALU_DEP_1)
	v_cndmask_b32_e64 v1, 0, 1, s6
	s_and_not1_b32 vcc_lo, exec_lo, s6
	s_cbranch_vccnz .LBB178_7
; %bb.5:
	s_load_b128 s[8:11], s[0:1], 0x38
	s_mov_b32 s13, 0
	s_delay_alu instid0(SALU_CYCLE_1)
	s_lshl_b64 s[6:7], s[12:13], 3
	s_waitcnt lgkmcnt(0)
	s_add_u32 s6, s8, s6
	s_addc_u32 s7, s9, s7
	s_lshl_b64 s[8:9], s[10:11], 3
	s_load_b64 s[6:7], s[6:7], 0x0
	s_waitcnt lgkmcnt(0)
	s_add_u32 s6, s6, s8
	s_addc_u32 s7, s7, s9
	v_cmp_ne_u32_e32 vcc_lo, 1, v1
	s_cbranch_vccz .LBB178_8
.LBB178_6:
	s_endpgm
.LBB178_7:
	s_mov_b64 s[6:7], 0
	s_delay_alu instid0(VALU_DEP_1)
	v_cmp_ne_u32_e32 vcc_lo, 1, v1
	s_cbranch_vccnz .LBB178_6
.LBB178_8:
	s_clause 0x1
	s_load_b32 s13, s[0:1], 0x48
	s_load_b32 s15, s[0:1], 0x0
	v_and_b32_e32 v25, 0x3ff, v0
	s_lshl_b32 s18, s14, 6
	s_load_b32 s26, s[2:3], 0x0
	v_bfe_u32 v71, v0, 10, 10
	s_delay_alu instid0(VALU_DEP_2) | instskip(SKIP_1) | instid1(VALU_DEP_1)
	v_add_nc_u32_e32 v16, s18, v25
	s_waitcnt lgkmcnt(0)
	v_mul_lo_u32 v1, v16, s13
	s_ashr_i32 s27, s15, 31
	s_delay_alu instid0(SALU_CYCLE_1) | instskip(SKIP_4) | instid1(VALU_DEP_2)
	s_lshr_b32 s2, s27, 26
	s_add_i32 s8, s26, -1
	s_add_i32 s3, s15, s2
	v_cmp_ne_u32_e64 s2, 0, v71
	s_and_not1_b32 s3, s3, 63
	v_ashrrev_i32_e32 v2, 31, v1
	s_sub_i32 s9, s15, s3
	v_cmp_eq_u32_e64 s3, 0, v71
	s_cmp_eq_u32 s14, s8
	s_cselect_b32 s16, s9, 0
	v_lshlrev_b64 v[0:1], 3, v[1:2]
	s_delay_alu instid0(VALU_DEP_1) | instskip(NEXT) | instid1(VALU_DEP_2)
	v_add_co_u32 v19, vcc_lo, s6, v0
	v_add_co_ci_u32_e32 v20, vcc_lo, s7, v1, vcc_lo
	s_and_saveexec_b32 s6, s3
	s_cbranch_execz .LBB178_12
; %bb.9:
	v_cmp_gt_i32_e32 vcc_lo, s16, v25
	s_cmp_eq_u32 s16, 0
	v_mov_b32_e32 v0, 0
	v_mov_b32_e32 v1, 0
	s_cselect_b32 s7, -1, 0
	s_delay_alu instid0(SALU_CYCLE_1) | instskip(NEXT) | instid1(SALU_CYCLE_1)
	s_or_b32 s8, s7, vcc_lo
	s_and_saveexec_b32 s7, s8
	s_cbranch_execz .LBB178_11
; %bb.10:
	flat_load_b64 v[0:1], v[19:20]
.LBB178_11:
	s_or_b32 exec_lo, exec_lo, s7
	v_lshlrev_b32_e32 v2, 3, v25
	s_waitcnt vmcnt(0) lgkmcnt(0)
	ds_store_b64 v2, v[0:1] offset:9088
.LBB178_12:
	s_or_b32 exec_lo, exec_lo, s6
	s_load_b32 s10, s[0:1], 0x28
	v_lshl_add_u32 v26, v71, 6, v25
	v_and_b32_e32 v0, 31, v25
	s_ashr_i32 s19, s18, 31
	s_delay_alu instid0(SALU_CYCLE_1) | instskip(NEXT) | instid1(VALU_DEP_2)
	s_lshl_b64 s[6:7], s[18:19], 3
	v_lshrrev_b32_e32 v11, 5, v26
	s_add_u32 s6, s4, s6
	s_addc_u32 s7, s5, s7
	s_waitcnt lgkmcnt(0)
	s_delay_alu instid0(VALU_DEP_1) | instskip(SKIP_1) | instid1(SALU_CYCLE_1)
	v_mad_u64_u32 v[1:2], null, v11, s10, v[0:1]
	s_mul_i32 s4, s18, s10
	s_ashr_i32 s5, s4, 31
	s_delay_alu instid0(SALU_CYCLE_1) | instskip(NEXT) | instid1(SALU_CYCLE_1)
	s_lshl_b64 s[20:21], s[4:5], 3
	s_add_u32 s4, s20, s6
	s_delay_alu instid0(VALU_DEP_1) | instskip(SKIP_3) | instid1(VALU_DEP_1)
	v_ashrrev_i32_e32 v2, 31, v1
	s_addc_u32 s5, s21, s7
	s_cmp_lg_u32 s16, 0
	s_cselect_b32 s19, -1, 0
	v_lshlrev_b64 v[21:22], 3, v[1:2]
	s_cmp_eq_u32 s16, 0
	s_cselect_b32 s9, -1, 0
	s_delay_alu instid0(VALU_DEP_1) | instskip(NEXT) | instid1(VALU_DEP_2)
	v_add_co_u32 v1, vcc_lo, s4, v21
	v_add_co_ci_u32_e32 v2, vcc_lo, s5, v22, vcc_lo
	s_and_b32 vcc_lo, exec_lo, s19
	s_mov_b32 s4, 0
	s_cbranch_vccnz .LBB178_14
; %bb.13:
	flat_load_b64 v[3:4], v[1:2]
	s_lshl_b32 s6, s10, 3
	v_mul_u32_u24_e32 v5, 33, v11
	s_ashr_i32 s7, s6, 31
	s_ashr_i32 s11, s10, 31
	s_lshl_b64 s[6:7], s[6:7], 3
	s_delay_alu instid0(VALU_DEP_1)
	v_add_lshl_u32 v7, v5, v0, 3
	v_add_co_u32 v5, vcc_lo, v1, s6
	v_add_co_ci_u32_e32 v6, vcc_lo, s7, v2, vcc_lo
	s_lshl_b64 s[6:7], s[10:11], 6
	s_waitcnt vmcnt(0) lgkmcnt(0)
	ds_store_b64 v7, v[3:4]
	flat_load_b64 v[3:4], v[5:6]
	v_add_co_u32 v5, vcc_lo, v5, s6
	v_add_co_ci_u32_e32 v6, vcc_lo, s7, v6, vcc_lo
	s_waitcnt vmcnt(0) lgkmcnt(0)
	ds_store_b64 v7, v[3:4] offset:2112
	flat_load_b64 v[3:4], v[5:6]
	v_add_co_u32 v5, vcc_lo, v5, s6
	v_add_co_ci_u32_e32 v6, vcc_lo, s7, v6, vcc_lo
	s_waitcnt vmcnt(0) lgkmcnt(0)
	ds_store_b64 v7, v[3:4] offset:4224
	flat_load_b64 v[3:4], v[5:6]
	s_waitcnt vmcnt(0) lgkmcnt(0)
	ds_store_b64 v7, v[3:4] offset:6336
	s_and_not1_b32 vcc_lo, exec_lo, s4
	s_cbranch_vccz .LBB178_15
	s_branch .LBB178_24
.LBB178_14:
.LBB178_15:
	v_dual_mov_b32 v7, 0 :: v_dual_lshlrev_b32 v12, 3, v0
	s_ashr_i32 s17, s16, 31
	s_mov_b32 s5, exec_lo
	s_lshl_b64 s[6:7], s[16:17], 3
	s_delay_alu instid0(VALU_DEP_1) | instskip(SKIP_1) | instid1(VALU_DEP_2)
	v_sub_co_u32 v3, vcc_lo, v1, v12
	v_subrev_co_ci_u32_e32 v4, vcc_lo, 0, v2, vcc_lo
	v_add_co_u32 v3, vcc_lo, v3, s6
	s_delay_alu instid0(VALU_DEP_2) | instskip(NEXT) | instid1(VALU_DEP_2)
	v_add_co_ci_u32_e32 v4, vcc_lo, s7, v4, vcc_lo
	v_add_co_u32 v3, vcc_lo, v3, -8
	s_delay_alu instid0(VALU_DEP_2) | instskip(SKIP_1) | instid1(VALU_DEP_3)
	v_add_co_ci_u32_e32 v4, vcc_lo, -1, v4, vcc_lo
	v_cmp_gt_i32_e32 vcc_lo, s16, v0
	v_dual_mov_b32 v8, 0 :: v_dual_cndmask_b32 v3, v3, v1
	s_delay_alu instid0(VALU_DEP_3) | instskip(NEXT) | instid1(VALU_DEP_2)
	v_dual_cndmask_b32 v4, v4, v2 :: v_dual_mov_b32 v5, v7
	v_mov_b32_e32 v6, v8
	v_cmpx_gt_i32_e64 s16, v11
	s_cbranch_execz .LBB178_17
; %bb.16:
	flat_load_b64 v[5:6], v[3:4]
.LBB178_17:
	s_or_b32 exec_lo, exec_lo, s5
	v_mul_u32_u24_e32 v9, 33, v11
	v_add_nc_u32_e32 v10, 8, v11
	s_mov_b32 s5, exec_lo
	s_delay_alu instid0(VALU_DEP_2)
	v_add_lshl_u32 v13, v9, v0, 3
	s_waitcnt vmcnt(0) lgkmcnt(0)
	ds_store_b64 v13, v[5:6]
	v_cmpx_gt_i32_e64 s16, v10
	s_cbranch_execz .LBB178_19
; %bb.18:
	s_lshl_b32 s22, s10, 3
	s_delay_alu instid0(SALU_CYCLE_1) | instskip(NEXT) | instid1(SALU_CYCLE_1)
	s_ashr_i32 s23, s22, 31
	s_lshl_b64 s[22:23], s[22:23], 3
	s_delay_alu instid0(SALU_CYCLE_1) | instskip(NEXT) | instid1(VALU_DEP_1)
	v_add_co_u32 v5, s4, v3, s22
	v_add_co_ci_u32_e64 v6, s4, s23, v4, s4
	flat_load_b64 v[7:8], v[5:6]
.LBB178_19:
	s_or_b32 exec_lo, exec_lo, s5
	v_mov_b32_e32 v5, 0
	v_dual_mov_b32 v6, 0 :: v_dual_add_nc_u32 v9, 16, v11
	s_waitcnt vmcnt(0) lgkmcnt(0)
	ds_store_b64 v13, v[7:8] offset:2112
	v_cmp_gt_i32_e64 s4, s16, v9
	v_dual_mov_b32 v10, v6 :: v_dual_mov_b32 v9, v5
	s_delay_alu instid0(VALU_DEP_2)
	s_and_saveexec_b32 s5, s4
	s_cbranch_execz .LBB178_21
; %bb.20:
	s_lshl_b32 s22, s10, 4
	s_delay_alu instid0(SALU_CYCLE_1) | instskip(NEXT) | instid1(SALU_CYCLE_1)
	s_ashr_i32 s23, s22, 31
	s_lshl_b64 s[22:23], s[22:23], 3
	s_delay_alu instid0(SALU_CYCLE_1) | instskip(NEXT) | instid1(VALU_DEP_1)
	v_add_co_u32 v7, s4, v3, s22
	v_add_co_ci_u32_e64 v8, s4, s23, v4, s4
	flat_load_b64 v[9:10], v[7:8]
.LBB178_21:
	s_or_b32 exec_lo, exec_lo, s5
	v_add_nc_u32_e32 v7, 24, v11
	s_mov_b32 s5, exec_lo
	s_waitcnt vmcnt(0) lgkmcnt(0)
	ds_store_b64 v13, v[9:10] offset:4224
	v_cmpx_gt_i32_e64 s16, v7
	s_cbranch_execz .LBB178_23
; %bb.22:
	s_mul_i32 s22, s10, 24
	s_delay_alu instid0(SALU_CYCLE_1) | instskip(NEXT) | instid1(SALU_CYCLE_1)
	s_ashr_i32 s23, s22, 31
	s_lshl_b64 s[22:23], s[22:23], 3
	s_delay_alu instid0(SALU_CYCLE_1) | instskip(NEXT) | instid1(VALU_DEP_1)
	v_add_co_u32 v5, s4, v3, s22
	v_add_co_ci_u32_e64 v6, s4, s23, v4, s4
	flat_load_b64 v[5:6], v[5:6]
.LBB178_23:
	s_or_b32 exec_lo, exec_lo, s5
	v_add_co_u32 v3, s4, v3, v12
	s_delay_alu instid0(VALU_DEP_1) | instskip(SKIP_3) | instid1(VALU_DEP_1)
	v_add_co_ci_u32_e64 v4, s4, 0, v4, s4
	s_waitcnt vmcnt(0) lgkmcnt(0)
	ds_store_b64 v13, v[5:6] offset:6336
	v_sub_co_u32 v3, s4, v3, s6
	v_subrev_co_ci_u32_e64 v4, s4, s7, v4, s4
	s_delay_alu instid0(VALU_DEP_2) | instskip(NEXT) | instid1(VALU_DEP_1)
	v_add_co_u32 v3, s4, v3, 8
	v_add_co_ci_u32_e64 v4, s4, 0, v4, s4
	s_delay_alu instid0(VALU_DEP_1)
	v_dual_cndmask_b32 v1, v3, v1 :: v_dual_cndmask_b32 v2, v4, v2
.LBB178_24:
	v_lshlrev_b32_e32 v3, 2, v11
	v_mul_u32_u24_e32 v27, 33, v0
	v_mul_u32_u24_e32 v4, 0x84, v11
	s_waitcnt lgkmcnt(0)
	s_barrier
	v_cmp_lt_u32_e64 s5, v3, v0
	v_add_lshl_u32 v29, v3, v27, 3
	buffer_gl0_inv
	s_and_saveexec_b32 s4, s5
	s_cbranch_execz .LBB178_26
; %bb.25:
	v_add_lshl_u32 v5, v4, v0, 3
	ds_load_b64 v[5:6], v5
	s_waitcnt lgkmcnt(0)
	ds_store_b64 v29, v[5:6]
.LBB178_26:
	s_or_b32 exec_lo, exec_lo, s4
	v_or_b32_e32 v5, 1, v3
	s_delay_alu instid0(VALU_DEP_1) | instskip(NEXT) | instid1(VALU_DEP_1)
	v_cmp_lt_u32_e64 s6, v5, v0
	s_and_saveexec_b32 s4, s6
	s_cbranch_execz .LBB178_28
; %bb.27:
	v_mul_u32_u24_e32 v5, 33, v5
	s_delay_alu instid0(VALU_DEP_1)
	v_add_lshl_u32 v5, v5, v0, 3
	ds_load_b64 v[5:6], v5
	s_waitcnt lgkmcnt(0)
	ds_store_b64 v29, v[5:6] offset:8
.LBB178_28:
	s_or_b32 exec_lo, exec_lo, s4
	v_or_b32_e32 v5, 2, v3
	s_delay_alu instid0(VALU_DEP_1) | instskip(NEXT) | instid1(VALU_DEP_1)
	v_cmp_lt_u32_e64 s7, v5, v0
	s_and_saveexec_b32 s4, s7
	s_cbranch_execz .LBB178_30
; %bb.29:
	v_mul_u32_u24_e32 v5, 33, v5
	s_delay_alu instid0(VALU_DEP_1)
	v_add_lshl_u32 v5, v5, v0, 3
	ds_load_b64 v[5:6], v5
	s_waitcnt lgkmcnt(0)
	ds_store_b64 v29, v[5:6] offset:16
.LBB178_30:
	s_or_b32 exec_lo, exec_lo, s4
	v_or_b32_e32 v5, 3, v3
	s_delay_alu instid0(VALU_DEP_1) | instskip(SKIP_1) | instid1(VALU_DEP_2)
	v_mad_u32_u24 v6, v5, 33, v0
	v_cmp_lt_u32_e64 s8, v5, v0
	v_lshlrev_b32_e32 v9, 3, v6
	s_delay_alu instid0(VALU_DEP_2)
	s_and_saveexec_b32 s4, s8
	s_cbranch_execz .LBB178_32
; %bb.31:
	ds_load_b64 v[5:6], v9
	s_waitcnt lgkmcnt(0)
	ds_store_b64 v29, v[5:6] offset:24
.LBB178_32:
	s_or_b32 exec_lo, exec_lo, s4
	v_add_lshl_u32 v10, v4, v0, 3
	v_dual_mov_b32 v17, 0 :: v_dual_lshlrev_b32 v12, 3, v3
	s_waitcnt lgkmcnt(0)
	s_barrier
	buffer_gl0_inv
	ds_load_b64 v[7:8], v10
	ds_load_b128 v[3:6], v12 offset:9088
	v_dual_mov_b32 v18, 0 :: v_dual_add_nc_u32 v13, 0xfffffdf0, v9
	v_add_lshl_u32 v28, v11, v27, 3
	v_cmp_gt_u32_e64 s4, 32, v26
	ds_load_2addr_b64 v[30:33], v13 offset1:33
	s_waitcnt lgkmcnt(1)
	v_fma_f64 v[3:4], v[7:8], v[3:4], 0
	s_waitcnt lgkmcnt(0)
	s_delay_alu instid0(VALU_DEP_1)
	v_fma_f64 v[7:8], v[30:31], v[5:6], v[3:4]
	ds_load_b128 v[3:6], v12 offset:9104
	ds_load_b64 v[14:15], v9
	s_waitcnt lgkmcnt(0)
	s_barrier
	buffer_gl0_inv
	v_fma_f64 v[3:4], v[32:33], v[3:4], v[7:8]
	s_delay_alu instid0(VALU_DEP_1)
	v_fma_f64 v[3:4], v[14:15], v[5:6], v[3:4]
	ds_store_b64 v28, v[3:4]
	s_waitcnt lgkmcnt(0)
	s_barrier
	buffer_gl0_inv
	s_and_saveexec_b32 s11, s4
	s_cbranch_execz .LBB178_34
; %bb.33:
	v_lshlrev_b32_e32 v14, 3, v27
	ds_load_2addr_b64 v[3:6], v14 offset1:1
	ds_load_2addr_b64 v[30:33], v14 offset0:2 offset1:3
	s_waitcnt lgkmcnt(1)
	v_add_f64 v[3:4], v[3:4], v[5:6]
	s_waitcnt lgkmcnt(0)
	s_delay_alu instid0(VALU_DEP_1) | instskip(NEXT) | instid1(VALU_DEP_1)
	v_add_f64 v[3:4], v[3:4], v[30:31]
	v_add_f64 v[7:8], v[3:4], v[32:33]
	ds_load_2addr_b64 v[3:6], v14 offset0:4 offset1:5
	ds_load_2addr_b64 v[30:33], v14 offset0:6 offset1:7
	s_waitcnt lgkmcnt(1)
	v_add_f64 v[3:4], v[7:8], v[3:4]
	s_delay_alu instid0(VALU_DEP_1) | instskip(SKIP_1) | instid1(VALU_DEP_1)
	v_add_f64 v[3:4], v[3:4], v[5:6]
	s_waitcnt lgkmcnt(0)
	v_add_f64 v[3:4], v[3:4], v[30:31]
	s_delay_alu instid0(VALU_DEP_1)
	v_add_f64 v[17:18], v[3:4], v[32:33]
.LBB178_34:
	s_or_b32 exec_lo, exec_lo, s11
	s_lshl_b32 s22, s10, 5
	v_cndmask_b32_e64 v14, 0, 1, s9
	s_ashr_i32 s23, s22, 31
	s_delay_alu instid0(SALU_CYCLE_1)
	s_lshl_b64 s[22:23], s[22:23], 3
	s_barrier
	v_add_co_u32 v1, vcc_lo, v1, s22
	v_add_co_ci_u32_e32 v2, vcc_lo, s23, v2, vcc_lo
	buffer_gl0_inv
	v_add_co_u32 v15, vcc_lo, 0x100, v1
	v_add_co_ci_u32_e32 v24, vcc_lo, 0, v2, vcc_lo
	s_and_not1_b32 vcc_lo, exec_lo, s9
	s_cbranch_vccnz .LBB178_36
; %bb.35:
	flat_load_b64 v[3:4], v[1:2] offset:256
	s_lshl_b32 s24, s10, 3
	v_mul_u32_u24_e32 v5, 33, v11
	s_ashr_i32 s25, s24, 31
	s_ashr_i32 s11, s10, 31
	s_lshl_b64 s[24:25], s[24:25], 3
	s_delay_alu instid0(SALU_CYCLE_1)
	v_add_co_u32 v1, vcc_lo, v1, s24
	v_add_lshl_u32 v5, v5, v0, 3
	v_add_co_ci_u32_e32 v2, vcc_lo, s25, v2, vcc_lo
	s_lshl_b64 s[24:25], s[10:11], 6
	s_waitcnt vmcnt(0) lgkmcnt(0)
	ds_store_b64 v5, v[3:4]
	flat_load_b64 v[3:4], v[1:2] offset:256
	v_add_co_u32 v1, vcc_lo, v1, s24
	v_add_co_ci_u32_e32 v2, vcc_lo, s25, v2, vcc_lo
	s_waitcnt vmcnt(0) lgkmcnt(0)
	ds_store_b64 v5, v[3:4] offset:2112
	flat_load_b64 v[3:4], v[1:2] offset:256
	v_add_co_u32 v1, vcc_lo, v1, s24
	v_add_co_ci_u32_e32 v2, vcc_lo, s25, v2, vcc_lo
	s_waitcnt vmcnt(0) lgkmcnt(0)
	ds_store_b64 v5, v[3:4] offset:4224
	flat_load_b64 v[1:2], v[1:2] offset:256
	s_waitcnt vmcnt(0) lgkmcnt(0)
	ds_store_b64 v5, v[1:2] offset:6336
	s_cbranch_execz .LBB178_37
	s_branch .LBB178_46
.LBB178_36:
.LBB178_37:
	v_or_b32_e32 v1, 32, v0
	s_ashr_i32 s17, s16, 31
	s_sub_i32 s11, s16, 32
	s_lshl_b64 s[24:25], s[16:17], 3
	s_mov_b32 s17, exec_lo
	v_dual_mov_b32 v5, 0 :: v_dual_lshlrev_b32 v2, 3, v1
	s_delay_alu instid0(VALU_DEP_1) | instskip(SKIP_1) | instid1(VALU_DEP_2)
	v_sub_co_u32 v2, vcc_lo, v15, v2
	v_subrev_co_ci_u32_e32 v3, vcc_lo, 0, v24, vcc_lo
	v_add_co_u32 v2, vcc_lo, v2, s24
	s_delay_alu instid0(VALU_DEP_2) | instskip(NEXT) | instid1(VALU_DEP_2)
	v_add_co_ci_u32_e32 v3, vcc_lo, s25, v3, vcc_lo
	v_add_co_u32 v4, vcc_lo, v2, -8
	s_delay_alu instid0(VALU_DEP_2) | instskip(SKIP_1) | instid1(VALU_DEP_3)
	v_add_co_ci_u32_e32 v2, vcc_lo, -1, v3, vcc_lo
	v_cmp_gt_i32_e32 vcc_lo, s16, v1
	v_dual_mov_b32 v6, 0 :: v_dual_cndmask_b32 v1, v4, v15
	s_delay_alu instid0(VALU_DEP_3) | instskip(NEXT) | instid1(VALU_DEP_2)
	v_dual_cndmask_b32 v2, v2, v24 :: v_dual_mov_b32 v3, v5
	v_mov_b32_e32 v4, v6
	v_cmpx_gt_i32_e64 s11, v11
	s_cbranch_execz .LBB178_39
; %bb.38:
	flat_load_b64 v[3:4], v[1:2]
.LBB178_39:
	s_or_b32 exec_lo, exec_lo, s17
	v_mul_u32_u24_e32 v7, 33, v11
	v_add_nc_u32_e32 v8, 8, v11
	s_mov_b32 s17, exec_lo
	s_delay_alu instid0(VALU_DEP_2)
	v_add_lshl_u32 v23, v7, v0, 3
	s_waitcnt vmcnt(0) lgkmcnt(0)
	ds_store_b64 v23, v[3:4]
	v_cmpx_gt_i32_e64 s11, v8
	s_cbranch_execz .LBB178_41
; %bb.40:
	s_lshl_b32 s28, s10, 3
	s_delay_alu instid0(SALU_CYCLE_1) | instskip(NEXT) | instid1(SALU_CYCLE_1)
	s_ashr_i32 s29, s28, 31
	s_lshl_b64 s[28:29], s[28:29], 3
	s_delay_alu instid0(SALU_CYCLE_1) | instskip(NEXT) | instid1(VALU_DEP_1)
	v_add_co_u32 v3, s9, v1, s28
	v_add_co_ci_u32_e64 v4, s9, s29, v2, s9
	flat_load_b64 v[5:6], v[3:4]
.LBB178_41:
	s_or_b32 exec_lo, exec_lo, s17
	v_mov_b32_e32 v3, 0
	v_dual_mov_b32 v4, 0 :: v_dual_add_nc_u32 v7, 16, v11
	s_waitcnt vmcnt(0) lgkmcnt(0)
	ds_store_b64 v23, v[5:6] offset:2112
	v_cmp_gt_i32_e64 s9, s11, v7
	v_dual_mov_b32 v8, v4 :: v_dual_mov_b32 v7, v3
	s_delay_alu instid0(VALU_DEP_2)
	s_and_saveexec_b32 s17, s9
	s_cbranch_execz .LBB178_43
; %bb.42:
	s_lshl_b32 s28, s10, 4
	s_delay_alu instid0(SALU_CYCLE_1) | instskip(NEXT) | instid1(SALU_CYCLE_1)
	s_ashr_i32 s29, s28, 31
	s_lshl_b64 s[28:29], s[28:29], 3
	s_delay_alu instid0(SALU_CYCLE_1) | instskip(NEXT) | instid1(VALU_DEP_1)
	v_add_co_u32 v5, s9, v1, s28
	v_add_co_ci_u32_e64 v6, s9, s29, v2, s9
	flat_load_b64 v[7:8], v[5:6]
.LBB178_43:
	s_or_b32 exec_lo, exec_lo, s17
	v_add_nc_u32_e32 v5, 24, v11
	s_waitcnt vmcnt(0) lgkmcnt(0)
	ds_store_b64 v23, v[7:8] offset:4224
	v_cmp_gt_i32_e64 s9, s11, v5
	s_delay_alu instid0(VALU_DEP_1)
	s_and_saveexec_b32 s11, s9
	s_cbranch_execz .LBB178_45
; %bb.44:
	s_mul_i32 s28, s10, 24
	s_delay_alu instid0(SALU_CYCLE_1) | instskip(NEXT) | instid1(SALU_CYCLE_1)
	s_ashr_i32 s29, s28, 31
	s_lshl_b64 s[28:29], s[28:29], 3
	s_delay_alu instid0(SALU_CYCLE_1) | instskip(NEXT) | instid1(VALU_DEP_1)
	v_add_co_u32 v3, s9, v1, s28
	v_add_co_ci_u32_e64 v4, s9, s29, v2, s9
	flat_load_b64 v[3:4], v[3:4]
.LBB178_45:
	s_or_b32 exec_lo, exec_lo, s11
	v_lshlrev_b32_e32 v5, 3, v0
	s_waitcnt vmcnt(0) lgkmcnt(0)
	ds_store_b64 v23, v[3:4] offset:6336
	v_add_co_u32 v1, s9, v1, v5
	s_delay_alu instid0(VALU_DEP_1) | instskip(NEXT) | instid1(VALU_DEP_2)
	v_add_co_ci_u32_e64 v2, s9, 0, v2, s9
	v_sub_co_u32 v1, s9, v1, s24
	s_delay_alu instid0(VALU_DEP_1) | instskip(NEXT) | instid1(VALU_DEP_2)
	v_subrev_co_ci_u32_e64 v2, s9, s25, v2, s9
	v_add_co_u32 v1, s9, 0x108, v1
	s_delay_alu instid0(VALU_DEP_1) | instskip(NEXT) | instid1(VALU_DEP_1)
	v_add_co_ci_u32_e64 v2, s9, 0, v2, s9
	v_dual_cndmask_b32 v15, v1, v15 :: v_dual_cndmask_b32 v24, v2, v24
.LBB178_46:
	v_add_nc_u32_e32 v12, 0x2380, v12
	s_waitcnt lgkmcnt(0)
	s_barrier
	buffer_gl0_inv
	s_and_saveexec_b32 s9, s5
	s_cbranch_execnz .LBB178_55
; %bb.47:
	s_or_b32 exec_lo, exec_lo, s9
	s_and_saveexec_b32 s5, s6
	s_cbranch_execnz .LBB178_56
.LBB178_48:
	s_or_b32 exec_lo, exec_lo, s5
	s_and_saveexec_b32 s5, s7
	s_cbranch_execnz .LBB178_57
.LBB178_49:
	s_or_b32 exec_lo, exec_lo, s5
	s_and_saveexec_b32 s5, s8
	s_cbranch_execz .LBB178_51
.LBB178_50:
	ds_load_b64 v[1:2], v9
	s_waitcnt lgkmcnt(0)
	ds_store_b64 v29, v[1:2] offset:24
.LBB178_51:
	s_or_b32 exec_lo, exec_lo, s5
	s_waitcnt lgkmcnt(0)
	s_barrier
	buffer_gl0_inv
	ds_load_b64 v[5:6], v10
	ds_load_b128 v[1:4], v12 offset:256
	v_cmp_eq_u32_e64 s5, 1, v11
	s_waitcnt lgkmcnt(0)
	v_fma_f64 v[1:2], v[5:6], v[1:2], 0
	ds_load_2addr_b64 v[5:8], v13 offset1:33
	s_waitcnt lgkmcnt(0)
	v_fma_f64 v[5:6], v[5:6], v[3:4], v[1:2]
	ds_load_b128 v[1:4], v12 offset:272
	ds_load_b64 v[9:10], v9
	s_waitcnt lgkmcnt(0)
	s_barrier
	buffer_gl0_inv
	v_fma_f64 v[1:2], v[7:8], v[1:2], v[5:6]
	s_delay_alu instid0(VALU_DEP_1)
	v_fma_f64 v[1:2], v[9:10], v[3:4], v[1:2]
	ds_store_b64 v28, v[1:2]
	s_waitcnt lgkmcnt(0)
	s_barrier
	buffer_gl0_inv
	s_and_saveexec_b32 s6, s5
	s_cbranch_execz .LBB178_53
; %bb.52:
	v_lshlrev_b32_e32 v13, 3, v27
	ds_load_2addr_b64 v[1:4], v13 offset1:1
	ds_load_2addr_b64 v[5:8], v13 offset0:2 offset1:3
	s_waitcnt lgkmcnt(1)
	v_add_f64 v[1:2], v[1:2], v[3:4]
	s_waitcnt lgkmcnt(0)
	s_delay_alu instid0(VALU_DEP_1) | instskip(NEXT) | instid1(VALU_DEP_1)
	v_add_f64 v[1:2], v[1:2], v[5:6]
	v_add_f64 v[9:10], v[1:2], v[7:8]
	ds_load_2addr_b64 v[1:4], v13 offset0:4 offset1:5
	ds_load_2addr_b64 v[5:8], v13 offset0:6 offset1:7
	s_waitcnt lgkmcnt(1)
	v_add_f64 v[1:2], v[9:10], v[1:2]
	s_delay_alu instid0(VALU_DEP_1) | instskip(SKIP_1) | instid1(VALU_DEP_1)
	v_add_f64 v[1:2], v[1:2], v[3:4]
	s_waitcnt lgkmcnt(0)
	v_add_f64 v[1:2], v[1:2], v[5:6]
	s_delay_alu instid0(VALU_DEP_1)
	v_add_f64 v[17:18], v[1:2], v[7:8]
.LBB178_53:
	s_or_b32 exec_lo, exec_lo, s6
	v_cmp_ne_u32_e32 vcc_lo, 1, v14
	v_sub_co_u32 v23, s6, v15, s22
	s_delay_alu instid0(VALU_DEP_1)
	v_subrev_co_ci_u32_e64 v24, s6, s23, v24, s6
	s_barrier
	buffer_gl0_inv
	s_cbranch_vccnz .LBB178_58
; %bb.54:
	flat_load_b64 v[1:2], v[23:24]
	s_lshl_b32 s6, s10, 3
	v_mad_u32_u24 v9, v11, 33, v0
	s_ashr_i32 s7, s6, 31
	s_ashr_i32 s11, s10, 31
	s_lshl_b64 s[6:7], s[6:7], 3
	v_add_nc_u32_e32 v10, 8, v11
	v_add_co_u32 v3, vcc_lo, v23, s6
	v_lshlrev_b32_e32 v7, 3, v9
	v_add_co_ci_u32_e32 v4, vcc_lo, s7, v24, vcc_lo
	s_lshl_b64 s[6:7], s[10:11], 6
	v_add_nc_u32_e32 v6, 0x108, v9
	v_add_nc_u32_e32 v13, 16, v11
	;; [unrolled: 1-line block ×3, first 2 shown]
	s_waitcnt vmcnt(0) lgkmcnt(0)
	ds_store_b64 v7, v[1:2]
	flat_load_b64 v[1:2], v[3:4]
	v_add_co_u32 v3, vcc_lo, v3, s6
	v_add_co_ci_u32_e32 v4, vcc_lo, s7, v4, vcc_lo
	s_waitcnt vmcnt(0) lgkmcnt(0)
	ds_store_b64 v7, v[1:2] offset:2112
	flat_load_b64 v[1:2], v[3:4]
	v_add_co_u32 v3, vcc_lo, v3, s6
	v_add_co_ci_u32_e32 v4, vcc_lo, s7, v4, vcc_lo
	s_waitcnt vmcnt(0) lgkmcnt(0)
	ds_store_b64 v7, v[1:2] offset:4224
	flat_load_b64 v[3:4], v[3:4]
	v_add_nc_u32_e32 v1, 0x210, v9
	v_add_nc_u32_e32 v2, 0x318, v9
	s_waitcnt vmcnt(0) lgkmcnt(0)
	ds_store_b64 v7, v[3:4] offset:6336
	s_cbranch_execz .LBB178_59
	s_branch .LBB178_68
.LBB178_55:
	ds_load_b64 v[1:2], v10
	s_waitcnt lgkmcnt(0)
	ds_store_b64 v29, v[1:2]
	s_or_b32 exec_lo, exec_lo, s9
	s_and_saveexec_b32 s5, s6
	s_cbranch_execz .LBB178_48
.LBB178_56:
	ds_load_b64 v[1:2], v13
	s_waitcnt lgkmcnt(0)
	ds_store_b64 v29, v[1:2] offset:8
	s_or_b32 exec_lo, exec_lo, s5
	s_and_saveexec_b32 s5, s7
	s_cbranch_execz .LBB178_49
.LBB178_57:
	ds_load_b64 v[1:2], v13 offset:264
	s_waitcnt lgkmcnt(0)
	ds_store_b64 v29, v[1:2] offset:16
	s_or_b32 exec_lo, exec_lo, s5
	s_and_saveexec_b32 s5, s8
	s_cbranch_execnz .LBB178_50
	s_branch .LBB178_51
.LBB178_58:
                                        ; implicit-def: $vgpr9
                                        ; implicit-def: $vgpr10
                                        ; implicit-def: $vgpr6
                                        ; implicit-def: $vgpr13
                                        ; implicit-def: $vgpr1
                                        ; implicit-def: $vgpr5
                                        ; implicit-def: $vgpr2
.LBB178_59:
	v_or_b32_e32 v1, 32, v0
	s_ashr_i32 s17, s16, 31
	s_mov_b32 s7, exec_lo
	s_lshl_b64 s[8:9], s[16:17], 3
	s_delay_alu instid0(VALU_DEP_1) | instskip(NEXT) | instid1(VALU_DEP_1)
	v_dual_mov_b32 v5, 0 :: v_dual_lshlrev_b32 v2, 3, v1
	v_sub_co_u32 v2, vcc_lo, v23, v2
	v_subrev_co_ci_u32_e32 v3, vcc_lo, 0, v24, vcc_lo
	s_delay_alu instid0(VALU_DEP_2) | instskip(NEXT) | instid1(VALU_DEP_2)
	v_add_co_u32 v2, vcc_lo, v2, s8
	v_add_co_ci_u32_e32 v3, vcc_lo, s9, v3, vcc_lo
	s_delay_alu instid0(VALU_DEP_2) | instskip(NEXT) | instid1(VALU_DEP_2)
	v_add_co_u32 v4, vcc_lo, v2, -8
	v_add_co_ci_u32_e32 v2, vcc_lo, -1, v3, vcc_lo
	v_cmp_gt_i32_e32 vcc_lo, s16, v1
	s_delay_alu instid0(VALU_DEP_3) | instskip(NEXT) | instid1(VALU_DEP_3)
	v_dual_mov_b32 v6, 0 :: v_dual_cndmask_b32 v1, v4, v23
	v_dual_cndmask_b32 v2, v2, v24 :: v_dual_mov_b32 v3, v5
	s_delay_alu instid0(VALU_DEP_2)
	v_mov_b32_e32 v4, v6
	v_cmpx_gt_i32_e64 s16, v11
	s_cbranch_execz .LBB178_61
; %bb.60:
	flat_load_b64 v[3:4], v[1:2]
.LBB178_61:
	s_or_b32 exec_lo, exec_lo, s7
	v_mad_u32_u24 v9, v11, 33, v0
	v_add_nc_u32_e32 v10, 8, v11
	s_mov_b32 s7, exec_lo
	s_delay_alu instid0(VALU_DEP_2)
	v_lshlrev_b32_e32 v14, 3, v9
	s_waitcnt vmcnt(0) lgkmcnt(0)
	ds_store_b64 v14, v[3:4]
	v_cmpx_gt_i32_e64 s16, v10
	s_cbranch_execz .LBB178_63
; %bb.62:
	s_lshl_b32 s22, s10, 3
	s_delay_alu instid0(SALU_CYCLE_1) | instskip(NEXT) | instid1(SALU_CYCLE_1)
	s_ashr_i32 s23, s22, 31
	s_lshl_b64 s[22:23], s[22:23], 3
	s_delay_alu instid0(SALU_CYCLE_1) | instskip(NEXT) | instid1(VALU_DEP_1)
	v_add_co_u32 v3, s6, v1, s22
	v_add_co_ci_u32_e64 v4, s6, s23, v2, s6
	flat_load_b64 v[5:6], v[3:4]
.LBB178_63:
	s_or_b32 exec_lo, exec_lo, s7
	v_mov_b32_e32 v3, 0
	v_dual_mov_b32 v4, 0 :: v_dual_add_nc_u32 v13, 16, v11
	s_mov_b32 s7, exec_lo
	s_waitcnt vmcnt(0) lgkmcnt(0)
	ds_store_b64 v14, v[5:6] offset:2112
	v_dual_mov_b32 v8, v4 :: v_dual_mov_b32 v7, v3
	v_cmpx_gt_i32_e64 s16, v13
	s_cbranch_execz .LBB178_65
; %bb.64:
	s_lshl_b32 s22, s10, 4
	s_delay_alu instid0(SALU_CYCLE_1) | instskip(NEXT) | instid1(SALU_CYCLE_1)
	s_ashr_i32 s23, s22, 31
	s_lshl_b64 s[22:23], s[22:23], 3
	s_delay_alu instid0(SALU_CYCLE_1) | instskip(NEXT) | instid1(VALU_DEP_1)
	v_add_co_u32 v5, s6, v1, s22
	v_add_co_ci_u32_e64 v6, s6, s23, v2, s6
	flat_load_b64 v[7:8], v[5:6]
.LBB178_65:
	s_or_b32 exec_lo, exec_lo, s7
	v_add_nc_u32_e32 v5, 24, v11
	s_mov_b32 s7, exec_lo
	s_waitcnt vmcnt(0) lgkmcnt(0)
	ds_store_b64 v14, v[7:8] offset:4224
	v_cmpx_gt_i32_e64 s16, v5
	s_cbranch_execz .LBB178_67
; %bb.66:
	s_mul_i32 s22, s10, 24
	s_delay_alu instid0(SALU_CYCLE_1) | instskip(NEXT) | instid1(SALU_CYCLE_1)
	s_ashr_i32 s23, s22, 31
	s_lshl_b64 s[22:23], s[22:23], 3
	s_delay_alu instid0(SALU_CYCLE_1) | instskip(NEXT) | instid1(VALU_DEP_1)
	v_add_co_u32 v3, s6, v1, s22
	v_add_co_ci_u32_e64 v4, s6, s23, v2, s6
	flat_load_b64 v[3:4], v[3:4]
.LBB178_67:
	s_or_b32 exec_lo, exec_lo, s7
	v_lshlrev_b32_e32 v0, 3, v0
	s_waitcnt vmcnt(0) lgkmcnt(0)
	ds_store_b64 v14, v[3:4] offset:6336
	v_add_co_u32 v0, s6, v1, v0
	s_delay_alu instid0(VALU_DEP_1) | instskip(SKIP_1) | instid1(VALU_DEP_3)
	v_add_co_ci_u32_e64 v1, s6, 0, v2, s6
	v_add_nc_u32_e32 v2, 0x318, v9
	v_sub_co_u32 v0, s6, v0, s8
	s_delay_alu instid0(VALU_DEP_1) | instskip(NEXT) | instid1(VALU_DEP_2)
	v_subrev_co_ci_u32_e64 v1, s6, s9, v1, s6
	v_add_co_u32 v0, s6, 0x108, v0
	s_delay_alu instid0(VALU_DEP_1) | instskip(NEXT) | instid1(VALU_DEP_2)
	v_add_co_ci_u32_e64 v7, s6, 0, v1, s6
	v_dual_cndmask_b32 v23, v0, v23 :: v_dual_add_nc_u32 v6, 0x108, v9
	s_delay_alu instid0(VALU_DEP_2)
	v_dual_cndmask_b32 v24, v7, v24 :: v_dual_add_nc_u32 v1, 0x210, v9
.LBB178_68:
	v_lshlrev_b32_e32 v0, 3, v9
	v_lshlrev_b32_e32 v7, 3, v11
	s_waitcnt lgkmcnt(0)
	s_barrier
	buffer_gl0_inv
	ds_load_b64 v[3:4], v0
	ds_load_b64 v[7:8], v7 offset:9088
	v_lshlrev_b32_e32 v0, 3, v6
	v_lshlrev_b32_e32 v6, 3, v10
	;; [unrolled: 1-line block ×4, first 2 shown]
	ds_load_b64 v[9:10], v0
	ds_load_b64 v[14:15], v6 offset:9088
	v_lshlrev_b32_e32 v0, 3, v1
	v_lshlrev_b32_e32 v6, 3, v13
	s_waitcnt lgkmcnt(2)
	v_fma_f64 v[3:4], v[3:4], v[7:8], 0
	ds_load_b64 v[0:1], v0
	ds_load_b64 v[6:7], v6 offset:9088
	s_waitcnt lgkmcnt(2)
	v_fma_f64 v[3:4], v[9:10], v[14:15], v[3:4]
	ds_load_b64 v[8:9], v2
	ds_load_b64 v[10:11], v5 offset:9088
	s_waitcnt lgkmcnt(2)
	v_fma_f64 v[0:1], v[0:1], v[6:7], v[3:4]
	s_waitcnt lgkmcnt(0)
	s_delay_alu instid0(VALU_DEP_1)
	v_fma_f64 v[30:31], v[8:9], v[10:11], v[0:1]
	ds_load_b128 v[8:11], v12 offset:256
	ds_load_b128 v[0:3], v12 offset:272
	ds_load_2addr_b64 v[12:15], v29 offset1:1
	ds_load_2addr_b64 v[4:7], v29 offset0:2 offset1:3
	s_waitcnt lgkmcnt(0)
	s_barrier
	buffer_gl0_inv
	ds_store_b64 v28, v[30:31]
	s_waitcnt lgkmcnt(0)
	s_barrier
	buffer_gl0_inv
	s_and_saveexec_b32 s6, s5
	s_cbranch_execz .LBB178_70
; %bb.69:
	v_lshlrev_b32_e32 v37, 3, v27
	ds_load_2addr_b64 v[29:32], v37 offset1:1
	ds_load_2addr_b64 v[33:36], v37 offset0:2 offset1:3
	s_waitcnt lgkmcnt(1)
	v_add_f64 v[17:18], v[17:18], v[29:30]
	s_delay_alu instid0(VALU_DEP_1) | instskip(SKIP_1) | instid1(VALU_DEP_1)
	v_add_f64 v[17:18], v[17:18], v[31:32]
	s_waitcnt lgkmcnt(0)
	v_add_f64 v[17:18], v[17:18], v[33:34]
	s_delay_alu instid0(VALU_DEP_1) | instskip(SKIP_4) | instid1(VALU_DEP_1)
	v_add_f64 v[17:18], v[17:18], v[35:36]
	ds_load_2addr_b64 v[29:32], v37 offset0:4 offset1:5
	ds_load_2addr_b64 v[33:36], v37 offset0:6 offset1:7
	s_waitcnt lgkmcnt(1)
	v_add_f64 v[17:18], v[17:18], v[29:30]
	v_add_f64 v[17:18], v[17:18], v[31:32]
	s_waitcnt lgkmcnt(0)
	s_delay_alu instid0(VALU_DEP_1) | instskip(NEXT) | instid1(VALU_DEP_1)
	v_add_f64 v[17:18], v[17:18], v[33:34]
	v_add_f64 v[17:18], v[17:18], v[35:36]
.LBB178_70:
	s_or_b32 exec_lo, exec_lo, s6
	v_fma_f64 v[8:9], v[12:13], v[8:9], 0
	s_barrier
	buffer_gl0_inv
	v_fma_f64 v[8:9], v[14:15], v[10:11], v[8:9]
	s_delay_alu instid0(VALU_DEP_1) | instskip(NEXT) | instid1(VALU_DEP_1)
	v_fma_f64 v[0:1], v[4:5], v[0:1], v[8:9]
	v_fma_f64 v[0:1], v[6:7], v[2:3], v[0:1]
	ds_store_b64 v28, v[0:1]
	s_waitcnt lgkmcnt(0)
	s_barrier
	buffer_gl0_inv
	s_and_saveexec_b32 s5, s4
	s_cbranch_execz .LBB178_72
; %bb.71:
	v_lshlrev_b32_e32 v10, 3, v27
	ds_load_2addr_b64 v[0:3], v10 offset1:1
	ds_load_2addr_b64 v[4:7], v10 offset0:2 offset1:3
	s_waitcnt lgkmcnt(1)
	v_add_f64 v[0:1], v[17:18], v[0:1]
	s_delay_alu instid0(VALU_DEP_1) | instskip(SKIP_1) | instid1(VALU_DEP_1)
	v_add_f64 v[0:1], v[0:1], v[2:3]
	s_waitcnt lgkmcnt(0)
	v_add_f64 v[0:1], v[0:1], v[4:5]
	s_delay_alu instid0(VALU_DEP_1) | instskip(SKIP_4) | instid1(VALU_DEP_1)
	v_add_f64 v[8:9], v[0:1], v[6:7]
	ds_load_2addr_b64 v[0:3], v10 offset0:4 offset1:5
	ds_load_2addr_b64 v[4:7], v10 offset0:6 offset1:7
	s_waitcnt lgkmcnt(1)
	v_add_f64 v[0:1], v[8:9], v[0:1]
	v_add_f64 v[0:1], v[0:1], v[2:3]
	s_waitcnt lgkmcnt(0)
	s_delay_alu instid0(VALU_DEP_1) | instskip(NEXT) | instid1(VALU_DEP_1)
	v_add_f64 v[0:1], v[0:1], v[4:5]
	v_add_f64 v[17:18], v[0:1], v[6:7]
.LBB178_72:
	s_or_b32 exec_lo, exec_lo, s5
	s_load_b64 s[0:1], s[0:1], 0x68
	s_mul_hi_u32 s4, s15, s12
	s_mul_i32 s27, s27, s12
	s_mul_i32 s5, s15, s12
	s_add_i32 s4, s4, s27
	s_mul_hi_u32 s6, s5, s26
	s_mul_i32 s7, s4, s26
	s_mul_i32 s4, s5, s26
	s_add_i32 s5, s6, s7
	s_mul_i32 s6, s14, s15
	s_lshl_b64 s[4:5], s[4:5], 3
	v_cmp_le_i32_e32 vcc_lo, s16, v25
	v_lshlrev_b32_e32 v72, 3, v25
	s_waitcnt lgkmcnt(0)
	s_barrier
	buffer_gl0_inv
	s_add_u32 s4, s0, s4
	s_addc_u32 s5, s1, s5
	s_ashr_i32 s7, s6, 31
	s_delay_alu instid0(SALU_CYCLE_1) | instskip(NEXT) | instid1(SALU_CYCLE_1)
	s_lshl_b64 s[0:1], s[6:7], 3
	s_add_u32 s15, s4, s0
	s_addc_u32 s22, s5, s1
	s_and_b32 vcc_lo, s19, vcc_lo
	s_cmp_lt_i32 s14, 1
	s_cbranch_scc1 .LBB178_79
; %bb.73:
	v_mul_lo_u32 v0, v71, s10
	s_ashr_i32 s17, s16, 31
	v_dual_mov_b32 v1, 0 :: v_dual_and_b32 v4, 15, v25
	s_lshl_b64 s[6:7], s[16:17], 3
	v_lshrrev_b32_e32 v5, 4, v26
	v_and_b32_e32 v7, 48, v25
	s_mul_i32 s4, s18, s13
	s_delay_alu instid0(VALU_DEP_4) | instskip(SKIP_1) | instid1(VALU_DEP_1)
	v_lshl_add_u32 v2, v0, 2, v25
	v_sub_co_u32 v0, s0, v23, s20
	v_subrev_co_ci_u32_e64 v6, s0, s21, v24, s0
	s_delay_alu instid0(VALU_DEP_3) | instskip(NEXT) | instid1(VALU_DEP_3)
	v_ashrrev_i32_e32 v3, 31, v2
	v_sub_co_u32 v0, s0, v0, v21
	s_delay_alu instid0(VALU_DEP_1) | instskip(NEXT) | instid1(VALU_DEP_3)
	v_sub_co_ci_u32_e64 v6, s0, v6, v22, s0
	v_lshlrev_b64 v[2:3], 3, v[2:3]
	s_ashr_i32 s5, s4, 31
	v_lshlrev_b32_e32 v8, 3, v7
	s_lshl_b64 s[4:5], s[4:5], 3
	v_lshl_add_u32 v80, v71, 5, 0x2180
	v_mad_u32_u24 v81, 0x860, v71, v72
	v_add_co_u32 v0, s0, v0, v2
	s_delay_alu instid0(VALU_DEP_1) | instskip(SKIP_1) | instid1(VALU_DEP_3)
	v_add_co_ci_u32_e64 v2, s0, v6, v3, s0
	v_mad_u32_u24 v77, 0x218, v4, v8
	v_add_co_u32 v0, s0, 0xffffff00, v0
	s_delay_alu instid0(VALU_DEP_1) | instskip(SKIP_1) | instid1(VALU_DEP_2)
	v_add_co_ci_u32_e64 v2, s0, -1, v2, s0
	s_ashr_i32 s11, s10, 31
	v_sub_co_u32 v3, s0, v0, v72
	s_delay_alu instid0(VALU_DEP_1) | instskip(SKIP_1) | instid1(VALU_DEP_2)
	v_subrev_co_ci_u32_e64 v6, s0, 0, v2, s0
	s_lshl_b32 s18, s13, 6
	v_add_co_u32 v3, s0, v3, s6
	s_delay_alu instid0(VALU_DEP_1) | instskip(SKIP_1) | instid1(VALU_DEP_2)
	v_add_co_ci_u32_e64 v6, s0, s7, v6, s0
	s_lshl_b64 s[6:7], s[10:11], 4
	v_add_co_u32 v9, s0, v3, -8
	s_delay_alu instid0(VALU_DEP_1) | instskip(SKIP_3) | instid1(VALU_DEP_4)
	v_add_co_ci_u32_e64 v3, s0, -1, v6, s0
	v_add_nc_u32_e32 v73, 0x2180, v72
	v_lshlrev_b32_e32 v6, 5, v5
	v_sub_co_u32 v74, s0, v19, s4
	v_dual_cndmask_b32 v3, v2, v3 :: v_dual_add_nc_u32 v76, 0x2380, v72
	v_cndmask_b32_e32 v2, v0, v9, vcc_lo
	v_or_b32_e32 v0, 0x78, v72
	v_subrev_co_ci_u32_e64 v75, s0, s5, v20, s0
	v_cmp_gt_u32_e64 s0, 64, v26
	v_mad_u32_u24 v79, 0x218, v4, v6
	s_delay_alu instid0(VALU_DEP_4)
	v_mad_u32_u24 v78, 0x218, v4, v0
	v_lshlrev_b32_e32 v0, 3, v5
	s_lshl_b64 s[4:5], s[10:11], 3
	s_lshl_b64 s[8:9], s[10:11], 9
	s_mul_hi_i32 s19, s10, 24
	s_mul_i32 s20, s10, 24
	v_mad_u32_u24 v82, 0x218, v4, v0
	v_or_b32_e32 v0, v7, v4
	s_lshl_b64 s[12:13], s[10:11], 7
	s_mul_hi_i32 s21, s10, 0x90
	s_mul_i32 s23, s10, 0x90
	s_mul_hi_i32 s24, s10, 0x98
	s_mul_i32 s25, s10, 0x98
	s_lshl_b64 s[16:17], s[10:11], 8
	s_mul_hi_i32 s26, s10, 0x110
	s_mul_i32 s27, s10, 0x110
	s_mul_hi_i32 s28, s10, 0x118
	s_mul_i32 s29, s10, 0x118
	;; [unrolled: 2-line block ×8, first 2 shown]
	s_mov_b32 s10, 0
	s_branch .LBB178_75
.LBB178_74:                             ;   in Loop: Header=BB178_75 Depth=1
	s_or_b32 exec_lo, exec_lo, s11
	v_fma_f64 v[4:5], v[4:5], v[12:13], v[17:18]
	v_add_co_u32 v2, s1, v2, s8
	s_delay_alu instid0(VALU_DEP_1)
	v_add_co_ci_u32_e64 v3, s1, s9, v3, s1
	v_add_nc_u32_e32 v0, 64, v0
	s_add_i32 s14, s14, -1
	s_add_i32 s10, s10, s18
	s_cmp_eq_u32 s14, 0
	s_waitcnt_vscnt null, 0x0
	s_barrier
	buffer_gl0_inv
	v_fma_f64 v[4:5], v[6:7], v[14:15], v[4:5]
	s_delay_alu instid0(VALU_DEP_1) | instskip(NEXT) | instid1(VALU_DEP_1)
	v_fma_f64 v[4:5], v[8:9], v[19:20], v[4:5]
	v_fma_f64 v[4:5], v[10:11], v[21:22], v[4:5]
	s_delay_alu instid0(VALU_DEP_1) | instskip(NEXT) | instid1(VALU_DEP_1)
	v_fma_f64 v[4:5], v[23:24], v[31:32], v[4:5]
	;; [unrolled: 3-line block ×7, first 2 shown]
	v_fma_f64 v[17:18], v[61:62], v[69:70], v[4:5]
	s_cbranch_scc1 .LBB178_79
.LBB178_75:                             ; =>This Inner Loop Header: Depth=1
	s_and_saveexec_b32 s43, s3
	s_cbranch_execz .LBB178_77
; %bb.76:                               ;   in Loop: Header=BB178_75 Depth=1
	s_ashr_i32 s11, s10, 31
	s_delay_alu instid0(SALU_CYCLE_1) | instskip(NEXT) | instid1(SALU_CYCLE_1)
	s_lshl_b64 s[44:45], s[10:11], 3
	v_add_co_u32 v4, s1, v74, s44
	s_delay_alu instid0(VALU_DEP_1)
	v_add_co_ci_u32_e64 v5, s1, s45, v75, s1
	flat_load_b64 v[4:5], v[4:5]
	s_waitcnt vmcnt(0) lgkmcnt(0)
	ds_store_b64 v73, v[4:5]
.LBB178_77:                             ;   in Loop: Header=BB178_75 Depth=1
	s_or_b32 exec_lo, exec_lo, s43
	v_add_co_u32 v6, s1, v2, s4
	s_delay_alu instid0(VALU_DEP_1) | instskip(SKIP_1) | instid1(VALU_DEP_1)
	v_add_co_ci_u32_e64 v7, s1, s5, v3, s1
	v_add_co_u32 v8, s1, v2, s6
	v_add_co_ci_u32_e64 v9, s1, s7, v3, s1
	v_add_co_u32 v10, s1, v2, s20
	s_waitcnt lgkmcnt(0)
	s_barrier
	buffer_gl0_inv
	flat_load_b64 v[4:5], v[2:3]
	v_add_co_ci_u32_e64 v11, s1, s19, v3, s1
	s_clause 0x2
	flat_load_b64 v[6:7], v[6:7]
	flat_load_b64 v[8:9], v[8:9]
	;; [unrolled: 1-line block ×3, first 2 shown]
	ds_load_b64 v[14:15], v76
	ds_load_b64 v[12:13], v80
	v_add_co_u32 v27, s1, v2, s12
	s_delay_alu instid0(VALU_DEP_1) | instskip(SKIP_1) | instid1(VALU_DEP_1)
	v_add_co_ci_u32_e64 v28, s1, s13, v3, s1
	v_add_co_u32 v29, s1, v2, s42
	v_add_co_ci_u32_e64 v30, s1, s41, v3, s1
	v_add_co_u32 v31, s1, v2, s23
	s_delay_alu instid0(VALU_DEP_1) | instskip(SKIP_1) | instid1(VALU_DEP_1)
	v_add_co_ci_u32_e64 v32, s1, s21, v3, s1
	v_add_co_u32 v33, s1, v2, s25
	v_add_co_ci_u32_e64 v34, s1, s24, v3, s1
	;; [unrolled: 5-line block ×6, first 2 shown]
	s_waitcnt vmcnt(3) lgkmcnt(1)
	v_mul_f64 v[19:20], v[4:5], v[14:15]
	s_waitcnt vmcnt(2)
	v_mul_f64 v[21:22], v[6:7], v[14:15]
	s_waitcnt vmcnt(1)
	;; [unrolled: 2-line block ×3, first 2 shown]
	v_mul_f64 v[25:26], v[10:11], v[14:15]
	ds_store_b64 v81, v[19:20]
	ds_load_b64 v[14:15], v80 offset:8
	ds_store_b64 v81, v[21:22] offset:536
	ds_load_b64 v[19:20], v80 offset:16
	ds_store_b64 v81, v[23:24] offset:1072
	ds_load_b64 v[21:22], v80 offset:24
	ds_store_b64 v81, v[25:26] offset:1608
	s_waitcnt lgkmcnt(0)
	s_barrier
	buffer_gl0_inv
	ds_load_2addr_b64 v[83:86], v79 offset1:1
	ds_load_2addr_b64 v[87:90], v79 offset0:2 offset1:3
	s_waitcnt lgkmcnt(0)
	s_barrier
	buffer_gl0_inv
	s_clause 0x3
	flat_load_b64 v[23:24], v[27:28]
	flat_load_b64 v[25:26], v[29:30]
	flat_load_b64 v[27:28], v[31:32]
	flat_load_b64 v[29:30], v[33:34]
	ds_load_b64 v[33:34], v76
	ds_load_b64 v[31:32], v80 offset:128
	v_add_f64 v[83:84], v[83:84], 0
	s_delay_alu instid0(VALU_DEP_1) | instskip(NEXT) | instid1(VALU_DEP_1)
	v_add_f64 v[83:84], v[83:84], v[85:86]
	v_add_f64 v[83:84], v[83:84], v[87:88]
	s_delay_alu instid0(VALU_DEP_1)
	v_add_f64 v[83:84], v[83:84], v[89:90]
	s_waitcnt vmcnt(2) lgkmcnt(1)
	v_mul_f64 v[37:38], v[25:26], v[33:34]
	v_mul_f64 v[35:36], v[23:24], v[33:34]
	s_waitcnt vmcnt(1)
	v_mul_f64 v[39:40], v[27:28], v[33:34]
	s_waitcnt vmcnt(0)
	v_mul_f64 v[41:42], v[29:30], v[33:34]
	ds_store_b64 v81, v[35:36]
	ds_load_b64 v[33:34], v80 offset:136
	ds_store_b64 v81, v[37:38] offset:536
	ds_load_b64 v[35:36], v80 offset:144
	ds_store_b64 v81, v[39:40] offset:1072
	ds_load_b64 v[37:38], v80 offset:152
	ds_store_b64 v81, v[41:42] offset:1608
	s_waitcnt lgkmcnt(0)
	s_barrier
	buffer_gl0_inv
	ds_load_2addr_b64 v[91:94], v79 offset1:1
	ds_load_2addr_b64 v[95:98], v79 offset0:2 offset1:3
	s_waitcnt lgkmcnt(0)
	s_barrier
	buffer_gl0_inv
	s_clause 0x3
	flat_load_b64 v[39:40], v[43:44]
	flat_load_b64 v[41:42], v[45:46]
	flat_load_b64 v[43:44], v[47:48]
	flat_load_b64 v[45:46], v[49:50]
	ds_load_b64 v[49:50], v76
	ds_load_b64 v[47:48], v80 offset:256
	v_add_f64 v[91:92], v[91:92], 0
	s_delay_alu instid0(VALU_DEP_1) | instskip(NEXT) | instid1(VALU_DEP_1)
	v_add_f64 v[85:86], v[91:92], v[93:94]
	v_add_f64 v[85:86], v[85:86], v[95:96]
	s_delay_alu instid0(VALU_DEP_1)
	v_add_f64 v[85:86], v[85:86], v[97:98]
	s_waitcnt vmcnt(2) lgkmcnt(1)
	v_mul_f64 v[53:54], v[41:42], v[49:50]
	v_mul_f64 v[51:52], v[39:40], v[49:50]
	s_waitcnt vmcnt(1)
	v_mul_f64 v[55:56], v[43:44], v[49:50]
	s_waitcnt vmcnt(0)
	;; [unrolled: 35-line block ×3, first 2 shown]
	v_mul_f64 v[109:110], v[61:62], v[65:66]
	ds_store_b64 v81, v[67:68]
	ds_load_b64 v[65:66], v80 offset:392
	ds_store_b64 v81, v[69:70] offset:536
	ds_load_b64 v[67:68], v80 offset:400
	ds_store_b64 v81, v[107:108] offset:1072
	ds_load_b64 v[69:70], v80 offset:408
	ds_store_b64 v81, v[109:110] offset:1608
	s_waitcnt lgkmcnt(0)
	s_barrier
	buffer_gl0_inv
	ds_load_2addr_b64 v[107:110], v79 offset1:1
	ds_load_2addr_b64 v[111:114], v79 offset0:2 offset1:3
	s_waitcnt lgkmcnt(0)
	s_barrier
	buffer_gl0_inv
	v_add_f64 v[107:108], v[107:108], 0
	s_delay_alu instid0(VALU_DEP_1) | instskip(NEXT) | instid1(VALU_DEP_1)
	v_add_f64 v[93:94], v[107:108], v[109:110]
	v_add_f64 v[91:92], v[93:94], v[111:112]
	s_delay_alu instid0(VALU_DEP_1)
	v_add_f64 v[89:90], v[91:92], v[113:114]
	ds_store_2addr_b64 v82, v[83:84], v[85:86] offset1:16
	ds_store_2addr_b64 v82, v[87:88], v[89:90] offset0:32 offset1:48
	s_waitcnt lgkmcnt(0)
	s_barrier
	buffer_gl0_inv
	s_and_saveexec_b32 s11, s0
	s_cbranch_execz .LBB178_74
; %bb.78:                               ;   in Loop: Header=BB178_75 Depth=1
	ds_load_2addr_b64 v[83:86], v77 offset1:1
	ds_load_2addr_b64 v[87:90], v77 offset0:2 offset1:3
	s_waitcnt lgkmcnt(1)
	v_add_f64 v[83:84], v[83:84], v[85:86]
	s_waitcnt lgkmcnt(0)
	s_delay_alu instid0(VALU_DEP_1) | instskip(NEXT) | instid1(VALU_DEP_1)
	v_add_f64 v[83:84], v[83:84], v[87:88]
	v_add_f64 v[91:92], v[83:84], v[89:90]
	ds_load_2addr_b64 v[83:86], v77 offset0:4 offset1:5
	ds_load_2addr_b64 v[87:90], v77 offset0:6 offset1:7
	s_waitcnt lgkmcnt(1)
	v_add_f64 v[83:84], v[91:92], v[83:84]
	s_delay_alu instid0(VALU_DEP_1) | instskip(SKIP_1) | instid1(VALU_DEP_1)
	v_add_f64 v[83:84], v[83:84], v[85:86]
	s_waitcnt lgkmcnt(0)
	v_add_f64 v[83:84], v[83:84], v[87:88]
	s_delay_alu instid0(VALU_DEP_1) | instskip(SKIP_4) | instid1(VALU_DEP_1)
	v_add_f64 v[91:92], v[83:84], v[89:90]
	ds_load_2addr_b64 v[83:86], v77 offset0:8 offset1:9
	ds_load_2addr_b64 v[87:90], v77 offset0:10 offset1:11
	s_waitcnt lgkmcnt(1)
	v_add_f64 v[83:84], v[91:92], v[83:84]
	v_add_f64 v[83:84], v[83:84], v[85:86]
	s_waitcnt lgkmcnt(0)
	s_delay_alu instid0(VALU_DEP_1) | instskip(NEXT) | instid1(VALU_DEP_1)
	v_add_f64 v[83:84], v[83:84], v[87:88]
	v_add_f64 v[87:88], v[83:84], v[89:90]
	ds_load_2addr_b64 v[83:86], v77 offset0:12 offset1:13
	ds_load_b64 v[89:90], v77 offset:112
	s_waitcnt lgkmcnt(1)
	v_add_f64 v[83:84], v[87:88], v[83:84]
	s_delay_alu instid0(VALU_DEP_1) | instskip(SKIP_4) | instid1(VALU_DEP_1)
	v_add_f64 v[83:84], v[83:84], v[85:86]
	ds_load_b64 v[85:86], v78
	s_waitcnt lgkmcnt(1)
	v_add_f64 v[83:84], v[83:84], v[89:90]
	s_waitcnt lgkmcnt(0)
	v_add_f64 v[83:84], v[83:84], v[85:86]
	v_lshlrev_b64 v[85:86], 3, v[0:1]
	s_delay_alu instid0(VALU_DEP_1) | instskip(NEXT) | instid1(VALU_DEP_1)
	v_add_co_u32 v85, s1, s15, v85
	v_add_co_ci_u32_e64 v86, s1, s22, v86, s1
	global_store_b64 v[85:86], v[83:84], off
	s_branch .LBB178_74
.LBB178_79:
	v_mad_u32_u24 v0, 0x218, v71, v72
	s_or_b32 s0, s2, vcc_lo
	s_delay_alu instid0(SALU_CYCLE_1)
	s_xor_b32 s0, s0, -1
	ds_store_b64 v0, v[17:18]
	s_waitcnt lgkmcnt(0)
	s_barrier
	buffer_gl0_inv
	s_and_saveexec_b32 s1, s0
	s_cbranch_execz .LBB178_6
; %bb.80:
	ds_load_2addr_b64 v[0:3], v72 offset1:67
	v_ashrrev_i32_e32 v17, 31, v16
	s_waitcnt lgkmcnt(0)
	v_add_f64 v[4:5], v[0:1], v[2:3]
	ds_load_2addr_b64 v[0:3], v72 offset0:134 offset1:201
	s_waitcnt lgkmcnt(0)
	v_add_f64 v[0:1], v[4:5], v[0:1]
	s_delay_alu instid0(VALU_DEP_1) | instskip(SKIP_1) | instid1(VALU_DEP_1)
	v_add_f64 v[0:1], v[0:1], v[2:3]
	v_lshlrev_b64 v[2:3], 3, v[16:17]
	v_add_co_u32 v2, vcc_lo, s15, v2
	s_delay_alu instid0(VALU_DEP_2)
	v_add_co_ci_u32_e32 v3, vcc_lo, s22, v3, vcc_lo
	global_store_b64 v[2:3], v[0:1], off
	s_nop 0
	s_sendmsg sendmsg(MSG_DEALLOC_VGPRS)
	s_endpgm
	.section	.rodata,"a",@progbits
	.p2align	6, 0x0
	.amdhsa_kernel _ZL26rocblas_hemvn_kernel_lowerILb0ELi64ELi4ELi33ELi32ELi16EidPKPKdPdEviT6_lT7_lT5_lS6_lS7_lS5_lT8_i
		.amdhsa_group_segment_fixed_size 9600
		.amdhsa_private_segment_fixed_size 0
		.amdhsa_kernarg_size 376
		.amdhsa_user_sgpr_count 14
		.amdhsa_user_sgpr_dispatch_ptr 0
		.amdhsa_user_sgpr_queue_ptr 0
		.amdhsa_user_sgpr_kernarg_segment_ptr 1
		.amdhsa_user_sgpr_dispatch_id 0
		.amdhsa_user_sgpr_private_segment_size 0
		.amdhsa_wavefront_size32 1
		.amdhsa_uses_dynamic_stack 0
		.amdhsa_enable_private_segment 0
		.amdhsa_system_sgpr_workgroup_id_x 1
		.amdhsa_system_sgpr_workgroup_id_y 0
		.amdhsa_system_sgpr_workgroup_id_z 1
		.amdhsa_system_sgpr_workgroup_info 0
		.amdhsa_system_vgpr_workitem_id 1
		.amdhsa_next_free_vgpr 115
		.amdhsa_next_free_sgpr 46
		.amdhsa_reserve_vcc 1
		.amdhsa_float_round_mode_32 0
		.amdhsa_float_round_mode_16_64 0
		.amdhsa_float_denorm_mode_32 3
		.amdhsa_float_denorm_mode_16_64 3
		.amdhsa_dx10_clamp 1
		.amdhsa_ieee_mode 1
		.amdhsa_fp16_overflow 0
		.amdhsa_workgroup_processor_mode 1
		.amdhsa_memory_ordered 1
		.amdhsa_forward_progress 0
		.amdhsa_shared_vgpr_count 0
		.amdhsa_exception_fp_ieee_invalid_op 0
		.amdhsa_exception_fp_denorm_src 0
		.amdhsa_exception_fp_ieee_div_zero 0
		.amdhsa_exception_fp_ieee_overflow 0
		.amdhsa_exception_fp_ieee_underflow 0
		.amdhsa_exception_fp_ieee_inexact 0
		.amdhsa_exception_int_div_zero 0
	.end_amdhsa_kernel
	.section	.text._ZL26rocblas_hemvn_kernel_lowerILb0ELi64ELi4ELi33ELi32ELi16EidPKPKdPdEviT6_lT7_lT5_lS6_lS7_lS5_lT8_i,"axG",@progbits,_ZL26rocblas_hemvn_kernel_lowerILb0ELi64ELi4ELi33ELi32ELi16EidPKPKdPdEviT6_lT7_lT5_lS6_lS7_lS5_lT8_i,comdat
.Lfunc_end178:
	.size	_ZL26rocblas_hemvn_kernel_lowerILb0ELi64ELi4ELi33ELi32ELi16EidPKPKdPdEviT6_lT7_lT5_lS6_lS7_lS5_lT8_i, .Lfunc_end178-_ZL26rocblas_hemvn_kernel_lowerILb0ELi64ELi4ELi33ELi32ELi16EidPKPKdPdEviT6_lT7_lT5_lS6_lS7_lS5_lT8_i
                                        ; -- End function
	.section	.AMDGPU.csdata,"",@progbits
; Kernel info:
; codeLenInByte = 7136
; NumSgprs: 48
; NumVgprs: 115
; ScratchSize: 0
; MemoryBound: 0
; FloatMode: 240
; IeeeMode: 1
; LDSByteSize: 9600 bytes/workgroup (compile time only)
; SGPRBlocks: 5
; VGPRBlocks: 14
; NumSGPRsForWavesPerEU: 48
; NumVGPRsForWavesPerEU: 115
; Occupancy: 12
; WaveLimiterHint : 1
; COMPUTE_PGM_RSRC2:SCRATCH_EN: 0
; COMPUTE_PGM_RSRC2:USER_SGPR: 14
; COMPUTE_PGM_RSRC2:TRAP_HANDLER: 0
; COMPUTE_PGM_RSRC2:TGID_X_EN: 1
; COMPUTE_PGM_RSRC2:TGID_Y_EN: 0
; COMPUTE_PGM_RSRC2:TGID_Z_EN: 1
; COMPUTE_PGM_RSRC2:TIDIG_COMP_CNT: 1
	.section	.text._ZL36rocblas_hemvn_kernel_lower_block_sumILi64EidPKPddEviT1_lS3_lT2_lT0_lPT3_i,"axG",@progbits,_ZL36rocblas_hemvn_kernel_lower_block_sumILi64EidPKPddEviT1_lS3_lT2_lT0_lPT3_i,comdat
	.globl	_ZL36rocblas_hemvn_kernel_lower_block_sumILi64EidPKPddEviT1_lS3_lT2_lT0_lPT3_i ; -- Begin function _ZL36rocblas_hemvn_kernel_lower_block_sumILi64EidPKPddEviT1_lS3_lT2_lT0_lPT3_i
	.p2align	8
	.type	_ZL36rocblas_hemvn_kernel_lower_block_sumILi64EidPKPddEviT1_lS3_lT2_lT0_lPT3_i,@function
_ZL36rocblas_hemvn_kernel_lower_block_sumILi64EidPKPddEviT1_lS3_lT2_lT0_lPT3_i: ; @_ZL36rocblas_hemvn_kernel_lower_block_sumILi64EidPKPddEviT1_lS3_lT2_lT0_lPT3_i
; %bb.0:
	s_clause 0x1
	s_load_b64 s[6:7], s[0:1], 0x8
	s_load_b64 s[8:9], s[0:1], 0x18
	s_waitcnt lgkmcnt(0)
	v_cmp_eq_f64_e64 s2, s[6:7], 0
	v_cmp_eq_f64_e64 s3, s[8:9], 1.0
	s_delay_alu instid0(VALU_DEP_1) | instskip(NEXT) | instid1(SALU_CYCLE_1)
	s_and_b32 s2, s2, s3
	s_and_b32 vcc_lo, exec_lo, s2
	s_cbranch_vccnz .LBB179_19
; %bb.1:
	s_clause 0x1
	s_load_b128 s[16:19], s[0:1], 0x28
	s_load_b32 s13, s[0:1], 0x38
	v_cmp_neq_f64_e64 s11, s[6:7], 0
	s_mov_b32 s4, s15
	s_mov_b32 s5, 0
	s_load_b32 s10, s[0:1], 0x0
	s_lshl_b64 s[2:3], s[4:5], 3
	v_lshl_or_b32 v0, s14, 6, v0
	s_waitcnt lgkmcnt(0)
	s_add_u32 s2, s16, s2
	s_addc_u32 s3, s17, s3
	s_lshl_b64 s[18:19], s[18:19], 3
	s_load_b64 s[16:17], s[2:3], 0x0
	v_cmp_gt_i32_e64 s2, s10, v0
	s_waitcnt lgkmcnt(0)
	s_add_u32 s3, s16, s18
	s_addc_u32 s12, s17, s19
	s_delay_alu instid0(VALU_DEP_3)
	s_and_b32 vcc_lo, exec_lo, s11
	s_cbranch_vccnz .LBB179_6
; %bb.2:
	s_mov_b32 s11, 0
                                        ; implicit-def: $vgpr3_vgpr4
                                        ; implicit-def: $vgpr1_vgpr2
	s_and_saveexec_b32 s15, s2
	s_cbranch_execz .LBB179_7
; %bb.3:
	v_cmp_eq_f64_e64 s2, s[8:9], 0
	v_mul_lo_u32 v1, v0, s13
	v_mov_b32_e32 v3, 0
	v_mov_b32_e32 v4, 0
	s_delay_alu instid0(VALU_DEP_3)
	v_ashrrev_i32_e32 v2, 31, v1
	s_and_b32 vcc_lo, exec_lo, s2
	s_cbranch_vccnz .LBB179_5
; %bb.4:
	s_delay_alu instid0(VALU_DEP_1) | instskip(NEXT) | instid1(VALU_DEP_1)
	v_lshlrev_b64 v[3:4], 3, v[1:2]
	v_add_co_u32 v3, vcc_lo, s3, v3
	s_delay_alu instid0(VALU_DEP_2)
	v_add_co_ci_u32_e32 v4, vcc_lo, s12, v4, vcc_lo
	global_load_b64 v[3:4], v[3:4], off
	s_waitcnt vmcnt(0)
	v_mul_f64 v[3:4], v[3:4], s[8:9]
.LBB179_5:
	s_mov_b32 s5, exec_lo
	s_or_b32 exec_lo, exec_lo, s15
	s_delay_alu instid0(SALU_CYCLE_1)
	s_and_b32 vcc_lo, exec_lo, s11
	s_cbranch_vccnz .LBB179_8
	s_branch .LBB179_17
.LBB179_6:
                                        ; implicit-def: $vgpr3_vgpr4
                                        ; implicit-def: $vgpr1_vgpr2
	s_cbranch_execnz .LBB179_8
	s_branch .LBB179_17
.LBB179_7:
	s_or_b32 exec_lo, exec_lo, s15
	s_delay_alu instid0(SALU_CYCLE_1)
	s_and_b32 vcc_lo, exec_lo, s11
	s_cbranch_vccz .LBB179_17
.LBB179_8:
	s_mov_b32 s2, exec_lo
                                        ; implicit-def: $vgpr3_vgpr4
                                        ; implicit-def: $vgpr1_vgpr2
	v_cmpx_gt_i32_e64 s10, v0
	s_cbranch_execz .LBB179_16
; %bb.9:
	s_load_b32 s15, s[0:1], 0x58
	v_mov_b32_e32 v5, 0
	v_mov_b32_e32 v6, 0
	s_waitcnt lgkmcnt(0)
	s_cmp_ge_i32 s14, s15
	s_cbranch_scc1 .LBB179_12
; %bb.10:
	s_load_b64 s[0:1], s[0:1], 0x48
	v_mad_u64_u32 v[1:2], null, s14, s10, v[0:1]
	s_ashr_i32 s11, s10, 31
	s_mul_hi_u32 s16, s10, s4
	s_mul_i32 s17, s11, s4
	s_mul_i32 s4, s10, s4
	s_add_i32 s16, s16, s17
	s_mul_hi_u32 s17, s4, s15
	s_delay_alu instid0(VALU_DEP_1)
	v_ashrrev_i32_e32 v2, 31, v1
	s_mul_i32 s18, s16, s15
	s_mul_i32 s16, s4, s15
	s_add_i32 s17, s17, s18
	v_mov_b32_e32 v5, 0
	v_lshlrev_b64 v[1:2], 3, v[1:2]
	s_lshl_b64 s[16:17], s[16:17], 3
	v_mov_b32_e32 v6, 0
	s_waitcnt lgkmcnt(0)
	s_add_u32 s0, s0, s16
	s_addc_u32 s1, s1, s17
	v_add_co_u32 v1, vcc_lo, s0, v1
	v_add_co_ci_u32_e32 v2, vcc_lo, s1, v2, vcc_lo
	s_lshl_b64 s[0:1], s[10:11], 3
.LBB179_11:                             ; =>This Inner Loop Header: Depth=1
	global_load_b64 v[3:4], v[1:2], off
	v_add_co_u32 v1, vcc_lo, v1, s0
	v_add_co_ci_u32_e32 v2, vcc_lo, s1, v2, vcc_lo
	s_add_i32 s14, s14, 1
	s_delay_alu instid0(SALU_CYCLE_1)
	s_cmp_ge_i32 s14, s15
	s_waitcnt vmcnt(0)
	v_add_f64 v[5:6], v[5:6], v[3:4]
	s_cbranch_scc0 .LBB179_11
.LBB179_12:
	v_cmp_eq_f64_e64 s0, s[8:9], 0
	v_mul_lo_u32 v1, v0, s13
	s_delay_alu instid0(VALU_DEP_1) | instskip(NEXT) | instid1(VALU_DEP_3)
	v_ashrrev_i32_e32 v2, 31, v1
	s_and_b32 vcc_lo, exec_lo, s0
	s_cbranch_vccz .LBB179_20
; %bb.13:
	s_delay_alu instid0(VALU_DEP_4)
	v_mul_f64 v[3:4], v[5:6], s[6:7]
	s_cbranch_execnz .LBB179_15
.LBB179_14:
	s_delay_alu instid0(VALU_DEP_1) | instskip(NEXT) | instid1(VALU_DEP_1)
	v_lshlrev_b64 v[3:4], 3, v[1:2]
	v_add_co_u32 v3, vcc_lo, s3, v3
	s_delay_alu instid0(VALU_DEP_2) | instskip(SKIP_3) | instid1(VALU_DEP_1)
	v_add_co_ci_u32_e32 v4, vcc_lo, s12, v4, vcc_lo
	global_load_b64 v[3:4], v[3:4], off
	s_waitcnt vmcnt(0)
	v_mul_f64 v[3:4], v[3:4], s[8:9]
	v_fma_f64 v[3:4], v[5:6], s[6:7], v[3:4]
.LBB179_15:
	s_or_b32 s5, s5, exec_lo
.LBB179_16:
	s_or_b32 exec_lo, exec_lo, s2
.LBB179_17:
	s_and_saveexec_b32 s0, s5
	s_cbranch_execz .LBB179_19
; %bb.18:
	v_lshlrev_b64 v[0:1], 3, v[1:2]
	s_delay_alu instid0(VALU_DEP_1) | instskip(NEXT) | instid1(VALU_DEP_2)
	v_add_co_u32 v0, vcc_lo, s3, v0
	v_add_co_ci_u32_e32 v1, vcc_lo, s12, v1, vcc_lo
	global_store_b64 v[0:1], v[3:4], off
.LBB179_19:
	s_nop 0
	s_sendmsg sendmsg(MSG_DEALLOC_VGPRS)
	s_endpgm
.LBB179_20:
                                        ; implicit-def: $vgpr3_vgpr4
	s_branch .LBB179_14
	.section	.rodata,"a",@progbits
	.p2align	6, 0x0
	.amdhsa_kernel _ZL36rocblas_hemvn_kernel_lower_block_sumILi64EidPKPddEviT1_lS3_lT2_lT0_lPT3_i
		.amdhsa_group_segment_fixed_size 0
		.amdhsa_private_segment_fixed_size 0
		.amdhsa_kernarg_size 344
		.amdhsa_user_sgpr_count 14
		.amdhsa_user_sgpr_dispatch_ptr 0
		.amdhsa_user_sgpr_queue_ptr 0
		.amdhsa_user_sgpr_kernarg_segment_ptr 1
		.amdhsa_user_sgpr_dispatch_id 0
		.amdhsa_user_sgpr_private_segment_size 0
		.amdhsa_wavefront_size32 1
		.amdhsa_uses_dynamic_stack 0
		.amdhsa_enable_private_segment 0
		.amdhsa_system_sgpr_workgroup_id_x 1
		.amdhsa_system_sgpr_workgroup_id_y 0
		.amdhsa_system_sgpr_workgroup_id_z 1
		.amdhsa_system_sgpr_workgroup_info 0
		.amdhsa_system_vgpr_workitem_id 0
		.amdhsa_next_free_vgpr 7
		.amdhsa_next_free_sgpr 20
		.amdhsa_reserve_vcc 1
		.amdhsa_float_round_mode_32 0
		.amdhsa_float_round_mode_16_64 0
		.amdhsa_float_denorm_mode_32 3
		.amdhsa_float_denorm_mode_16_64 3
		.amdhsa_dx10_clamp 1
		.amdhsa_ieee_mode 1
		.amdhsa_fp16_overflow 0
		.amdhsa_workgroup_processor_mode 1
		.amdhsa_memory_ordered 1
		.amdhsa_forward_progress 0
		.amdhsa_shared_vgpr_count 0
		.amdhsa_exception_fp_ieee_invalid_op 0
		.amdhsa_exception_fp_denorm_src 0
		.amdhsa_exception_fp_ieee_div_zero 0
		.amdhsa_exception_fp_ieee_overflow 0
		.amdhsa_exception_fp_ieee_underflow 0
		.amdhsa_exception_fp_ieee_inexact 0
		.amdhsa_exception_int_div_zero 0
	.end_amdhsa_kernel
	.section	.text._ZL36rocblas_hemvn_kernel_lower_block_sumILi64EidPKPddEviT1_lS3_lT2_lT0_lPT3_i,"axG",@progbits,_ZL36rocblas_hemvn_kernel_lower_block_sumILi64EidPKPddEviT1_lS3_lT2_lT0_lPT3_i,comdat
.Lfunc_end179:
	.size	_ZL36rocblas_hemvn_kernel_lower_block_sumILi64EidPKPddEviT1_lS3_lT2_lT0_lPT3_i, .Lfunc_end179-_ZL36rocblas_hemvn_kernel_lower_block_sumILi64EidPKPddEviT1_lS3_lT2_lT0_lPT3_i
                                        ; -- End function
	.section	.AMDGPU.csdata,"",@progbits
; Kernel info:
; codeLenInByte = 684
; NumSgprs: 22
; NumVgprs: 7
; ScratchSize: 0
; MemoryBound: 0
; FloatMode: 240
; IeeeMode: 1
; LDSByteSize: 0 bytes/workgroup (compile time only)
; SGPRBlocks: 2
; VGPRBlocks: 0
; NumSGPRsForWavesPerEU: 22
; NumVGPRsForWavesPerEU: 7
; Occupancy: 16
; WaveLimiterHint : 1
; COMPUTE_PGM_RSRC2:SCRATCH_EN: 0
; COMPUTE_PGM_RSRC2:USER_SGPR: 14
; COMPUTE_PGM_RSRC2:TRAP_HANDLER: 0
; COMPUTE_PGM_RSRC2:TGID_X_EN: 1
; COMPUTE_PGM_RSRC2:TGID_Y_EN: 0
; COMPUTE_PGM_RSRC2:TGID_Z_EN: 1
; COMPUTE_PGM_RSRC2:TIDIG_COMP_CNT: 0
	.section	.text._ZL26rocblas_hemvn_kernel_upperILb0ELi64ELi4ELi33ELi32ELi16ElPK19rocblas_complex_numIfEPKS3_PS1_EviT6_lT7_lT5_lS8_lS9_lS7_lT8_i,"axG",@progbits,_ZL26rocblas_hemvn_kernel_upperILb0ELi64ELi4ELi33ELi32ELi16ElPK19rocblas_complex_numIfEPKS3_PS1_EviT6_lT7_lT5_lS8_lS9_lS7_lT8_i,comdat
	.globl	_ZL26rocblas_hemvn_kernel_upperILb0ELi64ELi4ELi33ELi32ELi16ElPK19rocblas_complex_numIfEPKS3_PS1_EviT6_lT7_lT5_lS8_lS9_lS7_lT8_i ; -- Begin function _ZL26rocblas_hemvn_kernel_upperILb0ELi64ELi4ELi33ELi32ELi16ElPK19rocblas_complex_numIfEPKS3_PS1_EviT6_lT7_lT5_lS8_lS9_lS7_lT8_i
	.p2align	8
	.type	_ZL26rocblas_hemvn_kernel_upperILb0ELi64ELi4ELi33ELi32ELi16ElPK19rocblas_complex_numIfEPKS3_PS1_EviT6_lT7_lT5_lS8_lS9_lS7_lT8_i,@function
_ZL26rocblas_hemvn_kernel_upperILb0ELi64ELi4ELi33ELi32ELi16ElPK19rocblas_complex_numIfEPKS3_PS1_EviT6_lT7_lT5_lS8_lS9_lS7_lT8_i: ; @_ZL26rocblas_hemvn_kernel_upperILb0ELi64ELi4ELi33ELi32ELi16ElPK19rocblas_complex_numIfEPKS3_PS1_EviT6_lT7_lT5_lS8_lS9_lS7_lT8_i
; %bb.0:
	s_load_b64 s[2:3], s[0:1], 0x84
	s_add_u32 s22, s0, 0x78
	s_addc_u32 s23, s1, 0
	s_waitcnt lgkmcnt(0)
	s_lshr_b32 s4, s2, 16
	s_and_b32 s2, s2, 0xffff
	s_and_b32 s3, s3, 0xffff
	s_mul_i32 s2, s4, s2
	s_delay_alu instid0(SALU_CYCLE_1) | instskip(NEXT) | instid1(SALU_CYCLE_1)
	s_mul_i32 s2, s2, s3
	s_cmpk_lg_i32 s2, 0x100
	s_cbranch_scc1 .LBB180_160
; %bb.1:
	s_load_b256 s[4:11], s[0:1], 0x8
	s_mov_b32 s18, s15
	s_mov_b32 s19, 0
	s_waitcnt lgkmcnt(0)
	s_mul_i32 s2, s15, s7
	s_mul_hi_u32 s3, s15, s6
	s_delay_alu instid0(SALU_CYCLE_1) | instskip(SKIP_1) | instid1(SALU_CYCLE_1)
	s_add_i32 s3, s3, s2
	s_mul_i32 s2, s15, s6
	s_lshl_b64 s[2:3], s[2:3], 3
	s_delay_alu instid0(SALU_CYCLE_1)
	s_add_u32 s2, s4, s2
	s_addc_u32 s3, s5, s3
	s_load_b64 s[2:3], s[2:3], 0x0
	s_clause 0x2
	s_load_b64 s[20:21], s[0:1], 0x68
	s_load_b64 s[12:13], s[0:1], 0x28
	s_load_b128 s[4:7], s[0:1], 0x58
	s_waitcnt lgkmcnt(0)
	s_or_b32 s2, s2, s3
	s_delay_alu instid0(SALU_CYCLE_1) | instskip(NEXT) | instid1(SALU_CYCLE_1)
	s_bitset0_b32 s2, 31
	s_cmp_lg_u32 s2, 0
	s_cselect_b32 s15, -1, 0
	s_delay_alu instid0(SALU_CYCLE_1)
	s_and_b32 vcc_lo, exec_lo, s15
	s_cbranch_vccnz .LBB180_4
; %bb.2:
	s_mul_i32 s3, s18, s7
	s_mul_hi_u32 s7, s18, s6
	s_mul_i32 s2, s18, s6
	s_add_i32 s3, s7, s3
	s_delay_alu instid0(SALU_CYCLE_1) | instskip(NEXT) | instid1(SALU_CYCLE_1)
	s_lshl_b64 s[2:3], s[2:3], 3
	s_add_u32 s2, s4, s2
	s_addc_u32 s3, s5, s3
	s_mov_b32 s5, 0
	s_load_b64 s[2:3], s[2:3], 0x0
	s_mov_b32 s4, 0
	s_waitcnt lgkmcnt(0)
	v_cmp_eq_f32_e64 s2, s2, 1.0
	v_cmp_eq_f32_e64 s3, s3, 0
	s_delay_alu instid0(VALU_DEP_1) | instskip(NEXT) | instid1(SALU_CYCLE_1)
	s_and_b32 s2, s2, s3
	s_and_not1_b32 vcc_lo, exec_lo, s2
                                        ; implicit-def: $sgpr2_sgpr3
	s_cbranch_vccz .LBB180_5
; %bb.3:
	s_mov_b32 s4, -1
	s_mov_b64 s[2:3], 0
	s_branch .LBB180_5
.LBB180_4:
	s_mov_b32 s5, -1
	s_mov_b32 s4, s19
                                        ; implicit-def: $sgpr2_sgpr3
.LBB180_5:
	s_and_b32 vcc_lo, exec_lo, s5
	s_cbranch_vccz .LBB180_7
; %bb.6:
	s_lshl_b64 s[2:3], s[18:19], 3
	s_delay_alu instid0(SALU_CYCLE_1)
	s_add_u32 s2, s8, s2
	s_addc_u32 s3, s9, s3
	s_lshl_b64 s[4:5], s[10:11], 3
	s_load_b64 s[2:3], s[2:3], 0x0
	s_waitcnt lgkmcnt(0)
	s_add_u32 s2, s2, s4
	s_addc_u32 s3, s3, s5
	s_mov_b32 s4, -1
.LBB180_7:
	s_delay_alu instid0(SALU_CYCLE_1)
	s_and_not1_b32 vcc_lo, exec_lo, s4
	s_cbranch_vccnz .LBB180_160
; %bb.8:
	s_clause 0x1
	s_load_b128 s[4:7], s[0:1], 0x38
	s_load_b64 s[8:9], s[0:1], 0x48
	v_cndmask_b32_e64 v1, 0, 1, s15
	s_and_not1_b32 vcc_lo, exec_lo, s15
	s_mov_b64 s[10:11], 0
	s_cbranch_vccnz .LBB180_10
; %bb.9:
	s_lshl_b64 s[10:11], s[18:19], 3
	s_waitcnt lgkmcnt(0)
	s_add_u32 s4, s4, s10
	s_addc_u32 s5, s5, s11
	s_lshl_b64 s[6:7], s[6:7], 3
	s_load_b64 s[4:5], s[4:5], 0x0
	s_waitcnt lgkmcnt(0)
	s_add_u32 s10, s4, s6
	s_addc_u32 s11, s5, s7
.LBB180_10:
	s_delay_alu instid0(VALU_DEP_1)
	v_cmp_ne_u32_e32 vcc_lo, 1, v1
	s_cbranch_vccnz .LBB180_160
; %bb.11:
	v_and_b32_e32 v93, 0x3ff, v0
	s_lshl_b32 s16, s14, 6
	s_load_b32 s24, s[0:1], 0x0
	s_waitcnt lgkmcnt(0)
	s_load_b32 s7, s[22:23], 0x0
	v_bfe_u32 v94, v0, 10, 10
	v_add_nc_u32_e32 v24, s16, v93
	s_mov_b32 s4, -1
	s_delay_alu instid0(VALU_DEP_1) | instskip(SKIP_2) | instid1(VALU_DEP_3)
	v_ashrrev_i32_e32 v25, 31, v24
	v_mul_lo_u32 v3, v24, s9
	v_mad_u64_u32 v[1:2], null, v24, s8, 0
	v_mul_lo_u32 v4, v25, s8
	s_ashr_i32 s25, s24, 31
	s_delay_alu instid0(VALU_DEP_1) | instskip(SKIP_4) | instid1(SALU_CYCLE_1)
	v_add3_u32 v2, v2, v3, v4
	s_lshr_b32 s0, s25, 26
	s_waitcnt lgkmcnt(0)
	s_add_i32 s1, s7, -1
	s_add_i32 s0, s24, s0
	s_and_not1_b32 s0, s0, 63
	v_lshlrev_b64 v[1:2], 3, v[1:2]
	s_sub_i32 s15, s24, s0
	v_cmp_eq_u32_e64 s0, 0, v94
	s_cmp_eq_u32 s14, s1
	s_delay_alu instid0(VALU_DEP_2) | instskip(NEXT) | instid1(VALU_DEP_3)
	v_add_co_u32 v14, vcc_lo, s10, v1
	v_add_co_ci_u32_e32 v15, vcc_lo, s11, v2, vcc_lo
	s_cselect_b32 s10, s15, 0
	s_and_saveexec_b32 s1, s0
	s_cbranch_execz .LBB180_16
; %bb.12:
	v_cmp_le_i32_e32 vcc_lo, s10, v93
	s_cmp_lg_u32 s10, 0
	v_lshl_add_u32 v0, v93, 3, 0x2380
	s_cselect_b32 s5, -1, 0
	s_delay_alu instid0(SALU_CYCLE_1) | instskip(NEXT) | instid1(SALU_CYCLE_1)
	s_and_b32 s5, s5, vcc_lo
	s_and_saveexec_b32 s6, s5
	s_delay_alu instid0(SALU_CYCLE_1)
	s_xor_b32 s5, exec_lo, s6
	s_cbranch_execz .LBB180_14
; %bb.13:
	v_mov_b32_e32 v1, 0
	s_delay_alu instid0(VALU_DEP_1)
	v_mov_b32_e32 v2, v1
	ds_store_b64 v0, v[1:2]
                                        ; implicit-def: $vgpr0
.LBB180_14:
	s_and_not1_saveexec_b32 s5, s5
	s_cbranch_execz .LBB180_16
; %bb.15:
	flat_load_b64 v[1:2], v[14:15]
	s_waitcnt vmcnt(0) lgkmcnt(0)
	ds_store_b64 v0, v[1:2]
.LBB180_16:
	s_or_b32 exec_lo, exec_lo, s1
	v_lshl_add_u32 v22, v94, 6, v93
	v_dual_mov_b32 v1, 0 :: v_dual_and_b32 v0, 31, v93
	s_ashr_i32 s17, s16, 31
	s_mul_i32 s1, s16, s13
	s_delay_alu instid0(VALU_DEP_2)
	v_lshrrev_b32_e32 v7, 5, v22
	s_lshl_b64 s[22:23], s[16:17], 3
	s_mul_hi_u32 s5, s16, s12
	s_add_u32 s11, s2, s22
	s_mul_i32 s6, s17, s12
	v_mad_u64_u32 v[2:3], null, v7, s12, v[0:1]
	s_addc_u32 s19, s3, s23
	s_add_i32 s1, s5, s1
	s_mul_i32 s2, s16, s12
	s_add_i32 s3, s1, s6
	v_cmp_gt_i32_e64 s1, s10, v0
	s_lshl_b64 s[2:3], s[2:3], 3
	s_delay_alu instid0(VALU_DEP_2)
	v_mov_b32_e32 v1, v3
	s_add_u32 s2, s2, s11
	s_addc_u32 s3, s3, s19
	s_cmp_eq_u32 s10, 0
	v_lshlrev_b32_e32 v9, 3, v0
	v_mad_u64_u32 v[3:4], null, v7, s13, v[1:2]
	s_cselect_b32 s19, -1, 0
	s_cmp_lg_u32 s10, 0
	v_mul_u32_u24_e32 v8, 33, v7
	s_cselect_b32 s26, -1, 0
	s_delay_alu instid0(SALU_CYCLE_1) | instskip(NEXT) | instid1(VALU_DEP_2)
	s_and_b32 vcc_lo, exec_lo, s26
	v_lshlrev_b64 v[12:13], 3, v[2:3]
	s_delay_alu instid0(VALU_DEP_1) | instskip(NEXT) | instid1(VALU_DEP_1)
	v_add_co_u32 v3, s2, s2, v12
	v_add_co_ci_u32_e64 v4, s2, s3, v13, s2
	s_cbranch_vccz .LBB180_34
; %bb.17:
	s_delay_alu instid0(VALU_DEP_2) | instskip(SKIP_1) | instid1(VALU_DEP_2)
	v_sub_co_u32 v1, vcc_lo, v3, v9
	s_ashr_i32 s11, s10, 31
	v_subrev_co_ci_u32_e32 v2, vcc_lo, 0, v4, vcc_lo
	s_lshl_b64 s[2:3], s[10:11], 3
	v_add_lshl_u32 v5, v8, v0, 3
	v_add_co_u32 v1, vcc_lo, v1, s2
	s_delay_alu instid0(VALU_DEP_3) | instskip(SKIP_1) | instid1(VALU_DEP_2)
	v_add_co_ci_u32_e32 v2, vcc_lo, s3, v2, vcc_lo
	s_mov_b32 s4, exec_lo
	v_add_co_u32 v1, vcc_lo, v1, -8
	s_delay_alu instid0(VALU_DEP_2) | instskip(NEXT) | instid1(VALU_DEP_2)
	v_add_co_ci_u32_e32 v2, vcc_lo, -1, v2, vcc_lo
	v_cndmask_b32_e64 v1, v1, v3, s1
	s_delay_alu instid0(VALU_DEP_2)
	v_cndmask_b32_e64 v2, v2, v4, s1
	v_cmpx_le_i32_e64 s10, v7
	s_xor_b32 s4, exec_lo, s4
	s_cbranch_execz .LBB180_19
; %bb.18:
	v_mov_b32_e32 v10, 0
	s_delay_alu instid0(VALU_DEP_1)
	v_mov_b32_e32 v11, v10
	ds_store_b64 v5, v[10:11]
.LBB180_19:
	s_and_not1_saveexec_b32 s4, s4
	s_cbranch_execz .LBB180_21
; %bb.20:
	flat_load_b64 v[10:11], v[1:2]
	s_waitcnt vmcnt(0) lgkmcnt(0)
	ds_store_b64 v5, v[10:11]
.LBB180_21:
	s_or_b32 exec_lo, exec_lo, s4
	v_add_nc_u32_e32 v6, 8, v7
	s_mov_b32 s4, exec_lo
	s_delay_alu instid0(VALU_DEP_1)
	v_cmpx_le_i32_e64 s10, v6
	s_xor_b32 s4, exec_lo, s4
	s_cbranch_execz .LBB180_23
; %bb.22:
	v_mul_u32_u24_e32 v6, 33, v6
	v_mov_b32_e32 v10, 0
	s_delay_alu instid0(VALU_DEP_2) | instskip(NEXT) | instid1(VALU_DEP_2)
	v_add_lshl_u32 v6, v6, v0, 3
	v_mov_b32_e32 v11, v10
	ds_store_b64 v6, v[10:11]
.LBB180_23:
	s_and_not1_saveexec_b32 s4, s4
	s_cbranch_execz .LBB180_25
; %bb.24:
	s_lshl_b64 s[22:23], s[12:13], 6
	s_delay_alu instid0(SALU_CYCLE_1)
	v_add_co_u32 v10, vcc_lo, v1, s22
	v_add_co_ci_u32_e32 v11, vcc_lo, s23, v2, vcc_lo
	flat_load_b64 v[10:11], v[10:11]
	s_waitcnt vmcnt(0) lgkmcnt(0)
	ds_store_b64 v5, v[10:11] offset:2112
.LBB180_25:
	s_or_b32 exec_lo, exec_lo, s4
	v_add_nc_u32_e32 v6, 16, v7
	s_mov_b32 s4, exec_lo
	s_delay_alu instid0(VALU_DEP_1)
	v_cmpx_le_i32_e64 s10, v6
	s_xor_b32 s4, exec_lo, s4
	s_cbranch_execz .LBB180_27
; %bb.26:
	v_mov_b32_e32 v10, 0
	s_delay_alu instid0(VALU_DEP_1)
	v_mov_b32_e32 v11, v10
	ds_store_b64 v5, v[10:11] offset:4224
.LBB180_27:
	s_and_not1_saveexec_b32 s4, s4
	s_cbranch_execz .LBB180_29
; %bb.28:
	s_lshl_b64 s[22:23], s[12:13], 7
	s_delay_alu instid0(SALU_CYCLE_1)
	v_add_co_u32 v10, vcc_lo, v1, s22
	v_add_co_ci_u32_e32 v11, vcc_lo, s23, v2, vcc_lo
	flat_load_b64 v[10:11], v[10:11]
	s_waitcnt vmcnt(0) lgkmcnt(0)
	ds_store_b64 v5, v[10:11] offset:4224
.LBB180_29:
	s_or_b32 exec_lo, exec_lo, s4
	v_add_nc_u32_e32 v6, 24, v7
	s_mov_b32 s4, exec_lo
	s_delay_alu instid0(VALU_DEP_1)
	v_cmpx_le_i32_e64 s10, v6
	s_xor_b32 s4, exec_lo, s4
	s_cbranch_execz .LBB180_31
; %bb.30:
	v_mov_b32_e32 v10, 0
	s_delay_alu instid0(VALU_DEP_1)
	v_mov_b32_e32 v11, v10
	ds_store_b64 v5, v[10:11] offset:6336
                                        ; implicit-def: $vgpr5
.LBB180_31:
	s_and_not1_saveexec_b32 s4, s4
	s_cbranch_execz .LBB180_33
; %bb.32:
	v_mad_u64_u32 v[10:11], null, 0xc0, s12, v[1:2]
	s_delay_alu instid0(VALU_DEP_1) | instskip(NEXT) | instid1(VALU_DEP_1)
	v_mov_b32_e32 v6, v11
	v_mad_u64_u32 v[16:17], null, 0xc0, s13, v[6:7]
	s_delay_alu instid0(VALU_DEP_1)
	v_mov_b32_e32 v11, v16
	flat_load_b64 v[10:11], v[10:11]
	s_waitcnt vmcnt(0) lgkmcnt(0)
	ds_store_b64 v5, v[10:11] offset:6336
.LBB180_33:
	s_or_b32 exec_lo, exec_lo, s4
	v_add_co_u32 v1, vcc_lo, v1, v9
	v_add_co_ci_u32_e32 v2, vcc_lo, 0, v2, vcc_lo
	s_delay_alu instid0(VALU_DEP_2) | instskip(NEXT) | instid1(VALU_DEP_2)
	v_sub_co_u32 v1, vcc_lo, v1, s2
	v_subrev_co_ci_u32_e32 v2, vcc_lo, s3, v2, vcc_lo
	s_delay_alu instid0(VALU_DEP_2) | instskip(NEXT) | instid1(VALU_DEP_2)
	v_add_co_u32 v1, vcc_lo, v1, 8
	v_add_co_ci_u32_e32 v2, vcc_lo, 0, v2, vcc_lo
	s_delay_alu instid0(VALU_DEP_2) | instskip(NEXT) | instid1(VALU_DEP_2)
	v_cndmask_b32_e64 v1, v1, v3, s1
	v_cndmask_b32_e64 v2, v2, v4, s1
	s_branch .LBB180_36
.LBB180_34:
                                        ; implicit-def: $vgpr1_vgpr2
	s_and_b32 vcc_lo, exec_lo, s4
	s_cbranch_vccz .LBB180_36
; %bb.35:
	flat_load_b64 v[1:2], v[3:4]
	s_lshl_b64 s[2:3], s[12:13], 6
	v_add_lshl_u32 v16, v8, v0, 3
	v_add_co_u32 v5, vcc_lo, v3, s2
	v_add_co_ci_u32_e32 v6, vcc_lo, s3, v4, vcc_lo
	s_waitcnt vmcnt(0) lgkmcnt(0)
	ds_store_b64 v16, v[1:2]
	flat_load_b64 v[1:2], v[5:6]
	v_add_co_u32 v5, vcc_lo, v5, s2
	v_add_co_ci_u32_e32 v6, vcc_lo, s3, v6, vcc_lo
	s_waitcnt vmcnt(0) lgkmcnt(0)
	ds_store_b64 v16, v[1:2] offset:2112
	flat_load_b64 v[1:2], v[5:6]
	v_mad_u64_u32 v[5:6], null, 0xc0, s12, v[3:4]
	s_delay_alu instid0(VALU_DEP_1) | instskip(NEXT) | instid1(VALU_DEP_1)
	v_mad_u64_u32 v[10:11], null, 0xc0, s13, v[6:7]
	v_mov_b32_e32 v6, v10
	s_waitcnt vmcnt(0) lgkmcnt(0)
	ds_store_b64 v16, v[1:2] offset:4224
	v_mov_b32_e32 v1, v3
	flat_load_b64 v[5:6], v[5:6]
	v_mov_b32_e32 v2, v4
	s_waitcnt vmcnt(0) lgkmcnt(0)
	ds_store_b64 v16, v[5:6] offset:6336
.LBB180_36:
	v_lshlrev_b32_e32 v3, 2, v7
	v_mul_u32_u24_e32 v10, 33, v0
	v_mul_u32_u24_e32 v4, 0x84, v7
	s_waitcnt lgkmcnt(0)
	s_barrier
	v_cmp_gt_u32_e64 s2, v3, v0
	v_add_lshl_u32 v16, v3, v10, 3
	buffer_gl0_inv
	s_and_saveexec_b32 s1, s2
	s_cbranch_execz .LBB180_38
; %bb.37:
	v_add_lshl_u32 v5, v4, v0, 3
	ds_load_b64 v[5:6], v5
	s_waitcnt lgkmcnt(0)
	ds_store_b64 v16, v[5:6]
.LBB180_38:
	s_or_b32 exec_lo, exec_lo, s1
	v_cmp_ge_u32_e64 s3, v3, v0
	s_delay_alu instid0(VALU_DEP_1)
	s_and_saveexec_b32 s1, s3
	s_cbranch_execz .LBB180_40
; %bb.39:
	v_or_b32_e32 v5, 1, v3
	s_delay_alu instid0(VALU_DEP_1) | instskip(NEXT) | instid1(VALU_DEP_1)
	v_mul_u32_u24_e32 v5, 33, v5
	v_add_lshl_u32 v5, v5, v0, 3
	ds_load_b64 v[5:6], v5
	s_waitcnt lgkmcnt(0)
	ds_store_b64 v16, v[5:6] offset:8
.LBB180_40:
	s_or_b32 exec_lo, exec_lo, s1
	v_or_b32_e32 v5, 2, v3
	s_delay_alu instid0(VALU_DEP_1) | instskip(NEXT) | instid1(VALU_DEP_1)
	v_cmp_gt_u32_e64 s4, v5, v0
	s_and_saveexec_b32 s1, s4
	s_cbranch_execz .LBB180_42
; %bb.41:
	v_mul_u32_u24_e32 v5, 33, v5
	s_delay_alu instid0(VALU_DEP_1)
	v_add_lshl_u32 v5, v5, v0, 3
	ds_load_b64 v[5:6], v5
	s_waitcnt lgkmcnt(0)
	ds_store_b64 v16, v[5:6] offset:16
.LBB180_42:
	s_or_b32 exec_lo, exec_lo, s1
	v_or_b32_e32 v5, 3, v3
	s_delay_alu instid0(VALU_DEP_1) | instskip(SKIP_1) | instid1(VALU_DEP_2)
	v_mad_u32_u24 v6, v5, 33, v0
	v_cmp_gt_u32_e64 s5, v5, v0
	v_lshlrev_b32_e32 v18, 3, v6
	s_delay_alu instid0(VALU_DEP_2)
	s_and_saveexec_b32 s1, s5
	s_cbranch_execz .LBB180_44
; %bb.43:
	ds_load_b64 v[5:6], v18
	s_waitcnt lgkmcnt(0)
	ds_store_b64 v16, v[5:6] offset:24
.LBB180_44:
	s_or_b32 exec_lo, exec_lo, s1
	v_add_lshl_u32 v11, v4, v0, 3
	v_lshlrev_b32_e32 v17, 3, v3
	v_add_nc_u32_e32 v19, 0xfffffdf0, v18
	s_waitcnt lgkmcnt(0)
	s_barrier
	buffer_gl0_inv
	ds_load_b64 v[20:21], v11
	ds_load_b128 v[3:6], v17 offset:9088
	ds_load_2addr_b64 v[26:29], v19 offset1:33
	ds_load_b128 v[30:33], v17 offset:9104
	ds_load_b64 v[34:35], v18
	v_cmp_gt_u32_e64 s1, 32, v22
	s_waitcnt lgkmcnt(0)
	s_barrier
	buffer_gl0_inv
	v_mul_f32_e32 v23, v4, v21
	v_dual_mul_f32 v21, v3, v21 :: v_dual_mul_f32 v36, v6, v27
	v_mul_f32_e32 v27, v5, v27
	s_delay_alu instid0(VALU_DEP_2) | instskip(NEXT) | instid1(VALU_DEP_4)
	v_dual_fmac_f32 v21, v4, v20 :: v_dual_mul_f32 v4, v33, v35
	v_fma_f32 v3, v3, v20, -v23
	v_dual_mul_f32 v20, v32, v35 :: v_dual_mul_f32 v37, v31, v29
	v_fma_f32 v5, v5, v26, -v36
	v_fmac_f32_e32 v27, v6, v26
	s_delay_alu instid0(VALU_DEP_3) | instskip(SKIP_3) | instid1(VALU_DEP_4)
	v_dual_add_f32 v3, 0, v3 :: v_dual_fmac_f32 v20, v33, v34
	v_mul_f32_e32 v29, v30, v29
	v_add_f32_e32 v6, 0, v21
	v_fma_f32 v21, v30, v28, -v37
	v_add_f32_e32 v3, v3, v5
	v_fma_f32 v4, v32, v34, -v4
	v_fmac_f32_e32 v29, v31, v28
	v_add_f32_e32 v5, v6, v27
	v_add_lshl_u32 v28, v7, v10, 3
	v_dual_add_f32 v3, v3, v21 :: v_dual_mov_b32 v26, 0
	v_lshlrev_b32_e32 v23, 3, v10
	s_delay_alu instid0(VALU_DEP_4) | instskip(SKIP_1) | instid1(VALU_DEP_4)
	v_add_f32_e32 v5, v5, v29
	v_mov_b32_e32 v27, 0
	v_add_f32_e32 v3, v3, v4
	s_delay_alu instid0(VALU_DEP_3)
	v_add_f32_e32 v4, v5, v20
	ds_store_b64 v28, v[3:4]
	s_waitcnt lgkmcnt(0)
	s_barrier
	buffer_gl0_inv
	s_and_saveexec_b32 s6, s1
	s_cbranch_execz .LBB180_46
; %bb.45:
	ds_load_2addr_b64 v[3:6], v23 offset1:7
	ds_load_2addr_b64 v[29:32], v23 offset0:1 offset1:2
	ds_load_2addr_b64 v[33:36], v23 offset0:3 offset1:4
	;; [unrolled: 1-line block ×3, first 2 shown]
	s_waitcnt lgkmcnt(2)
	v_dual_add_f32 v3, v29, v3 :: v_dual_add_f32 v4, v30, v4
	s_delay_alu instid0(VALU_DEP_1) | instskip(SKIP_1) | instid1(VALU_DEP_1)
	v_dual_add_f32 v3, v3, v31 :: v_dual_add_f32 v4, v4, v32
	s_waitcnt lgkmcnt(1)
	v_dual_add_f32 v3, v3, v33 :: v_dual_add_f32 v4, v4, v34
	s_delay_alu instid0(VALU_DEP_1) | instskip(SKIP_1) | instid1(VALU_DEP_1)
	v_dual_add_f32 v3, v3, v35 :: v_dual_add_f32 v4, v4, v36
	s_waitcnt lgkmcnt(0)
	v_dual_add_f32 v3, v3, v37 :: v_dual_add_f32 v4, v4, v38
	s_delay_alu instid0(VALU_DEP_1) | instskip(NEXT) | instid1(VALU_DEP_1)
	v_dual_add_f32 v3, v3, v39 :: v_dual_add_f32 v4, v4, v40
	v_dual_add_f32 v26, v3, v5 :: v_dual_add_f32 v27, v4, v6
.LBB180_46:
	s_or_b32 exec_lo, exec_lo, s6
	s_lshl_b64 s[22:23], s[12:13], 8
	s_delay_alu instid0(SALU_CYCLE_1) | instskip(SKIP_2) | instid1(VALU_DEP_2)
	v_add_co_u32 v3, vcc_lo, v1, s22
	v_add_co_ci_u32_e32 v4, vcc_lo, s23, v2, vcc_lo
	s_barrier
	v_add_co_u32 v1, vcc_lo, 0x100, v3
	s_delay_alu instid0(VALU_DEP_2)
	v_add_co_ci_u32_e32 v2, vcc_lo, 0, v4, vcc_lo
	s_and_b32 vcc_lo, exec_lo, s26
	buffer_gl0_inv
	s_cbranch_vccz .LBB180_64
; %bb.47:
	v_or_b32_e32 v5, 32, v0
	s_ashr_i32 s11, s10, 31
	s_delay_alu instid0(SALU_CYCLE_1) | instskip(SKIP_1) | instid1(VALU_DEP_1)
	s_lshl_b64 s[22:23], s[10:11], 3
	s_sub_i32 s11, s10, 32
	v_lshlrev_b32_e32 v6, 3, v5
	v_cmp_le_i32_e64 s6, s11, v7
	s_delay_alu instid0(VALU_DEP_2) | instskip(SKIP_1) | instid1(VALU_DEP_2)
	v_sub_co_u32 v6, vcc_lo, v1, v6
	v_subrev_co_ci_u32_e32 v20, vcc_lo, 0, v2, vcc_lo
	v_add_co_u32 v6, vcc_lo, v6, s22
	s_delay_alu instid0(VALU_DEP_2) | instskip(NEXT) | instid1(VALU_DEP_2)
	v_add_co_ci_u32_e32 v20, vcc_lo, s23, v20, vcc_lo
	v_add_co_u32 v21, vcc_lo, v6, -8
	s_delay_alu instid0(VALU_DEP_2) | instskip(SKIP_2) | instid1(VALU_DEP_3)
	v_add_co_ci_u32_e32 v6, vcc_lo, -1, v20, vcc_lo
	v_cmp_gt_i32_e32 vcc_lo, s10, v5
	v_add_lshl_u32 v20, v8, v0, 3
	v_dual_cndmask_b32 v6, v6, v2 :: v_dual_cndmask_b32 v5, v21, v1
	s_and_saveexec_b32 s27, s6
	s_delay_alu instid0(SALU_CYCLE_1)
	s_xor_b32 s6, exec_lo, s27
	s_cbranch_execz .LBB180_49
; %bb.48:
	v_mov_b32_e32 v29, 0
	s_delay_alu instid0(VALU_DEP_1)
	v_mov_b32_e32 v30, v29
	ds_store_b64 v20, v[29:30]
.LBB180_49:
	s_and_not1_saveexec_b32 s6, s6
	s_cbranch_execz .LBB180_51
; %bb.50:
	flat_load_b64 v[29:30], v[5:6]
	s_waitcnt vmcnt(0) lgkmcnt(0)
	ds_store_b64 v20, v[29:30]
.LBB180_51:
	s_or_b32 exec_lo, exec_lo, s6
	v_add_nc_u32_e32 v21, 8, v7
	s_delay_alu instid0(VALU_DEP_1) | instskip(NEXT) | instid1(VALU_DEP_1)
	v_cmp_le_i32_e64 s6, s11, v21
	s_and_saveexec_b32 s27, s6
	s_delay_alu instid0(SALU_CYCLE_1)
	s_xor_b32 s6, exec_lo, s27
	s_cbranch_execz .LBB180_53
; %bb.52:
	v_mul_u32_u24_e32 v21, 33, v21
	v_mov_b32_e32 v29, 0
	s_delay_alu instid0(VALU_DEP_2) | instskip(NEXT) | instid1(VALU_DEP_2)
	v_add_lshl_u32 v21, v21, v0, 3
	v_mov_b32_e32 v30, v29
	ds_store_b64 v21, v[29:30]
.LBB180_53:
	s_and_not1_saveexec_b32 s27, s6
	s_cbranch_execz .LBB180_55
; %bb.54:
	s_lshl_b64 s[28:29], s[12:13], 6
	s_delay_alu instid0(SALU_CYCLE_1) | instskip(NEXT) | instid1(VALU_DEP_1)
	v_add_co_u32 v29, s6, v5, s28
	v_add_co_ci_u32_e64 v30, s6, s29, v6, s6
	flat_load_b64 v[29:30], v[29:30]
	s_waitcnt vmcnt(0) lgkmcnt(0)
	ds_store_b64 v20, v[29:30] offset:2112
.LBB180_55:
	s_or_b32 exec_lo, exec_lo, s27
	v_add_nc_u32_e32 v21, 16, v7
	s_delay_alu instid0(VALU_DEP_1) | instskip(NEXT) | instid1(VALU_DEP_1)
	v_cmp_le_i32_e64 s6, s11, v21
	s_and_saveexec_b32 s27, s6
	s_delay_alu instid0(SALU_CYCLE_1)
	s_xor_b32 s6, exec_lo, s27
	s_cbranch_execz .LBB180_57
; %bb.56:
	v_mov_b32_e32 v29, 0
	s_delay_alu instid0(VALU_DEP_1)
	v_mov_b32_e32 v30, v29
	ds_store_b64 v20, v[29:30] offset:4224
.LBB180_57:
	s_and_not1_saveexec_b32 s27, s6
	s_cbranch_execz .LBB180_59
; %bb.58:
	s_lshl_b64 s[28:29], s[12:13], 7
	s_delay_alu instid0(SALU_CYCLE_1) | instskip(NEXT) | instid1(VALU_DEP_1)
	v_add_co_u32 v29, s6, v5, s28
	v_add_co_ci_u32_e64 v30, s6, s29, v6, s6
	flat_load_b64 v[29:30], v[29:30]
	s_waitcnt vmcnt(0) lgkmcnt(0)
	ds_store_b64 v20, v[29:30] offset:4224
.LBB180_59:
	s_or_b32 exec_lo, exec_lo, s27
	v_add_nc_u32_e32 v21, 24, v7
	s_delay_alu instid0(VALU_DEP_1) | instskip(NEXT) | instid1(VALU_DEP_1)
	v_cmp_le_i32_e64 s6, s11, v21
	s_and_saveexec_b32 s11, s6
	s_delay_alu instid0(SALU_CYCLE_1)
	s_xor_b32 s6, exec_lo, s11
	s_cbranch_execz .LBB180_61
; %bb.60:
	v_mov_b32_e32 v29, 0
	s_delay_alu instid0(VALU_DEP_1)
	v_mov_b32_e32 v30, v29
	ds_store_b64 v20, v[29:30] offset:6336
                                        ; implicit-def: $vgpr20
.LBB180_61:
	s_and_not1_saveexec_b32 s6, s6
	s_cbranch_execz .LBB180_63
; %bb.62:
	v_mad_u64_u32 v[29:30], null, 0xc0, s12, v[5:6]
	s_delay_alu instid0(VALU_DEP_1) | instskip(NEXT) | instid1(VALU_DEP_1)
	v_mov_b32_e32 v21, v30
	v_mad_u64_u32 v[30:31], null, 0xc0, s13, v[21:22]
	flat_load_b64 v[29:30], v[29:30]
	s_waitcnt vmcnt(0) lgkmcnt(0)
	ds_store_b64 v20, v[29:30] offset:6336
.LBB180_63:
	s_or_b32 exec_lo, exec_lo, s6
	v_add_co_u32 v5, s6, v5, v9
	s_delay_alu instid0(VALU_DEP_1) | instskip(NEXT) | instid1(VALU_DEP_2)
	v_add_co_ci_u32_e64 v6, s6, 0, v6, s6
	v_sub_co_u32 v5, s6, v5, s22
	s_delay_alu instid0(VALU_DEP_1) | instskip(NEXT) | instid1(VALU_DEP_2)
	v_subrev_co_ci_u32_e64 v6, s6, s23, v6, s6
	v_add_co_u32 v5, s6, 0x108, v5
	s_delay_alu instid0(VALU_DEP_1) | instskip(NEXT) | instid1(VALU_DEP_1)
	v_add_co_ci_u32_e64 v6, s6, 0, v6, s6
	v_dual_cndmask_b32 v5, v5, v1 :: v_dual_cndmask_b32 v6, v6, v2
	s_branch .LBB180_66
.LBB180_64:
                                        ; implicit-def: $vgpr5_vgpr6
	s_cbranch_execz .LBB180_66
; %bb.65:
	flat_load_b64 v[5:6], v[3:4] offset:256
	s_lshl_b64 s[22:23], s[12:13], 6
	v_add_lshl_u32 v31, v8, v0, 3
	v_add_co_u32 v20, vcc_lo, v3, s22
	v_add_co_ci_u32_e32 v21, vcc_lo, s23, v4, vcc_lo
	s_waitcnt vmcnt(0) lgkmcnt(0)
	ds_store_b64 v31, v[5:6]
	flat_load_b64 v[5:6], v[20:21] offset:256
	v_add_co_u32 v20, vcc_lo, v20, s22
	v_add_co_ci_u32_e32 v21, vcc_lo, s23, v21, vcc_lo
	s_waitcnt vmcnt(0) lgkmcnt(0)
	ds_store_b64 v31, v[5:6] offset:2112
	flat_load_b64 v[5:6], v[20:21] offset:256
	v_mad_u64_u32 v[20:21], null, 0xc0, s12, v[3:4]
	s_delay_alu instid0(VALU_DEP_1)
	v_mov_b32_e32 v3, v21
	s_waitcnt vmcnt(0) lgkmcnt(0)
	ds_store_b64 v31, v[5:6] offset:4224
	v_mov_b32_e32 v6, v2
	v_mad_u64_u32 v[29:30], null, 0xc0, s13, v[3:4]
	v_mov_b32_e32 v5, v1
	s_delay_alu instid0(VALU_DEP_2)
	v_mov_b32_e32 v21, v29
	flat_load_b64 v[3:4], v[20:21] offset:256
	s_waitcnt vmcnt(0) lgkmcnt(0)
	ds_store_b64 v31, v[3:4] offset:6336
.LBB180_66:
	s_waitcnt lgkmcnt(0)
	s_barrier
	buffer_gl0_inv
	s_and_saveexec_b32 s6, s2
	s_cbranch_execnz .LBB180_91
; %bb.67:
	s_or_b32 exec_lo, exec_lo, s6
	s_and_saveexec_b32 s2, s3
	s_cbranch_execnz .LBB180_92
.LBB180_68:
	s_or_b32 exec_lo, exec_lo, s2
	s_and_saveexec_b32 s2, s4
	s_cbranch_execnz .LBB180_93
.LBB180_69:
	s_or_b32 exec_lo, exec_lo, s2
	v_add_nc_u32_e32 v29, 0x2380, v17
	s_and_saveexec_b32 s2, s5
	s_cbranch_execz .LBB180_71
.LBB180_70:
	ds_load_b64 v[1:2], v18
	s_waitcnt lgkmcnt(0)
	ds_store_b64 v16, v[1:2] offset:24
.LBB180_71:
	s_or_b32 exec_lo, exec_lo, s2
	s_waitcnt lgkmcnt(0)
	s_barrier
	buffer_gl0_inv
	ds_load_b64 v[16:17], v11
	ds_load_b128 v[1:4], v29 offset:256
	ds_load_2addr_b64 v[30:33], v19 offset1:33
	ds_load_b128 v[34:37], v29 offset:272
	ds_load_b64 v[20:21], v18
	v_cmp_eq_u32_e64 s2, 1, v7
	s_waitcnt lgkmcnt(0)
	s_barrier
	buffer_gl0_inv
	v_dual_mul_f32 v38, v2, v17 :: v_dual_mul_f32 v39, v4, v31
	v_mul_f32_e32 v17, v1, v17
	v_mul_f32_e32 v31, v3, v31
	;; [unrolled: 1-line block ×3, first 2 shown]
	s_delay_alu instid0(VALU_DEP_4) | instskip(SKIP_3) | instid1(VALU_DEP_4)
	v_fma_f32 v1, v1, v16, -v38
	v_fma_f32 v3, v3, v30, -v39
	v_dual_fmac_f32 v17, v2, v16 :: v_dual_mul_f32 v2, v37, v21
	v_fmac_f32_e32 v31, v4, v30
	v_add_f32_e32 v1, 0, v1
	v_mul_f32_e32 v16, v36, v21
	v_mul_f32_e32 v33, v34, v33
	v_add_f32_e32 v4, 0, v17
	v_fma_f32 v17, v34, v32, -v40
	v_add_f32_e32 v1, v1, v3
	v_fmac_f32_e32 v16, v37, v20
	v_fmac_f32_e32 v33, v35, v32
	v_add_f32_e32 v3, v4, v31
	v_fma_f32 v2, v36, v20, -v2
	v_add_f32_e32 v1, v1, v17
	s_delay_alu instid0(VALU_DEP_3) | instskip(NEXT) | instid1(VALU_DEP_1)
	v_add_f32_e32 v3, v3, v33
	v_dual_add_f32 v1, v1, v2 :: v_dual_add_f32 v2, v3, v16
	ds_store_b64 v28, v[1:2]
	s_waitcnt lgkmcnt(0)
	s_barrier
	buffer_gl0_inv
	s_and_saveexec_b32 s3, s2
	s_cbranch_execz .LBB180_73
; %bb.72:
	ds_load_2addr_b64 v[1:4], v23 offset1:7
	ds_load_2addr_b64 v[30:33], v23 offset0:1 offset1:2
	ds_load_2addr_b64 v[34:37], v23 offset0:3 offset1:4
	;; [unrolled: 1-line block ×3, first 2 shown]
	s_waitcnt lgkmcnt(2)
	v_dual_add_f32 v1, v30, v1 :: v_dual_add_f32 v2, v31, v2
	s_delay_alu instid0(VALU_DEP_1) | instskip(SKIP_1) | instid1(VALU_DEP_1)
	v_dual_add_f32 v1, v1, v32 :: v_dual_add_f32 v2, v2, v33
	s_waitcnt lgkmcnt(1)
	v_dual_add_f32 v1, v1, v34 :: v_dual_add_f32 v2, v2, v35
	s_delay_alu instid0(VALU_DEP_1) | instskip(SKIP_1) | instid1(VALU_DEP_1)
	v_dual_add_f32 v1, v1, v36 :: v_dual_add_f32 v2, v2, v37
	s_waitcnt lgkmcnt(0)
	v_dual_add_f32 v1, v1, v38 :: v_dual_add_f32 v2, v2, v39
	s_delay_alu instid0(VALU_DEP_1) | instskip(NEXT) | instid1(VALU_DEP_1)
	v_dual_add_f32 v1, v1, v40 :: v_dual_add_f32 v2, v2, v41
	v_dual_add_f32 v26, v1, v3 :: v_dual_add_f32 v27, v2, v4
.LBB180_73:
	s_or_b32 exec_lo, exec_lo, s3
	v_add_co_u32 v1, vcc_lo, 0xffffff00, v5
	v_add_co_ci_u32_e32 v2, vcc_lo, -1, v6, vcc_lo
	s_and_b32 vcc_lo, exec_lo, s26
	s_barrier
	buffer_gl0_inv
	s_cbranch_vccz .LBB180_94
; %bb.74:
	v_sub_co_u32 v3, vcc_lo, v1, v9
	s_ashr_i32 s11, s10, 31
	v_subrev_co_ci_u32_e32 v4, vcc_lo, 0, v2, vcc_lo
	s_lshl_b64 s[4:5], s[10:11], 3
	s_sub_i32 s6, s10, 32
	v_add_co_u32 v3, vcc_lo, v3, s4
	s_delay_alu instid0(VALU_DEP_2) | instskip(SKIP_1) | instid1(VALU_DEP_3)
	v_add_co_ci_u32_e32 v4, vcc_lo, s5, v4, vcc_lo
	v_cmp_le_i32_e64 s3, s6, v7
	v_add_co_u32 v3, vcc_lo, v3, -8
	s_delay_alu instid0(VALU_DEP_3) | instskip(SKIP_2) | instid1(VALU_DEP_3)
	v_add_co_ci_u32_e32 v4, vcc_lo, -1, v4, vcc_lo
	v_cmp_gt_i32_e32 vcc_lo, s10, v0
	v_add_lshl_u32 v16, v8, v0, 3
	v_dual_cndmask_b32 v4, v4, v2 :: v_dual_cndmask_b32 v3, v3, v1
	s_and_saveexec_b32 s11, s3
	s_delay_alu instid0(SALU_CYCLE_1)
	s_xor_b32 s3, exec_lo, s11
	s_cbranch_execz .LBB180_76
; %bb.75:
	v_mov_b32_e32 v5, 0
	s_delay_alu instid0(VALU_DEP_1)
	v_mov_b32_e32 v6, v5
	ds_store_b64 v16, v[5:6]
.LBB180_76:
	s_and_not1_saveexec_b32 s3, s3
	s_cbranch_execz .LBB180_78
; %bb.77:
	flat_load_b64 v[5:6], v[3:4]
	s_waitcnt vmcnt(0) lgkmcnt(0)
	ds_store_b64 v16, v[5:6]
.LBB180_78:
	s_or_b32 exec_lo, exec_lo, s3
	v_add_nc_u32_e32 v5, 8, v7
	s_delay_alu instid0(VALU_DEP_1) | instskip(NEXT) | instid1(VALU_DEP_1)
	v_cmp_le_i32_e64 s3, s6, v5
	s_and_saveexec_b32 s11, s3
	s_delay_alu instid0(SALU_CYCLE_1)
	s_xor_b32 s3, exec_lo, s11
	s_cbranch_execz .LBB180_80
; %bb.79:
	v_mul_u32_u24_e32 v6, 33, v5
	v_mov_b32_e32 v20, 0
	s_delay_alu instid0(VALU_DEP_2) | instskip(NEXT) | instid1(VALU_DEP_2)
	v_add_lshl_u32 v6, v6, v0, 3
	v_mov_b32_e32 v21, v20
	ds_store_b64 v6, v[20:21]
.LBB180_80:
	s_and_not1_saveexec_b32 s11, s3
	s_cbranch_execz .LBB180_82
; %bb.81:
	s_lshl_b64 s[22:23], s[12:13], 6
	s_delay_alu instid0(SALU_CYCLE_1) | instskip(NEXT) | instid1(VALU_DEP_1)
	v_add_co_u32 v20, s3, v3, s22
	v_add_co_ci_u32_e64 v21, s3, s23, v4, s3
	flat_load_b64 v[20:21], v[20:21]
	s_waitcnt vmcnt(0) lgkmcnt(0)
	ds_store_b64 v16, v[20:21] offset:2112
.LBB180_82:
	s_or_b32 exec_lo, exec_lo, s11
	v_add_nc_u32_e32 v6, 16, v7
	s_delay_alu instid0(VALU_DEP_1) | instskip(NEXT) | instid1(VALU_DEP_1)
	v_cmp_le_i32_e64 s3, s6, v6
	s_and_saveexec_b32 s11, s3
	s_delay_alu instid0(SALU_CYCLE_1)
	s_xor_b32 s3, exec_lo, s11
	s_cbranch_execz .LBB180_84
; %bb.83:
	v_mov_b32_e32 v20, 0
	s_delay_alu instid0(VALU_DEP_1)
	v_mov_b32_e32 v21, v20
	ds_store_b64 v16, v[20:21] offset:4224
.LBB180_84:
	s_and_not1_saveexec_b32 s11, s3
	s_cbranch_execz .LBB180_86
; %bb.85:
	s_lshl_b64 s[22:23], s[12:13], 7
	s_delay_alu instid0(SALU_CYCLE_1) | instskip(NEXT) | instid1(VALU_DEP_1)
	v_add_co_u32 v20, s3, v3, s22
	v_add_co_ci_u32_e64 v21, s3, s23, v4, s3
	flat_load_b64 v[20:21], v[20:21]
	s_waitcnt vmcnt(0) lgkmcnt(0)
	ds_store_b64 v16, v[20:21] offset:4224
.LBB180_86:
	s_or_b32 exec_lo, exec_lo, s11
	v_add_nc_u32_e32 v20, 24, v7
	s_delay_alu instid0(VALU_DEP_1) | instskip(NEXT) | instid1(VALU_DEP_1)
	v_cmp_le_i32_e64 s3, s6, v20
	s_and_saveexec_b32 s6, s3
	s_delay_alu instid0(SALU_CYCLE_1)
	s_xor_b32 s3, exec_lo, s6
	s_cbranch_execz .LBB180_88
; %bb.87:
	v_mov_b32_e32 v30, 0
	s_delay_alu instid0(VALU_DEP_1)
	v_mov_b32_e32 v31, v30
	ds_store_b64 v16, v[30:31] offset:6336
                                        ; implicit-def: $vgpr16
.LBB180_88:
	s_and_not1_saveexec_b32 s3, s3
	s_cbranch_execz .LBB180_90
; %bb.89:
	v_mad_u64_u32 v[30:31], null, 0xc0, s12, v[3:4]
	s_delay_alu instid0(VALU_DEP_1) | instskip(NEXT) | instid1(VALU_DEP_1)
	v_mov_b32_e32 v17, v31
	v_mad_u64_u32 v[31:32], null, 0xc0, s13, v[17:18]
	flat_load_b64 v[30:31], v[30:31]
	s_waitcnt vmcnt(0) lgkmcnt(0)
	ds_store_b64 v16, v[30:31] offset:6336
.LBB180_90:
	s_or_b32 exec_lo, exec_lo, s3
	v_add_co_u32 v3, s3, v3, v9
	s_delay_alu instid0(VALU_DEP_1) | instskip(NEXT) | instid1(VALU_DEP_2)
	v_add_co_ci_u32_e64 v4, s3, 0, v4, s3
	v_sub_co_u32 v3, s3, v3, s4
	s_delay_alu instid0(VALU_DEP_1) | instskip(NEXT) | instid1(VALU_DEP_2)
	v_subrev_co_ci_u32_e64 v4, s3, s5, v4, s3
	v_add_co_u32 v3, s3, v3, 8
	s_delay_alu instid0(VALU_DEP_1) | instskip(NEXT) | instid1(VALU_DEP_1)
	v_add_co_ci_u32_e64 v4, s3, 0, v4, s3
	v_dual_cndmask_b32 v16, v3, v1 :: v_dual_cndmask_b32 v17, v4, v2
	s_branch .LBB180_96
.LBB180_91:
	ds_load_b64 v[1:2], v11
	s_waitcnt lgkmcnt(0)
	ds_store_b64 v16, v[1:2]
	s_or_b32 exec_lo, exec_lo, s6
	s_and_saveexec_b32 s2, s3
	s_cbranch_execz .LBB180_68
.LBB180_92:
	ds_load_b64 v[1:2], v19
	s_waitcnt lgkmcnt(0)
	ds_store_b64 v16, v[1:2] offset:8
	s_or_b32 exec_lo, exec_lo, s2
	s_and_saveexec_b32 s2, s4
	s_cbranch_execz .LBB180_69
.LBB180_93:
	ds_load_b64 v[1:2], v19 offset:264
	s_waitcnt lgkmcnt(0)
	ds_store_b64 v16, v[1:2] offset:16
	s_or_b32 exec_lo, exec_lo, s2
	v_add_nc_u32_e32 v29, 0x2380, v17
	s_and_saveexec_b32 s2, s5
	s_cbranch_execnz .LBB180_70
	s_branch .LBB180_71
.LBB180_94:
                                        ; implicit-def: $vgpr16_vgpr17
                                        ; implicit-def: $vgpr5
                                        ; implicit-def: $vgpr6
                                        ; implicit-def: $vgpr20
	s_cbranch_execz .LBB180_96
; %bb.95:
	flat_load_b64 v[3:4], v[1:2]
	s_lshl_b64 s[4:5], s[12:13], 6
	v_add_lshl_u32 v21, v8, v0, 3
	v_add_co_u32 v5, vcc_lo, v1, s4
	v_add_co_ci_u32_e32 v6, vcc_lo, s5, v2, vcc_lo
	v_dual_mov_b32 v17, v2 :: v_dual_add_nc_u32 v20, 24, v7
	v_mov_b32_e32 v16, v1
	s_waitcnt vmcnt(0) lgkmcnt(0)
	ds_store_b64 v21, v[3:4]
	flat_load_b64 v[3:4], v[5:6]
	v_add_co_u32 v5, vcc_lo, v5, s4
	v_add_co_ci_u32_e32 v6, vcc_lo, s5, v6, vcc_lo
	s_waitcnt vmcnt(0) lgkmcnt(0)
	ds_store_b64 v21, v[3:4] offset:2112
	flat_load_b64 v[3:4], v[5:6]
	v_mad_u64_u32 v[5:6], null, 0xc0, s12, v[1:2]
	s_delay_alu instid0(VALU_DEP_1) | instskip(NEXT) | instid1(VALU_DEP_1)
	v_mov_b32_e32 v0, v6
	v_mad_u64_u32 v[8:9], null, 0xc0, s13, v[0:1]
	s_delay_alu instid0(VALU_DEP_1)
	v_mov_b32_e32 v6, v8
	s_waitcnt vmcnt(0) lgkmcnt(0)
	ds_store_b64 v21, v[3:4] offset:4224
	flat_load_b64 v[3:4], v[5:6]
	v_add_nc_u32_e32 v5, 8, v7
	v_add_nc_u32_e32 v6, 16, v7
	s_waitcnt vmcnt(0) lgkmcnt(0)
	ds_store_b64 v21, v[3:4] offset:6336
.LBB180_96:
	s_waitcnt lgkmcnt(0)
	s_barrier
	buffer_gl0_inv
	ds_load_b64 v[30:31], v28
	v_lshlrev_b32_e32 v0, 3, v7
	v_add_lshl_u32 v1, v5, v10, 3
	v_lshlrev_b32_e32 v2, 3, v5
	v_add_lshl_u32 v3, v6, v10, 3
	;; [unrolled: 2-line block ×3, first 2 shown]
	v_lshlrev_b32_e32 v6, 3, v20
	ds_load_b64 v[32:33], v0 offset:9088
	ds_load_b64 v[34:35], v1
	ds_load_b64 v[36:37], v2 offset:9088
	ds_load_b64 v[38:39], v3
	ds_load_b64 v[40:41], v4 offset:9088
	ds_load_b64 v[42:43], v5
	ds_load_b64 v[44:45], v6 offset:9088
	ds_load_b64 v[20:21], v11
	ds_load_b128 v[8:11], v29 offset:256
	ds_load_b128 v[0:3], v29 offset:272
	ds_load_2addr_b64 v[4:7], v19 offset1:33
	ds_load_b64 v[18:19], v18
	s_waitcnt lgkmcnt(0)
	s_barrier
	buffer_gl0_inv
	v_mul_f32_e32 v29, v33, v31
	v_mul_f32_e32 v47, v41, v39
	;; [unrolled: 1-line block ×4, first 2 shown]
	s_delay_alu instid0(VALU_DEP_4) | instskip(SKIP_1) | instid1(VALU_DEP_4)
	v_fma_f32 v29, v32, v30, -v29
	v_mul_f32_e32 v46, v37, v35
	v_dual_fmac_f32 v31, v33, v30 :: v_dual_mul_f32 v30, v40, v39
	v_mul_f32_e32 v35, v36, v35
	s_delay_alu instid0(VALU_DEP_4) | instskip(NEXT) | instid1(VALU_DEP_4)
	v_add_f32_e32 v29, 0, v29
	v_fma_f32 v32, v36, v34, -v46
	s_delay_alu instid0(VALU_DEP_4) | instskip(NEXT) | instid1(VALU_DEP_4)
	v_dual_fmac_f32 v30, v41, v38 :: v_dual_mul_f32 v33, v44, v43
	v_fmac_f32_e32 v35, v37, v34
	v_fma_f32 v34, v40, v38, -v47
	s_delay_alu instid0(VALU_DEP_4) | instskip(SKIP_3) | instid1(VALU_DEP_4)
	v_add_f32_e32 v29, v29, v32
	v_fma_f32 v32, v44, v42, -v48
	v_fmac_f32_e32 v33, v45, v42
	v_add_f32_e32 v31, 0, v31
	v_add_f32_e32 v29, v29, v34
	s_delay_alu instid0(VALU_DEP_2) | instskip(NEXT) | instid1(VALU_DEP_1)
	v_add_f32_e32 v31, v31, v35
	v_dual_add_f32 v29, v29, v32 :: v_dual_add_f32 v30, v31, v30
	s_delay_alu instid0(VALU_DEP_1)
	v_add_f32_e32 v30, v30, v33
	ds_store_b64 v28, v[29:30]
	s_waitcnt lgkmcnt(0)
	s_barrier
	buffer_gl0_inv
	s_and_saveexec_b32 s3, s2
	s_cbranch_execz .LBB180_98
; %bb.97:
	ds_load_2addr_b64 v[29:32], v23 offset1:1
	ds_load_2addr_b64 v[33:36], v23 offset0:2 offset1:3
	ds_load_2addr_b64 v[37:40], v23 offset0:4 offset1:5
	s_waitcnt lgkmcnt(2)
	v_dual_add_f32 v26, v26, v29 :: v_dual_add_f32 v27, v27, v30
	s_delay_alu instid0(VALU_DEP_1) | instskip(SKIP_3) | instid1(VALU_DEP_1)
	v_dual_add_f32 v26, v26, v31 :: v_dual_add_f32 v27, v27, v32
	ds_load_2addr_b64 v[29:32], v23 offset0:6 offset1:7
	s_waitcnt lgkmcnt(2)
	v_dual_add_f32 v26, v26, v33 :: v_dual_add_f32 v27, v27, v34
	v_dual_add_f32 v26, v26, v35 :: v_dual_add_f32 v27, v27, v36
	s_waitcnt lgkmcnt(1)
	s_delay_alu instid0(VALU_DEP_1) | instskip(NEXT) | instid1(VALU_DEP_1)
	v_dual_add_f32 v26, v26, v37 :: v_dual_add_f32 v27, v27, v38
	v_dual_add_f32 v26, v26, v39 :: v_dual_add_f32 v27, v27, v40
	s_waitcnt lgkmcnt(0)
	s_delay_alu instid0(VALU_DEP_1) | instskip(NEXT) | instid1(VALU_DEP_1)
	v_dual_add_f32 v26, v26, v29 :: v_dual_add_f32 v27, v27, v30
	v_dual_add_f32 v26, v26, v31 :: v_dual_add_f32 v27, v27, v32
.LBB180_98:
	s_or_b32 exec_lo, exec_lo, s3
	v_mul_f32_e32 v29, v9, v21
	v_mul_f32_e32 v21, v8, v21
	v_dual_mul_f32 v30, v11, v5 :: v_dual_mul_f32 v31, v1, v7
	s_delay_alu instid0(VALU_DEP_3) | instskip(NEXT) | instid1(VALU_DEP_3)
	v_fma_f32 v8, v8, v20, -v29
	v_fmac_f32_e32 v21, v9, v20
	v_mul_f32_e32 v7, v0, v7
	s_delay_alu instid0(VALU_DEP_4)
	v_fma_f32 v0, v0, v6, -v31
	s_barrier
	v_dual_add_f32 v8, 0, v8 :: v_dual_mul_f32 v5, v10, v5
	v_fma_f32 v10, v10, v4, -v30
	buffer_gl0_inv
	v_dual_add_f32 v8, v8, v10 :: v_dual_mul_f32 v9, v3, v19
	v_fmac_f32_e32 v5, v11, v4
	s_delay_alu instid0(VALU_DEP_2) | instskip(NEXT) | instid1(VALU_DEP_3)
	v_dual_mul_f32 v11, v2, v19 :: v_dual_add_f32 v0, v8, v0
	v_fma_f32 v2, v2, v18, -v9
	s_delay_alu instid0(VALU_DEP_2) | instskip(NEXT) | instid1(VALU_DEP_2)
	v_fmac_f32_e32 v11, v3, v18
	v_add_f32_e32 v0, v0, v2
	v_dual_add_f32 v4, 0, v21 :: v_dual_fmac_f32 v7, v1, v6
	s_delay_alu instid0(VALU_DEP_1) | instskip(NEXT) | instid1(VALU_DEP_1)
	v_add_f32_e32 v1, v4, v5
	v_add_f32_e32 v1, v1, v7
	s_delay_alu instid0(VALU_DEP_1)
	v_add_f32_e32 v1, v1, v11
	ds_store_b64 v28, v[0:1]
	s_waitcnt lgkmcnt(0)
	s_barrier
	buffer_gl0_inv
	s_and_saveexec_b32 s2, s1
	s_cbranch_execz .LBB180_100
; %bb.99:
	ds_load_2addr_b64 v[0:3], v23 offset1:1
	ds_load_2addr_b64 v[4:7], v23 offset0:2 offset1:3
	ds_load_2addr_b64 v[8:11], v23 offset0:4 offset1:5
	s_waitcnt lgkmcnt(2)
	v_dual_add_f32 v0, v26, v0 :: v_dual_add_f32 v1, v27, v1
	s_delay_alu instid0(VALU_DEP_1) | instskip(SKIP_3) | instid1(VALU_DEP_1)
	v_dual_add_f32 v18, v0, v2 :: v_dual_add_f32 v19, v1, v3
	ds_load_2addr_b64 v[0:3], v23 offset0:6 offset1:7
	s_waitcnt lgkmcnt(2)
	v_dual_add_f32 v4, v18, v4 :: v_dual_add_f32 v5, v19, v5
	v_dual_add_f32 v4, v4, v6 :: v_dual_add_f32 v5, v5, v7
	s_waitcnt lgkmcnt(1)
	s_delay_alu instid0(VALU_DEP_1) | instskip(NEXT) | instid1(VALU_DEP_1)
	v_dual_add_f32 v4, v4, v8 :: v_dual_add_f32 v5, v5, v9
	v_dual_add_f32 v4, v4, v10 :: v_dual_add_f32 v5, v5, v11
	s_waitcnt lgkmcnt(0)
	s_delay_alu instid0(VALU_DEP_1) | instskip(NEXT) | instid1(VALU_DEP_1)
	v_dual_add_f32 v0, v4, v0 :: v_dual_add_f32 v1, v5, v1
	v_dual_add_f32 v26, v0, v2 :: v_dual_add_f32 v27, v1, v3
.LBB180_100:
	s_or_b32 exec_lo, exec_lo, s2
	s_mul_hi_u32 s1, s24, s18
	s_mul_i32 s25, s25, s18
	s_mul_i32 s2, s24, s18
	s_add_i32 s1, s1, s25
	s_mul_hi_u32 s3, s2, s7
	s_mul_i32 s1, s1, s7
	s_mul_i32 s2, s2, s7
	s_add_i32 s3, s3, s1
	s_mul_hi_i32 s5, s24, s14
	s_lshl_b64 s[2:3], s[2:3], 3
	s_mul_i32 s4, s24, s14
	s_add_u32 s1, s20, s2
	s_addc_u32 s11, s21, s3
	s_lshl_b64 s[2:3], s[4:5], 3
	v_lshlrev_b32_e32 v95, 3, v93
	s_add_u32 s6, s1, s2
	s_addc_u32 s11, s11, s3
	s_add_i32 s1, s14, 1
	s_delay_alu instid0(SALU_CYCLE_1)
	s_cmp_ge_u32 s1, s7
	s_barrier
	buffer_gl0_inv
	s_cbranch_scc1 .LBB180_158
; %bb.101:
	v_and_b32_e32 v6, 48, v93
	v_lshrrev_b32_e32 v8, 4, v22
	v_lshlrev_b32_e32 v9, 5, v94
	v_dual_mov_b32 v28, 0 :: v_dual_and_b32 v7, 15, v93
	s_delay_alu instid0(VALU_DEP_4)
	v_lshlrev_b32_e32 v0, 3, v6
	v_or_b32_e32 v1, 0x78, v95
	v_lshlrev_b32_e32 v2, 5, v8
	v_add_nc_u32_e32 v10, 0x110, v9
	v_add_nc_u32_e32 v11, 0x108, v9
	v_mad_u32_u24 v101, 0x218, v7, v0
	v_mad_u32_u24 v102, 0x218, v7, v1
	;; [unrolled: 1-line block ×3, first 2 shown]
	v_mad_u64_u32 v[0:1], null, s12, v10, 0
	v_mad_u64_u32 v[2:3], null, s12, v11, 0
	s_mul_i32 s1, s16, s9
	s_mul_hi_u32 s2, s16, s8
	s_mul_i32 s3, s17, s8
	s_add_i32 s1, s2, s1
	v_lshlrev_b32_e32 v96, 2, v94
	s_add_i32 s3, s1, s3
	s_delay_alu instid0(VALU_DEP_2)
	v_mad_u64_u32 v[4:5], null, s13, v10, v[1:2]
	v_mov_b32_e32 v1, v3
	v_mul_i32_i24_e32 v10, 0xffffffe8, v8
	v_add_nc_u32_e32 v8, 0x100, v9
	s_mul_i32 s2, s16, s8
	v_or_b32_e32 v121, v6, v7
	s_lshl_b64 s[2:3], s[2:3], 3
	v_mov_b32_e32 v7, v4
	v_mad_u64_u32 v[5:6], null, s12, v8, 0
	v_sub_co_u32 v97, vcc_lo, v14, s2
	v_mad_u64_u32 v[3:4], null, s13, v11, v[1:2]
	v_subrev_co_ci_u32_e32 v98, vcc_lo, s3, v15, vcc_lo
	v_sub_co_u32 v1, vcc_lo, v0, v12
	v_dual_mov_b32 v0, v6 :: v_dual_add_nc_u32 v99, 0x2180, v95
	v_sub_co_ci_u32_e32 v4, vcc_lo, v7, v13, vcc_lo
	s_delay_alu instid0(VALU_DEP_3) | instskip(SKIP_1) | instid1(VALU_DEP_3)
	v_add_co_u32 v122, vcc_lo, v16, v1
	v_mov_b32_e32 v7, v3
	v_add_co_ci_u32_e32 v123, vcc_lo, v17, v4, vcc_lo
	v_mad_u64_u32 v[3:4], null, s13, v8, v[0:1]
	v_sub_co_u32 v2, vcc_lo, v2, v12
	s_delay_alu instid0(VALU_DEP_4) | instskip(SKIP_1) | instid1(VALU_DEP_3)
	v_sub_co_ci_u32_e32 v4, vcc_lo, v7, v13, vcc_lo
	v_cmp_gt_u32_e64 s1, 64, v22
	v_add_co_u32 v124, vcc_lo, v16, v2
	s_delay_alu instid0(VALU_DEP_3)
	v_add_co_ci_u32_e32 v125, vcc_lo, v17, v4, vcc_lo
	v_mov_b32_e32 v4, v3
	v_add_nc_u32_e32 v6, 0x118, v9
	v_add_nc_u32_e32 v11, 0x190, v9
	;; [unrolled: 1-line block ×3, first 2 shown]
	v_sub_co_u32 v7, vcc_lo, v5, v12
	s_delay_alu instid0(VALU_DEP_4) | instskip(NEXT) | instid1(VALU_DEP_4)
	v_mad_u64_u32 v[0:1], null, s12, v6, 0
	v_mad_u64_u32 v[2:3], null, s12, v11, 0
	v_sub_co_ci_u32_e32 v8, vcc_lo, v4, v13, vcc_lo
	v_add_nc_u32_e32 v100, 0x2380, v95
	v_add_co_u32 v126, vcc_lo, v16, v7
	s_delay_alu instid0(VALU_DEP_3)
	v_add_co_ci_u32_e32 v127, vcc_lo, v17, v8, vcc_lo
	v_mad_u64_u32 v[4:5], null, s13, v6, v[1:2]
	v_mov_b32_e32 v1, v3
	v_mad_u64_u32 v[5:6], null, s12, v14, 0
	v_add_nc_u32_e32 v110, 17, v96
	v_add_nc_u32_e32 v15, 0x290, v9
	s_delay_alu instid0(VALU_DEP_4) | instskip(SKIP_4) | instid1(VALU_DEP_4)
	v_mad_u64_u32 v[7:8], null, s13, v11, v[1:2]
	v_mov_b32_e32 v3, v4
	v_add_nc_u32_e32 v11, 0x180, v9
	v_mov_b32_e32 v1, v6
	v_sub_co_u32 v6, vcc_lo, v0, v12
	v_sub_co_ci_u32_e32 v8, vcc_lo, v3, v13, vcc_lo
	s_delay_alu instid0(VALU_DEP_3) | instskip(SKIP_1) | instid1(VALU_DEP_4)
	v_mad_u64_u32 v[3:4], null, s13, v14, v[1:2]
	v_mad_u64_u32 v[0:1], null, s12, v11, 0
	v_add_co_u32 v128, vcc_lo, v16, v6
	s_delay_alu instid0(VALU_DEP_4)
	v_add_co_ci_u32_e32 v129, vcc_lo, v17, v8, vcc_lo
	v_add_nc_u32_e32 v107, 0x2180, v9
	v_sub_co_u32 v6, vcc_lo, v2, v12
	v_mov_b32_e32 v2, v3
	v_add_nc_u32_e32 v8, 0x198, v9
	v_sub_co_ci_u32_e32 v7, vcc_lo, v7, v13, vcc_lo
	v_sub_co_u32 v5, vcc_lo, v5, v12
	s_delay_alu instid0(VALU_DEP_4)
	v_sub_co_ci_u32_e32 v14, vcc_lo, v2, v13, vcc_lo
	v_mad_u64_u32 v[2:3], null, s13, v11, v[1:2]
	v_mad_u64_u32 v[3:4], null, s12, v8, 0
	v_add_co_u32 v130, vcc_lo, v16, v6
	v_add_co_ci_u32_e32 v131, vcc_lo, v17, v7, vcc_lo
	v_add_co_u32 v132, vcc_lo, v16, v5
	v_add_co_ci_u32_e32 v133, vcc_lo, v17, v14, vcc_lo
	v_sub_co_u32 v0, vcc_lo, v0, v12
	v_mov_b32_e32 v1, v4
	v_sub_co_ci_u32_e32 v2, vcc_lo, v2, v13, vcc_lo
	v_add_nc_u32_e32 v11, 0x210, v9
	s_delay_alu instid0(VALU_DEP_4) | instskip(NEXT) | instid1(VALU_DEP_3)
	v_add_co_u32 v134, vcc_lo, v16, v0
	v_mad_u64_u32 v[6:7], null, s13, v8, v[1:2]
	s_delay_alu instid0(VALU_DEP_3) | instskip(SKIP_4) | instid1(VALU_DEP_4)
	v_mad_u64_u32 v[4:5], null, s12, v11, 0
	v_add_nc_u32_e32 v7, 0x208, v9
	v_add_co_ci_u32_e32 v135, vcc_lo, v17, v2, vcc_lo
	v_add_nc_u32_e32 v109, 16, v96
	v_dual_mov_b32 v8, v6 :: v_dual_add_nc_u32 v111, 18, v96
	v_mad_u64_u32 v[1:2], null, s12, v7, 0
	v_mov_b32_e32 v0, v5
	v_sub_co_u32 v3, vcc_lo, v3, v12
	v_add_nc_u32_e32 v113, 32, v96
	v_or_b32_e32 v104, 1, v96
	v_or_b32_e32 v105, 2, v96
	v_mad_u64_u32 v[5:6], null, s13, v11, v[0:1]
	v_mov_b32_e32 v0, v2
	v_sub_co_ci_u32_e32 v6, vcc_lo, v8, v13, vcc_lo
	v_add_nc_u32_e32 v112, 19, v96
	v_add_co_u32 v136, vcc_lo, v16, v3
	v_dual_mov_b32 v11, v5 :: v_dual_add_nc_u32 v8, 0x200, v9
	s_delay_alu instid0(VALU_DEP_4) | instskip(SKIP_2) | instid1(VALU_DEP_4)
	v_add_co_ci_u32_e32 v137, vcc_lo, v17, v6, vcc_lo
	v_mad_u64_u32 v[2:3], null, s13, v7, v[0:1]
	v_sub_co_u32 v0, vcc_lo, v4, v12
	v_mad_u64_u32 v[5:6], null, s12, v8, 0
	v_sub_co_ci_u32_e32 v3, vcc_lo, v11, v13, vcc_lo
	v_add_nc_u32_e32 v11, 0x218, v9
	s_delay_alu instid0(VALU_DEP_4) | instskip(SKIP_1) | instid1(VALU_DEP_4)
	v_add_co_u32 v138, vcc_lo, v16, v0
	v_dual_mov_b32 v4, v2 :: v_dual_add_nc_u32 v115, 34, v96
	v_add_co_ci_u32_e32 v139, vcc_lo, v17, v3, vcc_lo
	s_delay_alu instid0(VALU_DEP_4) | instskip(SKIP_4) | instid1(VALU_DEP_3)
	v_mad_u64_u32 v[2:3], null, s12, v11, 0
	v_dual_mov_b32 v0, v6 :: v_dual_add_nc_u32 v117, 48, v96
	v_sub_co_u32 v1, vcc_lo, v1, v12
	v_sub_co_ci_u32_e32 v14, vcc_lo, v4, v13, vcc_lo
	v_or_b32_e32 v106, 3, v96
	v_mad_u64_u32 v[6:7], null, s13, v8, v[0:1]
	v_mov_b32_e32 v0, v3
	v_mad_u64_u32 v[3:4], null, s12, v15, 0
	v_add_nc_u32_e32 v114, 33, v96
	v_add_nc_u32_e32 v119, 50, v96
	v_add_co_u32 v140, vcc_lo, v16, v1
	v_mad_u64_u32 v[7:8], null, s13, v11, v[0:1]
	v_dual_mov_b32 v0, v4 :: v_dual_mov_b32 v1, v6
	v_add_nc_u32_e32 v11, 0x288, v9
	v_add_co_ci_u32_e32 v141, vcc_lo, v17, v14, vcc_lo
	v_sub_co_u32 v6, vcc_lo, v5, v12
	s_delay_alu instid0(VALU_DEP_4) | instskip(SKIP_2) | instid1(VALU_DEP_4)
	v_sub_co_ci_u32_e32 v8, vcc_lo, v1, v13, vcc_lo
	v_mad_u64_u32 v[4:5], null, s13, v15, v[0:1]
	v_mad_u64_u32 v[0:1], null, s12, v11, 0
	v_add_co_u32 v142, vcc_lo, v16, v6
	v_add_nc_u32_e32 v15, 0x280, v9
	v_add_nc_u32_e32 v9, 0x298, v9
	v_add_co_ci_u32_e32 v143, vcc_lo, v17, v8, vcc_lo
	v_sub_co_u32 v8, vcc_lo, v2, v12
	v_mov_b32_e32 v14, v4
	v_mad_u64_u32 v[4:5], null, s13, v11, v[1:2]
	v_sub_co_ci_u32_e32 v7, vcc_lo, v7, v13, vcc_lo
	v_mad_u64_u32 v[5:6], null, s12, v9, 0
	v_add_co_u32 v144, vcc_lo, v16, v8
	v_mad_u64_u32 v[1:2], null, s12, v15, 0
	s_delay_alu instid0(VALU_DEP_4)
	v_add_co_ci_u32_e32 v145, vcc_lo, v17, v7, vcc_lo
	v_sub_co_u32 v11, vcc_lo, v3, v12
	v_dual_mov_b32 v3, v6 :: v_dual_add_nc_u32 v116, 35, v96
	v_sub_co_ci_u32_e32 v14, vcc_lo, v14, v13, vcc_lo
	v_sub_co_u32 v0, vcc_lo, v0, v12
	v_sub_co_ci_u32_e32 v4, vcc_lo, v4, v13, vcc_lo
	s_delay_alu instid0(VALU_DEP_4) | instskip(SKIP_1) | instid1(VALU_DEP_3)
	v_mad_u64_u32 v[6:7], null, s13, v15, v[2:3]
	v_add_co_u32 v146, vcc_lo, v16, v11
	v_mad_u64_u32 v[7:8], null, s13, v9, v[3:4]
	v_add_co_ci_u32_e32 v147, vcc_lo, v17, v14, vcc_lo
	v_add_co_u32 v148, vcc_lo, v16, v0
	v_mov_b32_e32 v0, v6
	v_add_co_ci_u32_e32 v149, vcc_lo, v17, v4, vcc_lo
	v_mov_b32_e32 v2, v7
	v_sub_co_u32 v1, vcc_lo, v1, v12
	s_delay_alu instid0(VALU_DEP_4) | instskip(SKIP_1) | instid1(VALU_DEP_4)
	v_sub_co_ci_u32_e32 v0, vcc_lo, v0, v13, vcc_lo
	v_sub_co_u32 v3, vcc_lo, v5, v12
	v_sub_co_ci_u32_e32 v2, vcc_lo, v2, v13, vcc_lo
	s_delay_alu instid0(VALU_DEP_4) | instskip(NEXT) | instid1(VALU_DEP_4)
	v_add_co_u32 v150, vcc_lo, v16, v1
	v_add_co_ci_u32_e32 v151, vcc_lo, v17, v0, vcc_lo
	s_delay_alu instid0(VALU_DEP_4)
	v_add_co_u32 v152, vcc_lo, v16, v3
	v_mad_u32_u24 v108, 0x860, v94, v95
	v_add_nc_u32_e32 v118, 49, v96
	v_add_nc_u32_e32 v120, 51, v96
	v_add_co_ci_u32_e32 v153, vcc_lo, v17, v2, vcc_lo
	v_add_nc_u32_e32 v154, v103, v10
	s_add_i32 s17, s7, -2
	s_add_i32 s16, s16, 64
	s_lshl_b64 s[4:5], s[12:13], 9
	s_cmp_eq_u32 s17, s14
	s_cselect_b32 s12, s15, 0
	s_and_saveexec_b32 s2, s0
	s_cbranch_execz .LBB180_106
.LBB180_102:
	v_cmp_le_i32_e32 vcc_lo, s12, v93
	s_cmp_lg_u32 s12, 0
	s_cselect_b32 s3, -1, 0
	s_delay_alu instid0(SALU_CYCLE_1) | instskip(NEXT) | instid1(SALU_CYCLE_1)
	s_and_b32 s3, s3, vcc_lo
	s_and_saveexec_b32 s13, s3
	s_delay_alu instid0(SALU_CYCLE_1)
	s_xor_b32 s3, exec_lo, s13
	s_cbranch_execz .LBB180_104
; %bb.103:
	v_mov_b32_e32 v29, v28
	ds_store_b64 v99, v[28:29]
.LBB180_104:
	s_and_not1_saveexec_b32 s3, s3
	s_cbranch_execz .LBB180_106
; %bb.105:
	s_mul_i32 s3, s16, s9
	s_mul_hi_u32 s13, s16, s8
	s_ashr_i32 s18, s16, 31
	s_add_i32 s3, s13, s3
	s_mul_i32 s18, s18, s8
	s_mul_i32 s20, s16, s8
	s_add_i32 s21, s3, s18
	s_delay_alu instid0(SALU_CYCLE_1) | instskip(NEXT) | instid1(SALU_CYCLE_1)
	s_lshl_b64 s[20:21], s[20:21], 3
	v_add_co_u32 v0, vcc_lo, v97, s20
	v_add_co_ci_u32_e32 v1, vcc_lo, s21, v98, vcc_lo
	flat_load_b64 v[0:1], v[0:1]
	s_waitcnt vmcnt(0) lgkmcnt(0)
	ds_store_b64 v99, v[0:1]
.LBB180_106:                            ; =>This Inner Loop Header: Depth=1
	s_or_b32 exec_lo, exec_lo, s2
	s_cmp_eq_u32 s12, 0
	v_add_co_u32 v0, vcc_lo, v126, v95
	s_cselect_b32 s13, -1, 0
	s_cmp_lg_u32 s12, 0
	v_add_co_ci_u32_e32 v1, vcc_lo, 0, v127, vcc_lo
	s_cselect_b32 s18, -1, 0
	s_waitcnt lgkmcnt(0)
	s_and_b32 vcc_lo, exec_lo, s18
	s_barrier
	buffer_gl0_inv
	s_cbranch_vccz .LBB180_114
; %bb.107:                              ;   in Loop: Header=BB180_106 Depth=1
	v_mov_b32_e32 v29, 0
	v_mov_b32_e32 v30, 0
	s_mov_b32 s2, exec_lo
	s_delay_alu instid0(VALU_DEP_1)
	v_dual_mov_b32 v32, v30 :: v_dual_mov_b32 v31, v29
	v_cmpx_gt_i32_e64 s12, v96
	s_cbranch_execz .LBB180_109
; %bb.108:                              ;   in Loop: Header=BB180_106 Depth=1
	flat_load_b64 v[31:32], v[0:1]
.LBB180_109:                            ;   in Loop: Header=BB180_106 Depth=1
	s_or_b32 exec_lo, exec_lo, s2
	s_delay_alu instid0(SALU_CYCLE_1)
	s_mov_b32 s2, exec_lo
	v_cmpx_gt_i32_e64 s12, v104
	s_cbranch_execz .LBB180_111
; %bb.110:                              ;   in Loop: Header=BB180_106 Depth=1
	v_add_co_u32 v2, vcc_lo, v124, v95
	v_add_co_ci_u32_e32 v3, vcc_lo, 0, v125, vcc_lo
	flat_load_b64 v[29:30], v[2:3]
.LBB180_111:                            ;   in Loop: Header=BB180_106 Depth=1
	s_or_b32 exec_lo, exec_lo, s2
	v_mov_b32_e32 v33, 0
	v_mov_b32_e32 v34, 0
	s_mov_b32 s2, exec_lo
	v_cmpx_gt_i32_e64 s12, v105
	s_cbranch_execz .LBB180_113
; %bb.112:                              ;   in Loop: Header=BB180_106 Depth=1
	v_add_co_u32 v2, vcc_lo, v122, v95
	v_add_co_ci_u32_e32 v3, vcc_lo, 0, v123, vcc_lo
	flat_load_b64 v[33:34], v[2:3]
.LBB180_113:                            ;   in Loop: Header=BB180_106 Depth=1
	s_or_b32 exec_lo, exec_lo, s2
	v_cmp_gt_i32_e64 s20, s12, v106
	s_mov_b64 s[2:3], 0
	s_branch .LBB180_116
.LBB180_114:                            ;   in Loop: Header=BB180_106 Depth=1
	s_mov_b32 s20, 0
                                        ; implicit-def: $sgpr2_sgpr3
                                        ; implicit-def: $vgpr33_vgpr34
                                        ; implicit-def: $vgpr29_vgpr30
                                        ; implicit-def: $vgpr31_vgpr32
	s_cbranch_execz .LBB180_116
; %bb.115:                              ;   in Loop: Header=BB180_106 Depth=1
	v_add_co_u32 v2, vcc_lo, v124, v95
	v_add_co_ci_u32_e32 v3, vcc_lo, 0, v125, vcc_lo
	v_add_co_u32 v4, vcc_lo, v122, v95
	v_add_co_ci_u32_e32 v5, vcc_lo, 0, v123, vcc_lo
	s_waitcnt vmcnt(0) lgkmcnt(0)
	flat_load_b64 v[31:32], v[0:1]
	flat_load_b64 v[29:30], v[2:3]
	;; [unrolled: 1-line block ×3, first 2 shown]
	s_or_b32 s20, s20, exec_lo
                                        ; implicit-def: $sgpr2_sgpr3
.LBB180_116:                            ;   in Loop: Header=BB180_106 Depth=1
	v_dual_mov_b32 v36, s3 :: v_dual_mov_b32 v35, s2
	s_delay_alu instid0(VALU_DEP_2)
	s_and_saveexec_b32 s2, s20
	s_cbranch_execz .LBB180_118
; %bb.117:                              ;   in Loop: Header=BB180_106 Depth=1
	v_add_co_u32 v0, vcc_lo, v128, v95
	v_add_co_ci_u32_e32 v1, vcc_lo, 0, v129, vcc_lo
	flat_load_b64 v[35:36], v[0:1]
.LBB180_118:                            ;   in Loop: Header=BB180_106 Depth=1
	s_or_b32 exec_lo, exec_lo, s2
	ds_load_b64 v[0:1], v100
	ds_load_b64 v[37:38], v107
	v_cndmask_b32_e64 v77, 0, 1, s18
	s_waitcnt vmcnt(0) lgkmcnt(1)
	v_mul_f32_e32 v3, v1, v31
	v_mul_f32_e32 v5, v1, v29
	;; [unrolled: 1-line block ×3, first 2 shown]
	v_dual_mul_f32 v4, v1, v30 :: v_dual_mul_f32 v9, v0, v36
	s_delay_alu instid0(VALU_DEP_4) | instskip(SKIP_4) | instid1(VALU_DEP_4)
	v_dual_mul_f32 v6, v1, v34 :: v_dual_fmac_f32 v3, v0, v32
	v_mul_f32_e32 v7, v1, v33
	v_dual_mul_f32 v8, v1, v36 :: v_dual_fmac_f32 v5, v0, v30
	v_fma_f32 v2, v0, v31, -v2
	v_fma_f32 v4, v0, v29, -v4
	v_fmac_f32_e32 v7, v0, v34
	v_fma_f32 v6, v0, v33, -v6
	v_fma_f32 v8, v0, v35, -v8
	v_fmac_f32_e32 v9, v1, v35
	ds_store_b64 v108, v[2:3]
	ds_load_b64 v[43:44], v107 offset:8
	ds_store_b64 v108, v[4:5] offset:536
	ds_load_b64 v[41:42], v107 offset:16
	ds_store_b64 v108, v[6:7] offset:1072
	;; [unrolled: 2-line block ×3, first 2 shown]
	s_waitcnt lgkmcnt(0)
	s_barrier
	buffer_gl0_inv
	ds_load_2addr_b64 v[4:7], v103 offset1:1
	ds_load_2addr_b64 v[0:3], v103 offset0:2 offset1:3
	v_add_co_u32 v8, vcc_lo, v134, v95
	v_add_co_ci_u32_e32 v9, vcc_lo, 0, v135, vcc_lo
	s_and_not1_b32 vcc_lo, exec_lo, s18
	s_waitcnt lgkmcnt(0)
	s_barrier
	buffer_gl0_inv
	s_cbranch_vccnz .LBB180_126
; %bb.119:                              ;   in Loop: Header=BB180_106 Depth=1
	v_mov_b32_e32 v45, 0
	v_mov_b32_e32 v46, 0
	s_mov_b32 s2, exec_lo
	s_delay_alu instid0(VALU_DEP_1)
	v_dual_mov_b32 v48, v46 :: v_dual_mov_b32 v47, v45
	v_cmpx_gt_i32_e64 s12, v109
	s_cbranch_execz .LBB180_121
; %bb.120:                              ;   in Loop: Header=BB180_106 Depth=1
	flat_load_b64 v[47:48], v[8:9]
.LBB180_121:                            ;   in Loop: Header=BB180_106 Depth=1
	s_or_b32 exec_lo, exec_lo, s2
	s_delay_alu instid0(SALU_CYCLE_1)
	s_mov_b32 s2, exec_lo
	v_cmpx_gt_i32_e64 s12, v110
	s_cbranch_execz .LBB180_123
; %bb.122:                              ;   in Loop: Header=BB180_106 Depth=1
	v_add_co_u32 v10, vcc_lo, v132, v95
	v_add_co_ci_u32_e32 v11, vcc_lo, 0, v133, vcc_lo
	flat_load_b64 v[45:46], v[10:11]
.LBB180_123:                            ;   in Loop: Header=BB180_106 Depth=1
	s_or_b32 exec_lo, exec_lo, s2
	v_mov_b32_e32 v49, 0
	v_mov_b32_e32 v50, 0
	s_mov_b32 s2, exec_lo
	v_cmpx_gt_i32_e64 s12, v111
	s_cbranch_execz .LBB180_125
; %bb.124:                              ;   in Loop: Header=BB180_106 Depth=1
	v_add_co_u32 v10, vcc_lo, v130, v95
	v_add_co_ci_u32_e32 v11, vcc_lo, 0, v131, vcc_lo
	flat_load_b64 v[49:50], v[10:11]
.LBB180_125:                            ;   in Loop: Header=BB180_106 Depth=1
	s_or_b32 exec_lo, exec_lo, s2
	v_cmp_gt_i32_e64 s18, s12, v112
	s_mov_b64 s[2:3], 0
	s_branch .LBB180_128
.LBB180_126:                            ;   in Loop: Header=BB180_106 Depth=1
	s_mov_b32 s18, 0
                                        ; implicit-def: $sgpr2_sgpr3
                                        ; implicit-def: $vgpr49_vgpr50
                                        ; implicit-def: $vgpr45_vgpr46
                                        ; implicit-def: $vgpr47_vgpr48
	s_cbranch_execz .LBB180_128
; %bb.127:                              ;   in Loop: Header=BB180_106 Depth=1
	v_add_co_u32 v10, vcc_lo, v132, v95
	v_add_co_ci_u32_e32 v11, vcc_lo, 0, v133, vcc_lo
	v_add_co_u32 v12, vcc_lo, v130, v95
	v_add_co_ci_u32_e32 v13, vcc_lo, 0, v131, vcc_lo
	s_waitcnt vmcnt(0) lgkmcnt(0)
	flat_load_b64 v[47:48], v[8:9]
	flat_load_b64 v[45:46], v[10:11]
	;; [unrolled: 1-line block ×3, first 2 shown]
	s_or_b32 s18, s18, exec_lo
                                        ; implicit-def: $sgpr2_sgpr3
.LBB180_128:                            ;   in Loop: Header=BB180_106 Depth=1
	v_dual_mov_b32 v52, s3 :: v_dual_mov_b32 v51, s2
	s_delay_alu instid0(VALU_DEP_2)
	s_and_saveexec_b32 s2, s18
	s_cbranch_execz .LBB180_130
; %bb.129:                              ;   in Loop: Header=BB180_106 Depth=1
	v_add_co_u32 v8, vcc_lo, v136, v95
	v_add_co_ci_u32_e32 v9, vcc_lo, 0, v137, vcc_lo
	flat_load_b64 v[51:52], v[8:9]
.LBB180_130:                            ;   in Loop: Header=BB180_106 Depth=1
	s_or_b32 exec_lo, exec_lo, s2
	ds_load_b64 v[8:9], v100
	ds_load_b64 v[53:54], v107 offset:128
	v_cmp_ne_u32_e32 vcc_lo, 1, v77
	s_and_b32 vcc_lo, exec_lo, vcc_lo
	s_waitcnt vmcnt(0) lgkmcnt(1)
	v_mul_f32_e32 v11, v9, v47
	v_mul_f32_e32 v13, v9, v45
	;; [unrolled: 1-line block ×3, first 2 shown]
	v_dual_mul_f32 v12, v9, v46 :: v_dual_mul_f32 v17, v8, v52
	s_delay_alu instid0(VALU_DEP_4) | instskip(SKIP_4) | instid1(VALU_DEP_4)
	v_dual_mul_f32 v14, v9, v50 :: v_dual_fmac_f32 v11, v8, v48
	v_mul_f32_e32 v15, v9, v49
	v_dual_mul_f32 v16, v9, v52 :: v_dual_fmac_f32 v13, v8, v46
	v_fma_f32 v10, v8, v47, -v10
	v_fma_f32 v12, v8, v45, -v12
	v_fmac_f32_e32 v15, v8, v50
	v_fma_f32 v14, v8, v49, -v14
	v_fma_f32 v16, v8, v51, -v16
	v_fmac_f32_e32 v17, v9, v51
	ds_store_b64 v108, v[10:11]
	ds_load_b64 v[59:60], v107 offset:136
	ds_store_b64 v108, v[12:13] offset:536
	ds_load_b64 v[57:58], v107 offset:144
	ds_store_b64 v108, v[14:15] offset:1072
	;; [unrolled: 2-line block ×3, first 2 shown]
	s_waitcnt lgkmcnt(0)
	s_barrier
	buffer_gl0_inv
	ds_load_2addr_b64 v[12:15], v103 offset1:1
	ds_load_2addr_b64 v[8:11], v103 offset0:2 offset1:3
	v_add_co_u32 v16, s2, v142, v95
	s_delay_alu instid0(VALU_DEP_1)
	v_add_co_ci_u32_e64 v17, s2, 0, v143, s2
	s_waitcnt lgkmcnt(0)
	s_barrier
	buffer_gl0_inv
	s_cbranch_vccnz .LBB180_138
; %bb.131:                              ;   in Loop: Header=BB180_106 Depth=1
	v_mov_b32_e32 v61, 0
	v_mov_b32_e32 v62, 0
	s_mov_b32 s2, exec_lo
	s_delay_alu instid0(VALU_DEP_1)
	v_dual_mov_b32 v64, v62 :: v_dual_mov_b32 v63, v61
	v_cmpx_gt_i32_e64 s12, v113
	s_cbranch_execz .LBB180_133
; %bb.132:                              ;   in Loop: Header=BB180_106 Depth=1
	flat_load_b64 v[63:64], v[16:17]
.LBB180_133:                            ;   in Loop: Header=BB180_106 Depth=1
	s_or_b32 exec_lo, exec_lo, s2
	s_delay_alu instid0(SALU_CYCLE_1)
	s_mov_b32 s2, exec_lo
	v_cmpx_gt_i32_e64 s12, v114
	s_cbranch_execz .LBB180_135
; %bb.134:                              ;   in Loop: Header=BB180_106 Depth=1
	v_add_co_u32 v18, vcc_lo, v140, v95
	v_add_co_ci_u32_e32 v19, vcc_lo, 0, v141, vcc_lo
	flat_load_b64 v[61:62], v[18:19]
.LBB180_135:                            ;   in Loop: Header=BB180_106 Depth=1
	s_or_b32 exec_lo, exec_lo, s2
	v_mov_b32_e32 v65, 0
	v_mov_b32_e32 v66, 0
	s_mov_b32 s2, exec_lo
	v_cmpx_gt_i32_e64 s12, v115
	s_cbranch_execz .LBB180_137
; %bb.136:                              ;   in Loop: Header=BB180_106 Depth=1
	v_add_co_u32 v18, vcc_lo, v138, v95
	v_add_co_ci_u32_e32 v19, vcc_lo, 0, v139, vcc_lo
	flat_load_b64 v[65:66], v[18:19]
.LBB180_137:                            ;   in Loop: Header=BB180_106 Depth=1
	s_or_b32 exec_lo, exec_lo, s2
	v_cmp_gt_i32_e64 s18, s12, v116
	s_mov_b64 s[2:3], 0
	s_branch .LBB180_140
.LBB180_138:                            ;   in Loop: Header=BB180_106 Depth=1
	s_mov_b32 s18, 0
                                        ; implicit-def: $sgpr2_sgpr3
                                        ; implicit-def: $vgpr65_vgpr66
                                        ; implicit-def: $vgpr61_vgpr62
                                        ; implicit-def: $vgpr63_vgpr64
	s_cbranch_execz .LBB180_140
; %bb.139:                              ;   in Loop: Header=BB180_106 Depth=1
	v_add_co_u32 v18, vcc_lo, v140, v95
	v_add_co_ci_u32_e32 v19, vcc_lo, 0, v141, vcc_lo
	v_add_co_u32 v20, vcc_lo, v138, v95
	v_add_co_ci_u32_e32 v21, vcc_lo, 0, v139, vcc_lo
	s_waitcnt vmcnt(0) lgkmcnt(0)
	flat_load_b64 v[63:64], v[16:17]
	flat_load_b64 v[61:62], v[18:19]
	;; [unrolled: 1-line block ×3, first 2 shown]
	s_or_b32 s18, s18, exec_lo
                                        ; implicit-def: $sgpr2_sgpr3
.LBB180_140:                            ;   in Loop: Header=BB180_106 Depth=1
	v_dual_mov_b32 v68, s3 :: v_dual_mov_b32 v67, s2
	s_delay_alu instid0(VALU_DEP_2)
	s_and_saveexec_b32 s2, s18
	s_cbranch_execz .LBB180_142
; %bb.141:                              ;   in Loop: Header=BB180_106 Depth=1
	v_add_co_u32 v16, vcc_lo, v144, v95
	v_add_co_ci_u32_e32 v17, vcc_lo, 0, v145, vcc_lo
	flat_load_b64 v[67:68], v[16:17]
.LBB180_142:                            ;   in Loop: Header=BB180_106 Depth=1
	s_or_b32 exec_lo, exec_lo, s2
	ds_load_b64 v[16:17], v100
	ds_load_b64 v[69:70], v107 offset:256
	v_cmp_ne_u32_e32 vcc_lo, 1, v77
	v_add_co_u32 v83, s2, v150, v95
	s_delay_alu instid0(VALU_DEP_1)
	v_add_co_ci_u32_e64 v84, s2, 0, v151, s2
	s_and_b32 vcc_lo, exec_lo, vcc_lo
	s_waitcnt vmcnt(0) lgkmcnt(1)
	v_mul_f32_e32 v19, v17, v63
	v_mul_f32_e32 v21, v17, v61
	;; [unrolled: 1-line block ×3, first 2 shown]
	v_dual_mul_f32 v20, v17, v62 :: v_dual_mul_f32 v79, v16, v68
	s_delay_alu instid0(VALU_DEP_4)
	v_dual_mul_f32 v22, v17, v66 :: v_dual_fmac_f32 v19, v16, v64
	v_mul_f32_e32 v23, v17, v65
	v_mul_f32_e32 v71, v17, v68
	v_fmac_f32_e32 v21, v16, v62
	v_fma_f32 v18, v16, v63, -v18
	v_fma_f32 v20, v16, v61, -v20
	;; [unrolled: 1-line block ×3, first 2 shown]
	v_fmac_f32_e32 v23, v16, v66
	v_fma_f32 v78, v16, v67, -v71
	v_fmac_f32_e32 v79, v17, v67
	ds_store_b64 v108, v[18:19]
	ds_load_b64 v[75:76], v107 offset:264
	ds_store_b64 v108, v[20:21] offset:536
	ds_load_b64 v[73:74], v107 offset:272
	ds_store_b64 v108, v[22:23] offset:1072
	;; [unrolled: 2-line block ×3, first 2 shown]
	s_waitcnt lgkmcnt(0)
	s_barrier
	buffer_gl0_inv
	ds_load_2addr_b64 v[20:23], v103 offset1:1
	ds_load_2addr_b64 v[16:19], v103 offset0:2 offset1:3
	s_waitcnt lgkmcnt(0)
	s_barrier
	buffer_gl0_inv
	s_cbranch_vccnz .LBB180_150
; %bb.143:                              ;   in Loop: Header=BB180_106 Depth=1
	v_mov_b32_e32 v77, 0
	v_mov_b32_e32 v78, 0
	s_mov_b32 s2, exec_lo
	s_delay_alu instid0(VALU_DEP_1)
	v_dual_mov_b32 v80, v78 :: v_dual_mov_b32 v79, v77
	v_cmpx_gt_i32_e64 s12, v117
	s_cbranch_execz .LBB180_145
; %bb.144:                              ;   in Loop: Header=BB180_106 Depth=1
	flat_load_b64 v[79:80], v[83:84]
.LBB180_145:                            ;   in Loop: Header=BB180_106 Depth=1
	s_or_b32 exec_lo, exec_lo, s2
	s_delay_alu instid0(SALU_CYCLE_1)
	s_mov_b32 s2, exec_lo
	v_cmpx_gt_i32_e64 s12, v118
	s_cbranch_execz .LBB180_147
; %bb.146:                              ;   in Loop: Header=BB180_106 Depth=1
	v_add_co_u32 v77, vcc_lo, v148, v95
	v_add_co_ci_u32_e32 v78, vcc_lo, 0, v149, vcc_lo
	flat_load_b64 v[77:78], v[77:78]
.LBB180_147:                            ;   in Loop: Header=BB180_106 Depth=1
	s_or_b32 exec_lo, exec_lo, s2
	v_mov_b32_e32 v81, 0
	v_mov_b32_e32 v82, 0
	s_mov_b32 s2, exec_lo
	v_cmpx_gt_i32_e64 s12, v119
	s_cbranch_execz .LBB180_149
; %bb.148:                              ;   in Loop: Header=BB180_106 Depth=1
	v_add_co_u32 v81, vcc_lo, v146, v95
	v_add_co_ci_u32_e32 v82, vcc_lo, 0, v147, vcc_lo
	flat_load_b64 v[81:82], v[81:82]
.LBB180_149:                            ;   in Loop: Header=BB180_106 Depth=1
	s_or_b32 exec_lo, exec_lo, s2
	v_cmp_gt_i32_e64 s18, s12, v120
	s_mov_b64 s[2:3], 0
	s_branch .LBB180_152
.LBB180_150:                            ;   in Loop: Header=BB180_106 Depth=1
	s_mov_b32 s18, 0
                                        ; implicit-def: $sgpr2_sgpr3
                                        ; implicit-def: $vgpr81_vgpr82
                                        ; implicit-def: $vgpr77_vgpr78
                                        ; implicit-def: $vgpr79_vgpr80
	s_cbranch_execz .LBB180_152
; %bb.151:                              ;   in Loop: Header=BB180_106 Depth=1
	s_waitcnt vmcnt(0) lgkmcnt(0)
	v_add_co_u32 v77, vcc_lo, v148, v95
	v_add_co_ci_u32_e32 v78, vcc_lo, 0, v149, vcc_lo
	v_add_co_u32 v81, vcc_lo, v146, v95
	v_add_co_ci_u32_e32 v82, vcc_lo, 0, v147, vcc_lo
	flat_load_b64 v[79:80], v[83:84]
	flat_load_b64 v[77:78], v[77:78]
	;; [unrolled: 1-line block ×3, first 2 shown]
	s_or_b32 s18, s18, exec_lo
                                        ; implicit-def: $sgpr2_sgpr3
.LBB180_152:                            ;   in Loop: Header=BB180_106 Depth=1
	v_dual_mov_b32 v84, s3 :: v_dual_mov_b32 v83, s2
	s_delay_alu instid0(VALU_DEP_2)
	s_and_saveexec_b32 s2, s18
	s_cbranch_execz .LBB180_154
; %bb.153:                              ;   in Loop: Header=BB180_106 Depth=1
	v_add_co_u32 v83, vcc_lo, v152, v95
	v_add_co_ci_u32_e32 v84, vcc_lo, 0, v153, vcc_lo
	flat_load_b64 v[83:84], v[83:84]
.LBB180_154:                            ;   in Loop: Header=BB180_106 Depth=1
	s_or_b32 exec_lo, exec_lo, s2
	ds_load_b64 v[87:88], v100
	ds_load_b64 v[85:86], v107 offset:384
	v_cmp_gt_i32_e32 vcc_lo, s12, v93
	v_add_f32_e32 v13, 0, v13
	v_add_f32_e32 v21, 0, v21
	;; [unrolled: 1-line block ×3, first 2 shown]
	s_or_b32 s2, s13, vcc_lo
	s_delay_alu instid0(VALU_DEP_3) | instskip(SKIP_1) | instid1(VALU_DEP_2)
	v_add_f32_e32 v13, v13, v15
	s_and_b32 s3, s1, s2
	v_dual_add_f32 v5, v5, v7 :: v_dual_add_f32 v4, 0, v4
	s_delay_alu instid0(VALU_DEP_2) | instskip(NEXT) | instid1(VALU_DEP_2)
	v_add_f32_e32 v9, v13, v9
	v_dual_add_f32 v15, v5, v1 :: v_dual_add_f32 v4, v4, v6
	s_waitcnt vmcnt(0) lgkmcnt(1)
	v_mul_f32_e32 v90, v88, v79
	v_mul_f32_e32 v92, v88, v82
	;; [unrolled: 1-line block ×4, first 2 shown]
	v_dual_mul_f32 v91, v88, v78 :: v_dual_mul_f32 v160, v87, v84
	v_fmac_f32_e32 v90, v87, v80
	v_mul_f32_e32 v158, v88, v81
	v_dual_mul_f32 v159, v88, v84 :: v_dual_fmac_f32 v156, v87, v78
	v_fma_f32 v89, v87, v79, -v89
	v_fma_f32 v155, v87, v77, -v91
	s_delay_alu instid0(VALU_DEP_4)
	v_fmac_f32_e32 v158, v87, v82
	v_fma_f32 v157, v87, v81, -v92
	v_fma_f32 v159, v87, v83, -v159
	v_fmac_f32_e32 v160, v88, v83
	ds_store_b64 v108, v[89:90]
	ds_load_b64 v[91:92], v107 offset:392
	ds_store_b64 v108, v[155:156] offset:536
	ds_load_b64 v[89:90], v107 offset:400
	ds_store_b64 v108, v[157:158] offset:1072
	;; [unrolled: 2-line block ×3, first 2 shown]
	s_waitcnt lgkmcnt(0)
	s_barrier
	buffer_gl0_inv
	ds_load_2addr_b64 v[155:158], v103 offset1:1
	v_dual_add_f32 v160, v21, v23 :: v_dual_add_f32 v13, v4, v0
	v_dual_add_f32 v20, 0, v20 :: v_dual_add_f32 v3, v15, v3
	s_delay_alu instid0(VALU_DEP_2) | instskip(NEXT) | instid1(VALU_DEP_2)
	v_dual_add_f32 v7, v160, v17 :: v_dual_add_f32 v12, 0, v12
	v_add_f32_e32 v159, v20, v22
	ds_load_2addr_b64 v[20:23], v103 offset0:2 offset1:3
	v_dual_add_f32 v2, v13, v2 :: v_dual_add_f32 v1, v7, v19
	v_add_f32_e32 v12, v12, v14
	s_waitcnt lgkmcnt(0)
	s_barrier
	buffer_gl0_inv
	v_add_f32_e32 v8, v12, v8
	v_add_f32_e32 v12, 0, v155
	;; [unrolled: 1-line block ×4, first 2 shown]
	s_delay_alu instid0(VALU_DEP_4) | instskip(NEXT) | instid1(VALU_DEP_3)
	v_add_f32_e32 v4, v8, v10
	v_dual_add_f32 v5, v12, v157 :: v_dual_add_f32 v12, v14, v158
	s_delay_alu instid0(VALU_DEP_3) | instskip(NEXT) | instid1(VALU_DEP_2)
	v_add_f32_e32 v0, v6, v18
	v_dual_add_f32 v6, v5, v20 :: v_dual_add_f32 v7, v12, v21
	s_delay_alu instid0(VALU_DEP_1) | instskip(NEXT) | instid1(VALU_DEP_2)
	v_dual_add_f32 v5, v9, v11 :: v_dual_add_f32 v6, v6, v22
	v_add_f32_e32 v7, v7, v23
	ds_store_2addr_b64 v154, v[2:3], v[4:5] offset1:16
	ds_store_2addr_b64 v154, v[0:1], v[6:7] offset0:32 offset1:48
	s_waitcnt lgkmcnt(0)
	s_barrier
	buffer_gl0_inv
	s_and_saveexec_b32 s2, s3
	s_cbranch_execz .LBB180_156
; %bb.155:                              ;   in Loop: Header=BB180_106 Depth=1
	ds_load_b64 v[11:12], v101
	ds_load_2addr_b64 v[0:3], v101 offset0:1 offset1:2
	ds_load_2addr_b64 v[4:7], v101 offset0:3 offset1:4
	s_waitcnt lgkmcnt(1)
	v_dual_add_f32 v0, v0, v11 :: v_dual_add_f32 v1, v1, v12
	ds_load_2addr_b64 v[8:11], v101 offset0:5 offset1:6
	v_add_f32_e32 v0, v0, v2
	v_add_f32_e32 v12, v1, v3
	s_waitcnt lgkmcnt(1)
	s_delay_alu instid0(VALU_DEP_2) | instskip(SKIP_3) | instid1(VALU_DEP_2)
	v_add_f32_e32 v4, v0, v4
	ds_load_2addr_b64 v[0:3], v101 offset0:7 offset1:8
	v_add_f32_e32 v5, v12, v5
	v_add_f32_e32 v4, v4, v6
	;; [unrolled: 1-line block ×3, first 2 shown]
	s_waitcnt lgkmcnt(1)
	s_delay_alu instid0(VALU_DEP_2) | instskip(SKIP_3) | instid1(VALU_DEP_2)
	v_add_f32_e32 v8, v4, v8
	ds_load_2addr_b64 v[4:7], v101 offset0:9 offset1:10
	v_add_f32_e32 v9, v12, v9
	v_add_f32_e32 v8, v8, v10
	;; [unrolled: 1-line block ×3, first 2 shown]
	s_waitcnt lgkmcnt(1)
	s_delay_alu instid0(VALU_DEP_2) | instskip(SKIP_4) | instid1(VALU_DEP_1)
	v_add_f32_e32 v0, v8, v0
	ds_load_2addr_b64 v[8:11], v101 offset0:11 offset1:12
	v_add_f32_e32 v1, v12, v1
	v_add_f32_e32 v12, v0, v2
	s_waitcnt lgkmcnt(1)
	v_add_f32_e32 v4, v12, v4
	s_delay_alu instid0(VALU_DEP_1) | instskip(SKIP_1) | instid1(VALU_DEP_1)
	v_add_f32_e32 v6, v4, v6
	s_waitcnt lgkmcnt(0)
	v_add_f32_e32 v6, v6, v8
	s_delay_alu instid0(VALU_DEP_1) | instskip(SKIP_3) | instid1(VALU_DEP_1)
	v_dual_add_f32 v8, v6, v10 :: v_dual_add_f32 v13, v1, v3
	ds_load_2addr_b64 v[0:3], v101 offset0:13 offset1:14
	v_add_nc_u32_e32 v6, s16, v121
	v_add_f32_e32 v5, v13, v5
	v_add_f32_e32 v7, v5, v7
	ds_load_b64 v[4:5], v102
	v_add_f32_e32 v7, v7, v9
	s_waitcnt lgkmcnt(1)
	s_delay_alu instid0(VALU_DEP_1) | instskip(NEXT) | instid1(VALU_DEP_1)
	v_dual_add_f32 v7, v7, v11 :: v_dual_add_f32 v0, v8, v0
	v_add_f32_e32 v1, v7, v1
	v_ashrrev_i32_e32 v7, 31, v6
	s_delay_alu instid0(VALU_DEP_2) | instskip(NEXT) | instid1(VALU_DEP_2)
	v_dual_add_f32 v2, v0, v2 :: v_dual_add_f32 v3, v1, v3
	v_lshlrev_b64 v[0:1], 3, v[6:7]
	s_waitcnt lgkmcnt(0)
	s_delay_alu instid0(VALU_DEP_2) | instskip(NEXT) | instid1(VALU_DEP_2)
	v_dual_add_f32 v2, v2, v4 :: v_dual_add_f32 v3, v3, v5
	v_add_co_u32 v0, vcc_lo, s6, v0
	s_delay_alu instid0(VALU_DEP_3)
	v_add_co_ci_u32_e32 v1, vcc_lo, s11, v1, vcc_lo
	global_store_b64 v[0:1], v[2:3], off
.LBB180_156:                            ;   in Loop: Header=BB180_106 Depth=1
	s_or_b32 exec_lo, exec_lo, s2
	v_dual_mul_f32 v0, v38, v32 :: v_dual_mul_f32 v3, v44, v29
	v_dual_mul_f32 v1, v38, v31 :: v_dual_mul_f32 v2, v44, v30
	;; [unrolled: 1-line block ×3, first 2 shown]
	s_delay_alu instid0(VALU_DEP_3) | instskip(SKIP_1) | instid1(VALU_DEP_4)
	v_fma_f32 v0, v37, v31, -v0
	v_dual_mul_f32 v5, v42, v33 :: v_dual_mul_f32 v6, v40, v36
	v_fma_f32 v2, v43, v29, -v2
	v_fmac_f32_e32 v1, v37, v32
	s_delay_alu instid0(VALU_DEP_4) | instskip(SKIP_3) | instid1(VALU_DEP_4)
	v_dual_add_f32 v0, v26, v0 :: v_dual_fmac_f32 v3, v43, v30
	v_mul_f32_e32 v9, v54, v47
	v_fma_f32 v4, v41, v33, -v4
	v_fma_f32 v6, v39, v35, -v6
	v_add_f32_e32 v0, v0, v2
	v_mul_f32_e32 v2, v60, v46
	v_dual_mul_f32 v8, v54, v48 :: v_dual_add_f32 v1, v27, v1
	s_delay_alu instid0(VALU_DEP_3) | instskip(SKIP_1) | instid1(VALU_DEP_4)
	v_dual_fmac_f32 v5, v41, v34 :: v_dual_add_f32 v0, v0, v4
	v_mul_f32_e32 v4, v60, v45
	v_fma_f32 v2, v59, v45, -v2
	s_delay_alu instid0(VALU_DEP_4) | instskip(SKIP_2) | instid1(VALU_DEP_3)
	v_add_f32_e32 v1, v1, v3
	v_fma_f32 v3, v53, v47, -v8
	v_dual_add_f32 v0, v0, v6 :: v_dual_fmac_f32 v7, v39, v36
	v_dual_mul_f32 v6, v58, v50 :: v_dual_add_f32 v1, v1, v5
	s_delay_alu instid0(VALU_DEP_2) | instskip(SKIP_1) | instid1(VALU_DEP_3)
	v_dual_fmac_f32 v9, v53, v48 :: v_dual_add_f32 v0, v0, v3
	v_mul_f32_e32 v3, v56, v52
	v_fma_f32 v5, v57, v49, -v6
	s_delay_alu instid0(VALU_DEP_4) | instskip(SKIP_3) | instid1(VALU_DEP_4)
	v_add_f32_e32 v1, v1, v7
	v_add_co_u32 v122, vcc_lo, v122, s4
	v_add_f32_e32 v0, v0, v2
	v_mul_f32_e32 v2, v58, v49
	v_dual_fmac_f32 v4, v59, v46 :: v_dual_add_f32 v1, v1, v9
	v_fma_f32 v3, v55, v51, -v3
	s_delay_alu instid0(VALU_DEP_4) | instskip(NEXT) | instid1(VALU_DEP_4)
	v_dual_add_f32 v0, v0, v5 :: v_dual_mul_f32 v5, v70, v64
	v_fmac_f32_e32 v2, v57, v50
	s_delay_alu instid0(VALU_DEP_4) | instskip(NEXT) | instid1(VALU_DEP_3)
	v_dual_add_f32 v1, v1, v4 :: v_dual_mul_f32 v4, v56, v51
	v_add_f32_e32 v0, v0, v3
	s_delay_alu instid0(VALU_DEP_4) | instskip(SKIP_3) | instid1(VALU_DEP_4)
	v_fma_f32 v3, v69, v63, -v5
	v_mul_f32_e32 v5, v76, v62
	v_add_co_ci_u32_e32 v123, vcc_lo, s5, v123, vcc_lo
	v_fmac_f32_e32 v4, v55, v52
	v_add_f32_e32 v0, v0, v3
	s_delay_alu instid0(VALU_DEP_4) | instskip(SKIP_3) | instid1(VALU_DEP_4)
	v_fma_f32 v3, v75, v61, -v5
	v_mul_f32_e32 v5, v74, v66
	v_add_co_u32 v124, vcc_lo, v124, s4
	v_add_co_ci_u32_e32 v125, vcc_lo, s5, v125, vcc_lo
	v_add_f32_e32 v0, v0, v3
	s_delay_alu instid0(VALU_DEP_4) | instskip(SKIP_3) | instid1(VALU_DEP_2)
	v_fma_f32 v3, v73, v65, -v5
	v_mul_f32_e32 v5, v72, v68
	v_dual_add_f32 v1, v1, v2 :: v_dual_mul_f32 v2, v70, v63
	v_add_co_u32 v126, vcc_lo, v126, s4
	v_dual_add_f32 v0, v0, v3 :: v_dual_add_f32 v1, v1, v4
	s_delay_alu instid0(VALU_DEP_3)
	v_fmac_f32_e32 v2, v69, v64
	v_fma_f32 v3, v71, v67, -v5
	v_mul_f32_e32 v5, v72, v67
	v_mul_f32_e32 v4, v76, v61
	v_add_co_ci_u32_e32 v127, vcc_lo, s5, v127, vcc_lo
	v_dual_add_f32 v1, v1, v2 :: v_dual_mul_f32 v2, v74, v65
	v_add_f32_e32 v0, v0, v3
	v_mul_f32_e32 v3, v92, v78
	v_fmac_f32_e32 v5, v71, v68
	v_fmac_f32_e32 v4, v75, v62
	;; [unrolled: 1-line block ×3, first 2 shown]
	v_add_co_u32 v128, vcc_lo, v128, s4
	v_add_co_ci_u32_e32 v129, vcc_lo, s5, v129, vcc_lo
	s_delay_alu instid0(VALU_DEP_4)
	v_add_f32_e32 v1, v1, v4
	v_mul_f32_e32 v4, v86, v80
	v_add_co_u32 v130, vcc_lo, v130, s4
	v_add_co_ci_u32_e32 v131, vcc_lo, s5, v131, vcc_lo
	v_add_co_u32 v132, vcc_lo, v132, s4
	v_add_f32_e32 v1, v1, v2
	v_fma_f32 v2, v85, v79, -v4
	v_add_co_ci_u32_e32 v133, vcc_lo, s5, v133, vcc_lo
	v_add_co_u32 v134, vcc_lo, v134, s4
	v_add_co_ci_u32_e32 v135, vcc_lo, s5, v135, vcc_lo
	v_add_co_u32 v136, vcc_lo, v136, s4
	v_add_f32_e32 v1, v1, v5
	v_mul_f32_e32 v5, v90, v82
	v_add_f32_e32 v0, v0, v2
	v_fma_f32 v2, v91, v77, -v3
	v_dual_mul_f32 v3, v92, v77 :: v_dual_mul_f32 v4, v86, v79
	v_add_co_ci_u32_e32 v137, vcc_lo, s5, v137, vcc_lo
	v_add_co_u32 v138, vcc_lo, v138, s4
	s_delay_alu instid0(VALU_DEP_3)
	v_fmac_f32_e32 v3, v91, v78
	v_add_co_ci_u32_e32 v139, vcc_lo, s5, v139, vcc_lo
	v_fmac_f32_e32 v4, v85, v80
	v_add_co_u32 v140, vcc_lo, v140, s4
	v_add_co_ci_u32_e32 v141, vcc_lo, s5, v141, vcc_lo
	v_add_co_u32 v142, vcc_lo, v142, s4
	s_delay_alu instid0(VALU_DEP_4)
	v_dual_add_f32 v1, v1, v4 :: v_dual_add_f32 v0, v0, v2
	v_mul_f32_e32 v2, v90, v81
	v_add_co_ci_u32_e32 v143, vcc_lo, s5, v143, vcc_lo
	v_add_co_u32 v144, vcc_lo, v144, s4
	v_add_co_ci_u32_e32 v145, vcc_lo, s5, v145, vcc_lo
	v_add_co_u32 v146, vcc_lo, v146, s4
	v_fma_f32 v4, v89, v81, -v5
	v_dual_mul_f32 v5, v88, v84 :: v_dual_fmac_f32 v2, v89, v82
	v_add_f32_e32 v1, v1, v3
	v_mul_f32_e32 v6, v88, v83
	v_add_co_ci_u32_e32 v147, vcc_lo, s5, v147, vcc_lo
	v_add_co_u32 v148, vcc_lo, v148, s4
	s_delay_alu instid0(VALU_DEP_4)
	v_add_f32_e32 v1, v1, v2
	v_add_co_ci_u32_e32 v149, vcc_lo, s5, v149, vcc_lo
	v_fma_f32 v3, v87, v83, -v5
	v_fmac_f32_e32 v6, v87, v84
	v_add_f32_e32 v0, v0, v4
	v_add_co_u32 v150, vcc_lo, v150, s4
	v_add_co_ci_u32_e32 v151, vcc_lo, s5, v151, vcc_lo
	s_delay_alu instid0(VALU_DEP_4)
	v_add_f32_e32 v27, v1, v6
	v_add_co_u32 v152, vcc_lo, v152, s4
	v_add_f32_e32 v26, v0, v3
	v_add_co_ci_u32_e32 v153, vcc_lo, s5, v153, vcc_lo
	s_add_i32 s3, s14, 2
	s_add_i32 s2, s14, 1
	;; [unrolled: 1-line block ×3, first 2 shown]
	s_cmp_ge_u32 s3, s7
	s_waitcnt_vscnt null, 0x0
	s_barrier
	buffer_gl0_inv
	s_cbranch_scc1 .LBB180_158
; %bb.157:                              ;   in Loop: Header=BB180_106 Depth=1
	s_mov_b32 s14, s2
	s_delay_alu instid0(SALU_CYCLE_1)
	s_cmp_eq_u32 s17, s14
	s_cselect_b32 s12, s15, 0
	s_and_saveexec_b32 s2, s0
	s_cbranch_execnz .LBB180_102
	s_branch .LBB180_106
.LBB180_158:
	v_cmp_gt_i32_e32 vcc_lo, s10, v93
	v_mad_u32_u24 v0, 0x218, v94, v95
	s_or_b32 s1, s19, vcc_lo
	ds_store_b64 v0, v[26:27]
	s_and_b32 s0, s0, s1
	s_waitcnt lgkmcnt(0)
	s_barrier
	buffer_gl0_inv
	s_and_saveexec_b32 s1, s0
	s_cbranch_execz .LBB180_160
; %bb.159:
	ds_load_2addr_b64 v[0:3], v95 offset1:67
	ds_load_2addr_b64 v[4:7], v95 offset0:134 offset1:201
	s_waitcnt lgkmcnt(1)
	v_dual_add_f32 v0, v2, v0 :: v_dual_add_f32 v1, v3, v1
	s_waitcnt lgkmcnt(0)
	s_delay_alu instid0(VALU_DEP_1) | instskip(SKIP_1) | instid1(VALU_DEP_2)
	v_dual_add_f32 v2, v0, v4 :: v_dual_add_f32 v3, v1, v5
	v_lshlrev_b64 v[0:1], 3, v[24:25]
	v_dual_add_f32 v2, v2, v6 :: v_dual_add_f32 v3, v3, v7
	s_delay_alu instid0(VALU_DEP_2) | instskip(NEXT) | instid1(VALU_DEP_3)
	v_add_co_u32 v0, vcc_lo, s6, v0
	v_add_co_ci_u32_e32 v1, vcc_lo, s11, v1, vcc_lo
	global_store_b64 v[0:1], v[2:3], off
.LBB180_160:
	s_nop 0
	s_sendmsg sendmsg(MSG_DEALLOC_VGPRS)
	s_endpgm
	.section	.rodata,"a",@progbits
	.p2align	6, 0x0
	.amdhsa_kernel _ZL26rocblas_hemvn_kernel_upperILb0ELi64ELi4ELi33ELi32ELi16ElPK19rocblas_complex_numIfEPKS3_PS1_EviT6_lT7_lT5_lS8_lS9_lS7_lT8_i
		.amdhsa_group_segment_fixed_size 9600
		.amdhsa_private_segment_fixed_size 0
		.amdhsa_kernarg_size 376
		.amdhsa_user_sgpr_count 14
		.amdhsa_user_sgpr_dispatch_ptr 0
		.amdhsa_user_sgpr_queue_ptr 0
		.amdhsa_user_sgpr_kernarg_segment_ptr 1
		.amdhsa_user_sgpr_dispatch_id 0
		.amdhsa_user_sgpr_private_segment_size 0
		.amdhsa_wavefront_size32 1
		.amdhsa_uses_dynamic_stack 0
		.amdhsa_enable_private_segment 0
		.amdhsa_system_sgpr_workgroup_id_x 1
		.amdhsa_system_sgpr_workgroup_id_y 0
		.amdhsa_system_sgpr_workgroup_id_z 1
		.amdhsa_system_sgpr_workgroup_info 0
		.amdhsa_system_vgpr_workitem_id 1
		.amdhsa_next_free_vgpr 161
		.amdhsa_next_free_sgpr 30
		.amdhsa_reserve_vcc 1
		.amdhsa_float_round_mode_32 0
		.amdhsa_float_round_mode_16_64 0
		.amdhsa_float_denorm_mode_32 3
		.amdhsa_float_denorm_mode_16_64 3
		.amdhsa_dx10_clamp 1
		.amdhsa_ieee_mode 1
		.amdhsa_fp16_overflow 0
		.amdhsa_workgroup_processor_mode 1
		.amdhsa_memory_ordered 1
		.amdhsa_forward_progress 0
		.amdhsa_shared_vgpr_count 0
		.amdhsa_exception_fp_ieee_invalid_op 0
		.amdhsa_exception_fp_denorm_src 0
		.amdhsa_exception_fp_ieee_div_zero 0
		.amdhsa_exception_fp_ieee_overflow 0
		.amdhsa_exception_fp_ieee_underflow 0
		.amdhsa_exception_fp_ieee_inexact 0
		.amdhsa_exception_int_div_zero 0
	.end_amdhsa_kernel
	.section	.text._ZL26rocblas_hemvn_kernel_upperILb0ELi64ELi4ELi33ELi32ELi16ElPK19rocblas_complex_numIfEPKS3_PS1_EviT6_lT7_lT5_lS8_lS9_lS7_lT8_i,"axG",@progbits,_ZL26rocblas_hemvn_kernel_upperILb0ELi64ELi4ELi33ELi32ELi16ElPK19rocblas_complex_numIfEPKS3_PS1_EviT6_lT7_lT5_lS8_lS9_lS7_lT8_i,comdat
.Lfunc_end180:
	.size	_ZL26rocblas_hemvn_kernel_upperILb0ELi64ELi4ELi33ELi32ELi16ElPK19rocblas_complex_numIfEPKS3_PS1_EviT6_lT7_lT5_lS8_lS9_lS7_lT8_i, .Lfunc_end180-_ZL26rocblas_hemvn_kernel_upperILb0ELi64ELi4ELi33ELi32ELi16ElPK19rocblas_complex_numIfEPKS3_PS1_EviT6_lT7_lT5_lS8_lS9_lS7_lT8_i
                                        ; -- End function
	.section	.AMDGPU.csdata,"",@progbits
; Kernel info:
; codeLenInByte = 10112
; NumSgprs: 32
; NumVgprs: 161
; ScratchSize: 0
; MemoryBound: 1
; FloatMode: 240
; IeeeMode: 1
; LDSByteSize: 9600 bytes/workgroup (compile time only)
; SGPRBlocks: 3
; VGPRBlocks: 20
; NumSGPRsForWavesPerEU: 32
; NumVGPRsForWavesPerEU: 161
; Occupancy: 9
; WaveLimiterHint : 1
; COMPUTE_PGM_RSRC2:SCRATCH_EN: 0
; COMPUTE_PGM_RSRC2:USER_SGPR: 14
; COMPUTE_PGM_RSRC2:TRAP_HANDLER: 0
; COMPUTE_PGM_RSRC2:TGID_X_EN: 1
; COMPUTE_PGM_RSRC2:TGID_Y_EN: 0
; COMPUTE_PGM_RSRC2:TGID_Z_EN: 1
; COMPUTE_PGM_RSRC2:TIDIG_COMP_CNT: 1
	.section	.text._ZL26rocblas_hemvn_kernel_upperILb0ELi64ELi4ELi33ELi32ELi16EiPK19rocblas_complex_numIfEPKS3_PS1_EviT6_lT7_lT5_lS8_lS9_lS7_lT8_i,"axG",@progbits,_ZL26rocblas_hemvn_kernel_upperILb0ELi64ELi4ELi33ELi32ELi16EiPK19rocblas_complex_numIfEPKS3_PS1_EviT6_lT7_lT5_lS8_lS9_lS7_lT8_i,comdat
	.globl	_ZL26rocblas_hemvn_kernel_upperILb0ELi64ELi4ELi33ELi32ELi16EiPK19rocblas_complex_numIfEPKS3_PS1_EviT6_lT7_lT5_lS8_lS9_lS7_lT8_i ; -- Begin function _ZL26rocblas_hemvn_kernel_upperILb0ELi64ELi4ELi33ELi32ELi16EiPK19rocblas_complex_numIfEPKS3_PS1_EviT6_lT7_lT5_lS8_lS9_lS7_lT8_i
	.p2align	8
	.type	_ZL26rocblas_hemvn_kernel_upperILb0ELi64ELi4ELi33ELi32ELi16EiPK19rocblas_complex_numIfEPKS3_PS1_EviT6_lT7_lT5_lS8_lS9_lS7_lT8_i,@function
_ZL26rocblas_hemvn_kernel_upperILb0ELi64ELi4ELi33ELi32ELi16EiPK19rocblas_complex_numIfEPKS3_PS1_EviT6_lT7_lT5_lS8_lS9_lS7_lT8_i: ; @_ZL26rocblas_hemvn_kernel_upperILb0ELi64ELi4ELi33ELi32ELi16EiPK19rocblas_complex_numIfEPKS3_PS1_EviT6_lT7_lT5_lS8_lS9_lS7_lT8_i
; %bb.0:
	s_load_b64 s[4:5], s[0:1], 0x84
	s_add_u32 s2, s0, 0x78
	s_addc_u32 s3, s1, 0
	s_waitcnt lgkmcnt(0)
	s_lshr_b32 s6, s4, 16
	s_and_b32 s4, s4, 0xffff
	s_and_b32 s5, s5, 0xffff
	s_mul_i32 s4, s6, s4
	s_delay_alu instid0(SALU_CYCLE_1) | instskip(NEXT) | instid1(SALU_CYCLE_1)
	s_mul_i32 s4, s4, s5
	s_cmpk_lg_i32 s4, 0x100
	s_cbranch_scc1 .LBB181_160
; %bb.1:
	s_load_b256 s[4:11], s[0:1], 0x8
	s_mov_b32 s12, s15
	s_waitcnt lgkmcnt(0)
	s_mul_i32 s7, s15, s7
	s_mul_hi_u32 s13, s15, s6
	s_mul_i32 s6, s15, s6
	s_add_i32 s7, s13, s7
	s_delay_alu instid0(SALU_CYCLE_1) | instskip(NEXT) | instid1(SALU_CYCLE_1)
	s_lshl_b64 s[6:7], s[6:7], 3
	s_add_u32 s4, s4, s6
	s_addc_u32 s5, s5, s7
	s_load_b64 s[18:19], s[4:5], 0x0
	s_clause 0x1
	s_load_b64 s[16:17], s[0:1], 0x68
	s_load_b128 s[4:7], s[0:1], 0x58
	s_waitcnt lgkmcnt(0)
	s_or_b32 s13, s18, s19
	s_delay_alu instid0(SALU_CYCLE_1) | instskip(NEXT) | instid1(SALU_CYCLE_1)
	s_bitset0_b32 s13, 31
	s_cmp_lg_u32 s13, 0
	s_mov_b32 s13, 0
	s_cselect_b32 s15, -1, 0
	s_delay_alu instid0(SALU_CYCLE_1)
	s_and_b32 vcc_lo, exec_lo, s15
	s_cbranch_vccnz .LBB181_4
; %bb.2:
	s_mul_i32 s7, s12, s7
	s_mul_hi_u32 s18, s12, s6
	s_mul_i32 s6, s12, s6
	s_add_i32 s7, s18, s7
	s_delay_alu instid0(SALU_CYCLE_1) | instskip(NEXT) | instid1(SALU_CYCLE_1)
	s_lshl_b64 s[6:7], s[6:7], 3
	s_add_u32 s4, s4, s6
	s_addc_u32 s5, s5, s7
	s_mov_b32 s7, 0
	s_load_b64 s[4:5], s[4:5], 0x0
	s_mov_b32 s6, 0
	s_waitcnt lgkmcnt(0)
	v_cmp_eq_f32_e64 s4, s4, 1.0
	v_cmp_eq_f32_e64 s5, s5, 0
	s_delay_alu instid0(VALU_DEP_1) | instskip(NEXT) | instid1(SALU_CYCLE_1)
	s_and_b32 s4, s4, s5
	s_and_not1_b32 vcc_lo, exec_lo, s4
                                        ; implicit-def: $sgpr4_sgpr5
	s_cbranch_vccz .LBB181_5
; %bb.3:
	s_mov_b32 s6, -1
	s_mov_b64 s[4:5], 0
	s_branch .LBB181_5
.LBB181_4:
	s_mov_b32 s7, -1
	s_mov_b32 s6, s13
                                        ; implicit-def: $sgpr4_sgpr5
.LBB181_5:
	s_and_b32 vcc_lo, exec_lo, s7
	s_cbranch_vccz .LBB181_7
; %bb.6:
	s_lshl_b64 s[4:5], s[12:13], 3
	s_delay_alu instid0(SALU_CYCLE_1)
	s_add_u32 s4, s8, s4
	s_addc_u32 s5, s9, s5
	s_lshl_b64 s[6:7], s[10:11], 3
	s_load_b64 s[4:5], s[4:5], 0x0
	s_waitcnt lgkmcnt(0)
	s_add_u32 s4, s4, s6
	s_addc_u32 s5, s5, s7
	s_mov_b32 s6, -1
.LBB181_7:
	s_delay_alu instid0(SALU_CYCLE_1)
	s_and_not1_b32 vcc_lo, exec_lo, s6
	s_cbranch_vccnz .LBB181_160
; %bb.8:
	v_cndmask_b32_e64 v1, 0, 1, s15
	s_and_not1_b32 vcc_lo, exec_lo, s15
	s_mov_b64 s[6:7], 0
	s_cbranch_vccnz .LBB181_10
; %bb.9:
	s_load_b128 s[8:11], s[0:1], 0x38
	s_lshl_b64 s[6:7], s[12:13], 3
	s_waitcnt lgkmcnt(0)
	s_add_u32 s6, s8, s6
	s_addc_u32 s7, s9, s7
	s_lshl_b64 s[8:9], s[10:11], 3
	s_load_b64 s[6:7], s[6:7], 0x0
	s_waitcnt lgkmcnt(0)
	s_add_u32 s6, s6, s8
	s_addc_u32 s7, s7, s9
.LBB181_10:
	s_delay_alu instid0(VALU_DEP_1)
	v_cmp_ne_u32_e32 vcc_lo, 1, v1
	s_cbranch_vccnz .LBB181_160
; %bb.11:
	s_clause 0x1
	s_load_b32 s26, s[0:1], 0x48
	s_load_b32 s13, s[0:1], 0x0
	v_and_b32_e32 v25, 0x3ff, v0
	s_lshl_b32 s18, s14, 6
	s_load_b32 s15, s[2:3], 0x0
	v_bfe_u32 v95, v0, 10, 10
	s_delay_alu instid0(VALU_DEP_2) | instskip(SKIP_1) | instid1(VALU_DEP_1)
	v_add_nc_u32_e32 v24, s18, v25
	s_waitcnt lgkmcnt(0)
	v_mul_lo_u32 v1, v24, s26
	s_ashr_i32 s27, s13, 31
	s_delay_alu instid0(SALU_CYCLE_1) | instskip(SKIP_2) | instid1(SALU_CYCLE_1)
	s_lshr_b32 s2, s27, 26
	s_add_i32 s3, s15, -1
	s_add_i32 s2, s13, s2
	s_and_not1_b32 s2, s2, 63
	s_delay_alu instid0(VALU_DEP_1)
	v_ashrrev_i32_e32 v2, 31, v1
	s_sub_i32 s28, s13, s2
	v_cmp_eq_u32_e64 s2, 0, v95
	s_cmp_eq_u32 s14, s3
	s_mov_b32 s3, -1
	v_lshlrev_b64 v[1:2], 3, v[1:2]
	s_cselect_b32 s8, s28, 0
	s_delay_alu instid0(VALU_DEP_1) | instskip(NEXT) | instid1(VALU_DEP_2)
	v_add_co_u32 v12, vcc_lo, s6, v1
	v_add_co_ci_u32_e32 v13, vcc_lo, s7, v2, vcc_lo
	s_and_saveexec_b32 s6, s2
	s_cbranch_execz .LBB181_16
; %bb.12:
	v_cmp_le_i32_e32 vcc_lo, s8, v25
	s_cmp_lg_u32 s8, 0
	v_lshl_add_u32 v0, v25, 3, 0x2380
	s_cselect_b32 s7, -1, 0
	s_delay_alu instid0(SALU_CYCLE_1) | instskip(NEXT) | instid1(SALU_CYCLE_1)
	s_and_b32 s7, s7, vcc_lo
	s_and_saveexec_b32 s9, s7
	s_delay_alu instid0(SALU_CYCLE_1)
	s_xor_b32 s7, exec_lo, s9
	s_cbranch_execz .LBB181_14
; %bb.13:
	v_mov_b32_e32 v1, 0
	s_delay_alu instid0(VALU_DEP_1)
	v_mov_b32_e32 v2, v1
	ds_store_b64 v0, v[1:2]
                                        ; implicit-def: $vgpr0
.LBB181_14:
	s_and_not1_saveexec_b32 s7, s7
	s_cbranch_execz .LBB181_16
; %bb.15:
	flat_load_b64 v[1:2], v[12:13]
	s_waitcnt vmcnt(0) lgkmcnt(0)
	ds_store_b64 v0, v[1:2]
.LBB181_16:
	s_or_b32 exec_lo, exec_lo, s6
	s_load_b32 s10, s[0:1], 0x28
	v_lshl_add_u32 v22, v95, 6, v25
	v_and_b32_e32 v0, 31, v25
	s_ashr_i32 s19, s18, 31
	s_delay_alu instid0(SALU_CYCLE_1) | instskip(NEXT) | instid1(VALU_DEP_2)
	s_lshl_b64 s[0:1], s[18:19], 3
	v_lshrrev_b32_e32 v7, 5, v22
	s_add_u32 s4, s4, s0
	s_addc_u32 s5, s5, s1
	v_lshlrev_b32_e32 v9, 3, v0
	s_delay_alu instid0(VALU_DEP_2) | instskip(SKIP_3) | instid1(SALU_CYCLE_1)
	v_mul_u32_u24_e32 v8, 33, v7
	s_waitcnt lgkmcnt(0)
	v_mad_u64_u32 v[1:2], null, v7, s10, v[0:1]
	s_mul_i32 s0, s18, s10
	s_ashr_i32 s1, s0, 31
	s_delay_alu instid0(SALU_CYCLE_1) | instskip(NEXT) | instid1(SALU_CYCLE_1)
	s_lshl_b64 s[0:1], s[0:1], 3
	s_add_u32 s4, s0, s4
	s_delay_alu instid0(VALU_DEP_1)
	v_ashrrev_i32_e32 v2, 31, v1
	s_addc_u32 s5, s1, s5
	s_cmp_eq_u32 s8, 0
	v_cmp_gt_i32_e64 s0, s8, v0
	s_cselect_b32 s29, -1, 0
	v_lshlrev_b64 v[14:15], 3, v[1:2]
	s_cmp_lg_u32 s8, 0
	s_cselect_b32 s7, -1, 0
	s_delay_alu instid0(SALU_CYCLE_1) | instskip(NEXT) | instid1(VALU_DEP_1)
	s_and_b32 vcc_lo, exec_lo, s7
	v_add_co_u32 v3, s1, s4, v14
	s_delay_alu instid0(VALU_DEP_1)
	v_add_co_ci_u32_e64 v4, s1, s5, v15, s1
	s_cbranch_vccz .LBB181_34
; %bb.17:
	s_delay_alu instid0(VALU_DEP_2) | instskip(SKIP_1) | instid1(VALU_DEP_2)
	v_sub_co_u32 v1, vcc_lo, v3, v9
	s_ashr_i32 s9, s8, 31
	v_subrev_co_ci_u32_e32 v2, vcc_lo, 0, v4, vcc_lo
	s_lshl_b64 s[4:5], s[8:9], 3
	v_add_lshl_u32 v5, v8, v0, 3
	v_add_co_u32 v1, vcc_lo, v1, s4
	s_delay_alu instid0(VALU_DEP_3) | instskip(SKIP_1) | instid1(VALU_DEP_2)
	v_add_co_ci_u32_e32 v2, vcc_lo, s5, v2, vcc_lo
	s_mov_b32 s1, exec_lo
	v_add_co_u32 v1, vcc_lo, v1, -8
	s_delay_alu instid0(VALU_DEP_2) | instskip(NEXT) | instid1(VALU_DEP_2)
	v_add_co_ci_u32_e32 v2, vcc_lo, -1, v2, vcc_lo
	v_cndmask_b32_e64 v1, v1, v3, s0
	s_delay_alu instid0(VALU_DEP_2)
	v_cndmask_b32_e64 v2, v2, v4, s0
	v_cmpx_le_i32_e64 s8, v7
	s_xor_b32 s1, exec_lo, s1
	s_cbranch_execz .LBB181_19
; %bb.18:
	v_mov_b32_e32 v10, 0
	s_delay_alu instid0(VALU_DEP_1)
	v_mov_b32_e32 v11, v10
	ds_store_b64 v5, v[10:11]
.LBB181_19:
	s_and_not1_saveexec_b32 s1, s1
	s_cbranch_execz .LBB181_21
; %bb.20:
	flat_load_b64 v[10:11], v[1:2]
	s_waitcnt vmcnt(0) lgkmcnt(0)
	ds_store_b64 v5, v[10:11]
.LBB181_21:
	s_or_b32 exec_lo, exec_lo, s1
	v_add_nc_u32_e32 v6, 8, v7
	s_mov_b32 s1, exec_lo
	s_delay_alu instid0(VALU_DEP_1)
	v_cmpx_le_i32_e64 s8, v6
	s_xor_b32 s1, exec_lo, s1
	s_cbranch_execz .LBB181_23
; %bb.22:
	v_mul_u32_u24_e32 v6, 33, v6
	v_mov_b32_e32 v10, 0
	s_delay_alu instid0(VALU_DEP_2) | instskip(NEXT) | instid1(VALU_DEP_2)
	v_add_lshl_u32 v6, v6, v0, 3
	v_mov_b32_e32 v11, v10
	ds_store_b64 v6, v[10:11]
.LBB181_23:
	s_and_not1_saveexec_b32 s1, s1
	s_cbranch_execz .LBB181_25
; %bb.24:
	s_lshl_b32 s20, s10, 3
	s_delay_alu instid0(SALU_CYCLE_1) | instskip(NEXT) | instid1(SALU_CYCLE_1)
	s_ashr_i32 s21, s20, 31
	s_lshl_b64 s[20:21], s[20:21], 3
	s_delay_alu instid0(SALU_CYCLE_1)
	v_add_co_u32 v10, vcc_lo, v1, s20
	v_add_co_ci_u32_e32 v11, vcc_lo, s21, v2, vcc_lo
	flat_load_b64 v[10:11], v[10:11]
	s_waitcnt vmcnt(0) lgkmcnt(0)
	ds_store_b64 v5, v[10:11] offset:2112
.LBB181_25:
	s_or_b32 exec_lo, exec_lo, s1
	v_add_nc_u32_e32 v6, 16, v7
	s_mov_b32 s1, exec_lo
	s_delay_alu instid0(VALU_DEP_1)
	v_cmpx_le_i32_e64 s8, v6
	s_xor_b32 s1, exec_lo, s1
	s_cbranch_execz .LBB181_27
; %bb.26:
	v_mul_u32_u24_e32 v6, 33, v6
	v_mov_b32_e32 v10, 0
	s_delay_alu instid0(VALU_DEP_2) | instskip(NEXT) | instid1(VALU_DEP_2)
	v_add_lshl_u32 v6, v6, v0, 3
	v_mov_b32_e32 v11, v10
	ds_store_b64 v6, v[10:11]
.LBB181_27:
	s_and_not1_saveexec_b32 s1, s1
	s_cbranch_execz .LBB181_29
; %bb.28:
	s_lshl_b32 s20, s10, 4
	s_delay_alu instid0(SALU_CYCLE_1) | instskip(NEXT) | instid1(SALU_CYCLE_1)
	s_ashr_i32 s21, s20, 31
	s_lshl_b64 s[20:21], s[20:21], 3
	s_delay_alu instid0(SALU_CYCLE_1)
	v_add_co_u32 v10, vcc_lo, v1, s20
	v_add_co_ci_u32_e32 v11, vcc_lo, s21, v2, vcc_lo
	flat_load_b64 v[10:11], v[10:11]
	s_waitcnt vmcnt(0) lgkmcnt(0)
	ds_store_b64 v5, v[10:11] offset:4224
.LBB181_29:
	s_or_b32 exec_lo, exec_lo, s1
	v_add_nc_u32_e32 v6, 24, v7
	s_mov_b32 s1, exec_lo
	s_delay_alu instid0(VALU_DEP_1)
	v_cmpx_le_i32_e64 s8, v6
	s_xor_b32 s1, exec_lo, s1
	s_cbranch_execz .LBB181_31
; %bb.30:
	v_mov_b32_e32 v10, 0
	s_delay_alu instid0(VALU_DEP_1)
	v_mov_b32_e32 v11, v10
	ds_store_b64 v5, v[10:11] offset:6336
                                        ; implicit-def: $vgpr5
.LBB181_31:
	s_and_not1_saveexec_b32 s1, s1
	s_cbranch_execz .LBB181_33
; %bb.32:
	s_mul_i32 s20, s10, 24
	s_delay_alu instid0(SALU_CYCLE_1) | instskip(NEXT) | instid1(SALU_CYCLE_1)
	s_ashr_i32 s21, s20, 31
	s_lshl_b64 s[20:21], s[20:21], 3
	s_delay_alu instid0(SALU_CYCLE_1)
	v_add_co_u32 v10, vcc_lo, v1, s20
	v_add_co_ci_u32_e32 v11, vcc_lo, s21, v2, vcc_lo
	flat_load_b64 v[10:11], v[10:11]
	s_waitcnt vmcnt(0) lgkmcnt(0)
	ds_store_b64 v5, v[10:11] offset:6336
.LBB181_33:
	s_or_b32 exec_lo, exec_lo, s1
	v_add_co_u32 v1, vcc_lo, v1, v9
	v_add_co_ci_u32_e32 v2, vcc_lo, 0, v2, vcc_lo
	s_delay_alu instid0(VALU_DEP_2) | instskip(NEXT) | instid1(VALU_DEP_2)
	v_sub_co_u32 v1, vcc_lo, v1, s4
	v_subrev_co_ci_u32_e32 v2, vcc_lo, s5, v2, vcc_lo
	s_delay_alu instid0(VALU_DEP_2) | instskip(NEXT) | instid1(VALU_DEP_2)
	v_add_co_u32 v1, vcc_lo, v1, 8
	v_add_co_ci_u32_e32 v2, vcc_lo, 0, v2, vcc_lo
	s_delay_alu instid0(VALU_DEP_2) | instskip(NEXT) | instid1(VALU_DEP_2)
	v_cndmask_b32_e64 v1, v1, v3, s0
	v_cndmask_b32_e64 v2, v2, v4, s0
	s_branch .LBB181_36
.LBB181_34:
                                        ; implicit-def: $vgpr1_vgpr2
	s_and_b32 vcc_lo, exec_lo, s3
	s_cbranch_vccz .LBB181_36
; %bb.35:
	flat_load_b64 v[1:2], v[3:4]
	s_lshl_b32 s0, s10, 3
	v_add_lshl_u32 v10, v8, v0, 3
	s_ashr_i32 s1, s0, 31
	s_ashr_i32 s11, s10, 31
	s_lshl_b64 s[0:1], s[0:1], 3
	s_delay_alu instid0(SALU_CYCLE_1)
	v_add_co_u32 v5, vcc_lo, v3, s0
	v_add_co_ci_u32_e32 v6, vcc_lo, s1, v4, vcc_lo
	s_lshl_b64 s[0:1], s[10:11], 6
	s_waitcnt vmcnt(0) lgkmcnt(0)
	ds_store_b64 v10, v[1:2]
	flat_load_b64 v[1:2], v[5:6]
	v_add_co_u32 v5, vcc_lo, v5, s0
	v_add_co_ci_u32_e32 v6, vcc_lo, s1, v6, vcc_lo
	s_waitcnt vmcnt(0) lgkmcnt(0)
	ds_store_b64 v10, v[1:2] offset:2112
	flat_load_b64 v[1:2], v[5:6]
	v_add_co_u32 v5, vcc_lo, v5, s0
	v_add_co_ci_u32_e32 v6, vcc_lo, s1, v6, vcc_lo
	s_waitcnt vmcnt(0) lgkmcnt(0)
	ds_store_b64 v10, v[1:2] offset:4224
	flat_load_b64 v[5:6], v[5:6]
	v_dual_mov_b32 v1, v3 :: v_dual_mov_b32 v2, v4
	s_waitcnt vmcnt(0) lgkmcnt(0)
	ds_store_b64 v10, v[5:6] offset:6336
.LBB181_36:
	v_lshlrev_b32_e32 v3, 2, v7
	v_mul_u32_u24_e32 v10, 33, v0
	v_mul_u32_u24_e32 v4, 0x84, v7
	s_waitcnt lgkmcnt(0)
	s_barrier
	v_cmp_gt_u32_e64 s1, v3, v0
	v_add_lshl_u32 v16, v3, v10, 3
	buffer_gl0_inv
	s_and_saveexec_b32 s0, s1
	s_cbranch_execz .LBB181_38
; %bb.37:
	v_add_lshl_u32 v5, v4, v0, 3
	ds_load_b64 v[5:6], v5
	s_waitcnt lgkmcnt(0)
	ds_store_b64 v16, v[5:6]
.LBB181_38:
	s_or_b32 exec_lo, exec_lo, s0
	v_cmp_ge_u32_e64 s3, v3, v0
	s_delay_alu instid0(VALU_DEP_1)
	s_and_saveexec_b32 s0, s3
	s_cbranch_execz .LBB181_40
; %bb.39:
	v_or_b32_e32 v5, 1, v3
	s_delay_alu instid0(VALU_DEP_1) | instskip(NEXT) | instid1(VALU_DEP_1)
	v_mul_u32_u24_e32 v5, 33, v5
	v_add_lshl_u32 v5, v5, v0, 3
	ds_load_b64 v[5:6], v5
	s_waitcnt lgkmcnt(0)
	ds_store_b64 v16, v[5:6] offset:8
.LBB181_40:
	s_or_b32 exec_lo, exec_lo, s0
	v_or_b32_e32 v5, 2, v3
	s_delay_alu instid0(VALU_DEP_1) | instskip(NEXT) | instid1(VALU_DEP_1)
	v_cmp_gt_u32_e64 s4, v5, v0
	s_and_saveexec_b32 s0, s4
	s_cbranch_execz .LBB181_42
; %bb.41:
	v_mul_u32_u24_e32 v5, 33, v5
	s_delay_alu instid0(VALU_DEP_1)
	v_add_lshl_u32 v5, v5, v0, 3
	ds_load_b64 v[5:6], v5
	s_waitcnt lgkmcnt(0)
	ds_store_b64 v16, v[5:6] offset:16
.LBB181_42:
	s_or_b32 exec_lo, exec_lo, s0
	v_or_b32_e32 v5, 3, v3
	s_delay_alu instid0(VALU_DEP_1) | instskip(SKIP_1) | instid1(VALU_DEP_2)
	v_mad_u32_u24 v6, v5, 33, v0
	v_cmp_gt_u32_e64 s5, v5, v0
	v_lshlrev_b32_e32 v18, 3, v6
	s_delay_alu instid0(VALU_DEP_2)
	s_and_saveexec_b32 s0, s5
	s_cbranch_execz .LBB181_44
; %bb.43:
	ds_load_b64 v[5:6], v18
	s_waitcnt lgkmcnt(0)
	ds_store_b64 v16, v[5:6] offset:24
.LBB181_44:
	s_or_b32 exec_lo, exec_lo, s0
	v_add_lshl_u32 v11, v4, v0, 3
	v_lshlrev_b32_e32 v17, 3, v3
	v_add_nc_u32_e32 v19, 0xfffffdf0, v18
	s_waitcnt lgkmcnt(0)
	s_barrier
	buffer_gl0_inv
	ds_load_b64 v[20:21], v11
	ds_load_b128 v[3:6], v17 offset:9088
	ds_load_2addr_b64 v[26:29], v19 offset1:33
	ds_load_b128 v[30:33], v17 offset:9104
	ds_load_b64 v[34:35], v18
	v_cmp_gt_u32_e64 s0, 32, v22
	s_waitcnt lgkmcnt(0)
	s_barrier
	buffer_gl0_inv
	v_mul_f32_e32 v23, v4, v21
	v_dual_mul_f32 v21, v3, v21 :: v_dual_mul_f32 v36, v6, v27
	v_mul_f32_e32 v27, v5, v27
	s_delay_alu instid0(VALU_DEP_2) | instskip(NEXT) | instid1(VALU_DEP_4)
	v_dual_fmac_f32 v21, v4, v20 :: v_dual_mul_f32 v4, v33, v35
	v_fma_f32 v3, v3, v20, -v23
	v_dual_mul_f32 v20, v32, v35 :: v_dual_mul_f32 v37, v31, v29
	v_fma_f32 v5, v5, v26, -v36
	v_fmac_f32_e32 v27, v6, v26
	s_delay_alu instid0(VALU_DEP_3) | instskip(SKIP_3) | instid1(VALU_DEP_4)
	v_dual_add_f32 v3, 0, v3 :: v_dual_fmac_f32 v20, v33, v34
	v_mul_f32_e32 v29, v30, v29
	v_add_f32_e32 v6, 0, v21
	v_fma_f32 v21, v30, v28, -v37
	v_add_f32_e32 v3, v3, v5
	v_fma_f32 v4, v32, v34, -v4
	v_fmac_f32_e32 v29, v31, v28
	v_add_f32_e32 v5, v6, v27
	v_add_lshl_u32 v28, v7, v10, 3
	v_dual_add_f32 v3, v3, v21 :: v_dual_mov_b32 v26, 0
	v_lshlrev_b32_e32 v23, 3, v10
	s_delay_alu instid0(VALU_DEP_4) | instskip(SKIP_1) | instid1(VALU_DEP_4)
	v_add_f32_e32 v5, v5, v29
	v_mov_b32_e32 v27, 0
	v_add_f32_e32 v3, v3, v4
	s_delay_alu instid0(VALU_DEP_3)
	v_add_f32_e32 v4, v5, v20
	ds_store_b64 v28, v[3:4]
	s_waitcnt lgkmcnt(0)
	s_barrier
	buffer_gl0_inv
	s_and_saveexec_b32 s6, s0
	s_cbranch_execz .LBB181_46
; %bb.45:
	ds_load_2addr_b64 v[3:6], v23 offset1:7
	ds_load_2addr_b64 v[29:32], v23 offset0:1 offset1:2
	ds_load_2addr_b64 v[33:36], v23 offset0:3 offset1:4
	;; [unrolled: 1-line block ×3, first 2 shown]
	s_waitcnt lgkmcnt(2)
	v_dual_add_f32 v3, v29, v3 :: v_dual_add_f32 v4, v30, v4
	s_delay_alu instid0(VALU_DEP_1) | instskip(SKIP_1) | instid1(VALU_DEP_1)
	v_dual_add_f32 v3, v3, v31 :: v_dual_add_f32 v4, v4, v32
	s_waitcnt lgkmcnt(1)
	v_dual_add_f32 v3, v3, v33 :: v_dual_add_f32 v4, v4, v34
	s_delay_alu instid0(VALU_DEP_1) | instskip(SKIP_1) | instid1(VALU_DEP_1)
	v_dual_add_f32 v3, v3, v35 :: v_dual_add_f32 v4, v4, v36
	s_waitcnt lgkmcnt(0)
	v_dual_add_f32 v3, v3, v37 :: v_dual_add_f32 v4, v4, v38
	s_delay_alu instid0(VALU_DEP_1) | instskip(NEXT) | instid1(VALU_DEP_1)
	v_dual_add_f32 v3, v3, v39 :: v_dual_add_f32 v4, v4, v40
	v_dual_add_f32 v26, v3, v5 :: v_dual_add_f32 v27, v4, v6
.LBB181_46:
	s_or_b32 exec_lo, exec_lo, s6
	s_lshl_b32 s20, s10, 5
	s_delay_alu instid0(SALU_CYCLE_1)
	s_ashr_i32 s21, s20, 31
	s_barrier
	s_lshl_b64 s[22:23], s[20:21], 3
	buffer_gl0_inv
	v_add_co_u32 v3, vcc_lo, v1, s22
	v_add_co_ci_u32_e32 v4, vcc_lo, s23, v2, vcc_lo
	s_delay_alu instid0(VALU_DEP_2) | instskip(NEXT) | instid1(VALU_DEP_2)
	v_add_co_u32 v1, vcc_lo, 0x100, v3
	v_add_co_ci_u32_e32 v2, vcc_lo, 0, v4, vcc_lo
	s_and_b32 vcc_lo, exec_lo, s7
	s_cbranch_vccz .LBB181_64
; %bb.47:
	v_or_b32_e32 v5, 32, v0
	s_ashr_i32 s9, s8, 31
	s_delay_alu instid0(SALU_CYCLE_1) | instskip(SKIP_1) | instid1(VALU_DEP_1)
	s_lshl_b64 s[24:25], s[8:9], 3
	s_sub_i32 s9, s8, 32
	v_lshlrev_b32_e32 v6, 3, v5
	v_cmp_le_i32_e64 s6, s9, v7
	s_delay_alu instid0(VALU_DEP_2) | instskip(SKIP_1) | instid1(VALU_DEP_2)
	v_sub_co_u32 v6, vcc_lo, v1, v6
	v_subrev_co_ci_u32_e32 v20, vcc_lo, 0, v2, vcc_lo
	v_add_co_u32 v6, vcc_lo, v6, s24
	s_delay_alu instid0(VALU_DEP_2) | instskip(NEXT) | instid1(VALU_DEP_2)
	v_add_co_ci_u32_e32 v20, vcc_lo, s25, v20, vcc_lo
	v_add_co_u32 v21, vcc_lo, v6, -8
	s_delay_alu instid0(VALU_DEP_2) | instskip(SKIP_2) | instid1(VALU_DEP_3)
	v_add_co_ci_u32_e32 v6, vcc_lo, -1, v20, vcc_lo
	v_cmp_gt_i32_e32 vcc_lo, s8, v5
	v_add_lshl_u32 v20, v8, v0, 3
	v_dual_cndmask_b32 v6, v6, v2 :: v_dual_cndmask_b32 v5, v21, v1
	s_and_saveexec_b32 s11, s6
	s_delay_alu instid0(SALU_CYCLE_1)
	s_xor_b32 s6, exec_lo, s11
	s_cbranch_execz .LBB181_49
; %bb.48:
	v_mov_b32_e32 v29, 0
	s_delay_alu instid0(VALU_DEP_1)
	v_mov_b32_e32 v30, v29
	ds_store_b64 v20, v[29:30]
.LBB181_49:
	s_and_not1_saveexec_b32 s6, s6
	s_cbranch_execz .LBB181_51
; %bb.50:
	flat_load_b64 v[29:30], v[5:6]
	s_waitcnt vmcnt(0) lgkmcnt(0)
	ds_store_b64 v20, v[29:30]
.LBB181_51:
	s_or_b32 exec_lo, exec_lo, s6
	v_add_nc_u32_e32 v21, 8, v7
	s_delay_alu instid0(VALU_DEP_1) | instskip(NEXT) | instid1(VALU_DEP_1)
	v_cmp_le_i32_e64 s6, s9, v21
	s_and_saveexec_b32 s11, s6
	s_delay_alu instid0(SALU_CYCLE_1)
	s_xor_b32 s6, exec_lo, s11
	s_cbranch_execz .LBB181_53
; %bb.52:
	v_mul_u32_u24_e32 v21, 33, v21
	v_mov_b32_e32 v29, 0
	s_delay_alu instid0(VALU_DEP_2) | instskip(NEXT) | instid1(VALU_DEP_2)
	v_add_lshl_u32 v21, v21, v0, 3
	v_mov_b32_e32 v30, v29
	ds_store_b64 v21, v[29:30]
.LBB181_53:
	s_and_not1_saveexec_b32 s11, s6
	s_cbranch_execz .LBB181_55
; %bb.54:
	s_lshl_b32 s30, s10, 3
	s_delay_alu instid0(SALU_CYCLE_1) | instskip(NEXT) | instid1(SALU_CYCLE_1)
	s_ashr_i32 s31, s30, 31
	s_lshl_b64 s[30:31], s[30:31], 3
	s_delay_alu instid0(SALU_CYCLE_1) | instskip(NEXT) | instid1(VALU_DEP_1)
	v_add_co_u32 v29, s6, v5, s30
	v_add_co_ci_u32_e64 v30, s6, s31, v6, s6
	flat_load_b64 v[29:30], v[29:30]
	s_waitcnt vmcnt(0) lgkmcnt(0)
	ds_store_b64 v20, v[29:30] offset:2112
.LBB181_55:
	s_or_b32 exec_lo, exec_lo, s11
	v_add_nc_u32_e32 v21, 16, v7
	s_delay_alu instid0(VALU_DEP_1) | instskip(NEXT) | instid1(VALU_DEP_1)
	v_cmp_le_i32_e64 s6, s9, v21
	s_and_saveexec_b32 s11, s6
	s_delay_alu instid0(SALU_CYCLE_1)
	s_xor_b32 s6, exec_lo, s11
	s_cbranch_execz .LBB181_57
; %bb.56:
	v_mul_u32_u24_e32 v21, 33, v21
	v_mov_b32_e32 v29, 0
	s_delay_alu instid0(VALU_DEP_2) | instskip(NEXT) | instid1(VALU_DEP_2)
	v_add_lshl_u32 v21, v21, v0, 3
	v_mov_b32_e32 v30, v29
	ds_store_b64 v21, v[29:30]
.LBB181_57:
	s_and_not1_saveexec_b32 s11, s6
	s_cbranch_execz .LBB181_59
; %bb.58:
	s_lshl_b32 s30, s10, 4
	s_delay_alu instid0(SALU_CYCLE_1) | instskip(NEXT) | instid1(SALU_CYCLE_1)
	s_ashr_i32 s31, s30, 31
	s_lshl_b64 s[30:31], s[30:31], 3
	s_delay_alu instid0(SALU_CYCLE_1) | instskip(NEXT) | instid1(VALU_DEP_1)
	v_add_co_u32 v29, s6, v5, s30
	v_add_co_ci_u32_e64 v30, s6, s31, v6, s6
	flat_load_b64 v[29:30], v[29:30]
	s_waitcnt vmcnt(0) lgkmcnt(0)
	ds_store_b64 v20, v[29:30] offset:4224
.LBB181_59:
	s_or_b32 exec_lo, exec_lo, s11
	v_add_nc_u32_e32 v21, 24, v7
	s_delay_alu instid0(VALU_DEP_1) | instskip(NEXT) | instid1(VALU_DEP_1)
	v_cmp_le_i32_e64 s6, s9, v21
	s_and_saveexec_b32 s9, s6
	s_delay_alu instid0(SALU_CYCLE_1)
	s_xor_b32 s6, exec_lo, s9
	s_cbranch_execz .LBB181_61
; %bb.60:
	v_mov_b32_e32 v29, 0
	s_delay_alu instid0(VALU_DEP_1)
	v_mov_b32_e32 v30, v29
	ds_store_b64 v20, v[29:30] offset:6336
                                        ; implicit-def: $vgpr20
.LBB181_61:
	s_and_not1_saveexec_b32 s9, s6
	s_cbranch_execz .LBB181_63
; %bb.62:
	s_mul_i32 s30, s10, 24
	s_delay_alu instid0(SALU_CYCLE_1) | instskip(NEXT) | instid1(SALU_CYCLE_1)
	s_ashr_i32 s31, s30, 31
	s_lshl_b64 s[30:31], s[30:31], 3
	s_delay_alu instid0(SALU_CYCLE_1) | instskip(NEXT) | instid1(VALU_DEP_1)
	v_add_co_u32 v29, s6, v5, s30
	v_add_co_ci_u32_e64 v30, s6, s31, v6, s6
	flat_load_b64 v[29:30], v[29:30]
	s_waitcnt vmcnt(0) lgkmcnt(0)
	ds_store_b64 v20, v[29:30] offset:6336
.LBB181_63:
	s_or_b32 exec_lo, exec_lo, s9
	v_add_co_u32 v5, s6, v5, v9
	s_delay_alu instid0(VALU_DEP_1) | instskip(NEXT) | instid1(VALU_DEP_2)
	v_add_co_ci_u32_e64 v6, s6, 0, v6, s6
	v_sub_co_u32 v5, s6, v5, s24
	s_delay_alu instid0(VALU_DEP_1) | instskip(NEXT) | instid1(VALU_DEP_2)
	v_subrev_co_ci_u32_e64 v6, s6, s25, v6, s6
	v_add_co_u32 v5, s6, 0x108, v5
	s_delay_alu instid0(VALU_DEP_1) | instskip(NEXT) | instid1(VALU_DEP_1)
	v_add_co_ci_u32_e64 v6, s6, 0, v6, s6
	v_dual_cndmask_b32 v5, v5, v1 :: v_dual_cndmask_b32 v6, v6, v2
	s_branch .LBB181_66
.LBB181_64:
                                        ; implicit-def: $vgpr5_vgpr6
	s_cbranch_execz .LBB181_66
; %bb.65:
	flat_load_b64 v[5:6], v[3:4] offset:256
	s_lshl_b32 s24, s10, 3
	v_add_lshl_u32 v20, v8, v0, 3
	s_ashr_i32 s25, s24, 31
	s_ashr_i32 s11, s10, 31
	s_lshl_b64 s[24:25], s[24:25], 3
	s_delay_alu instid0(SALU_CYCLE_1)
	v_add_co_u32 v3, vcc_lo, v3, s24
	v_add_co_ci_u32_e32 v4, vcc_lo, s25, v4, vcc_lo
	s_lshl_b64 s[24:25], s[10:11], 6
	s_waitcnt vmcnt(0) lgkmcnt(0)
	ds_store_b64 v20, v[5:6]
	flat_load_b64 v[5:6], v[3:4] offset:256
	v_add_co_u32 v3, vcc_lo, v3, s24
	v_add_co_ci_u32_e32 v4, vcc_lo, s25, v4, vcc_lo
	s_waitcnt vmcnt(0) lgkmcnt(0)
	ds_store_b64 v20, v[5:6] offset:2112
	flat_load_b64 v[5:6], v[3:4] offset:256
	v_add_co_u32 v3, vcc_lo, v3, s24
	v_add_co_ci_u32_e32 v4, vcc_lo, s25, v4, vcc_lo
	s_waitcnt vmcnt(0) lgkmcnt(0)
	ds_store_b64 v20, v[5:6] offset:4224
	flat_load_b64 v[3:4], v[3:4] offset:256
	v_dual_mov_b32 v6, v2 :: v_dual_mov_b32 v5, v1
	s_waitcnt vmcnt(0) lgkmcnt(0)
	ds_store_b64 v20, v[3:4] offset:6336
.LBB181_66:
	s_waitcnt lgkmcnt(0)
	s_barrier
	buffer_gl0_inv
	s_and_saveexec_b32 s6, s1
	s_cbranch_execnz .LBB181_91
; %bb.67:
	s_or_b32 exec_lo, exec_lo, s6
	s_and_saveexec_b32 s1, s3
	s_cbranch_execnz .LBB181_92
.LBB181_68:
	s_or_b32 exec_lo, exec_lo, s1
	s_and_saveexec_b32 s1, s4
	s_cbranch_execnz .LBB181_93
.LBB181_69:
	s_or_b32 exec_lo, exec_lo, s1
	v_add_nc_u32_e32 v29, 0x2380, v17
	s_and_saveexec_b32 s1, s5
	s_cbranch_execz .LBB181_71
.LBB181_70:
	ds_load_b64 v[1:2], v18
	s_waitcnt lgkmcnt(0)
	ds_store_b64 v16, v[1:2] offset:24
.LBB181_71:
	s_or_b32 exec_lo, exec_lo, s1
	s_waitcnt lgkmcnt(0)
	s_barrier
	buffer_gl0_inv
	ds_load_b64 v[16:17], v11
	ds_load_b128 v[1:4], v29 offset:256
	ds_load_2addr_b64 v[30:33], v19 offset1:33
	ds_load_b128 v[34:37], v29 offset:272
	ds_load_b64 v[20:21], v18
	v_cmp_eq_u32_e64 s1, 1, v7
	s_waitcnt lgkmcnt(0)
	s_barrier
	buffer_gl0_inv
	v_dual_mul_f32 v38, v2, v17 :: v_dual_mul_f32 v39, v4, v31
	v_mul_f32_e32 v17, v1, v17
	v_mul_f32_e32 v31, v3, v31
	;; [unrolled: 1-line block ×3, first 2 shown]
	s_delay_alu instid0(VALU_DEP_4) | instskip(SKIP_3) | instid1(VALU_DEP_4)
	v_fma_f32 v1, v1, v16, -v38
	v_fma_f32 v3, v3, v30, -v39
	v_dual_fmac_f32 v17, v2, v16 :: v_dual_mul_f32 v2, v37, v21
	v_fmac_f32_e32 v31, v4, v30
	v_add_f32_e32 v1, 0, v1
	v_mul_f32_e32 v16, v36, v21
	v_mul_f32_e32 v33, v34, v33
	v_add_f32_e32 v4, 0, v17
	v_fma_f32 v17, v34, v32, -v40
	v_add_f32_e32 v1, v1, v3
	v_fmac_f32_e32 v16, v37, v20
	v_fmac_f32_e32 v33, v35, v32
	v_add_f32_e32 v3, v4, v31
	v_fma_f32 v2, v36, v20, -v2
	v_add_f32_e32 v1, v1, v17
	s_delay_alu instid0(VALU_DEP_3) | instskip(NEXT) | instid1(VALU_DEP_1)
	v_add_f32_e32 v3, v3, v33
	v_dual_add_f32 v1, v1, v2 :: v_dual_add_f32 v2, v3, v16
	ds_store_b64 v28, v[1:2]
	s_waitcnt lgkmcnt(0)
	s_barrier
	buffer_gl0_inv
	s_and_saveexec_b32 s3, s1
	s_cbranch_execz .LBB181_73
; %bb.72:
	ds_load_2addr_b64 v[1:4], v23 offset1:7
	ds_load_2addr_b64 v[30:33], v23 offset0:1 offset1:2
	ds_load_2addr_b64 v[34:37], v23 offset0:3 offset1:4
	;; [unrolled: 1-line block ×3, first 2 shown]
	s_waitcnt lgkmcnt(2)
	v_dual_add_f32 v1, v30, v1 :: v_dual_add_f32 v2, v31, v2
	s_delay_alu instid0(VALU_DEP_1) | instskip(SKIP_1) | instid1(VALU_DEP_1)
	v_dual_add_f32 v1, v1, v32 :: v_dual_add_f32 v2, v2, v33
	s_waitcnt lgkmcnt(1)
	v_dual_add_f32 v1, v1, v34 :: v_dual_add_f32 v2, v2, v35
	s_delay_alu instid0(VALU_DEP_1) | instskip(SKIP_1) | instid1(VALU_DEP_1)
	v_dual_add_f32 v1, v1, v36 :: v_dual_add_f32 v2, v2, v37
	s_waitcnt lgkmcnt(0)
	v_dual_add_f32 v1, v1, v38 :: v_dual_add_f32 v2, v2, v39
	s_delay_alu instid0(VALU_DEP_1) | instskip(NEXT) | instid1(VALU_DEP_1)
	v_dual_add_f32 v1, v1, v40 :: v_dual_add_f32 v2, v2, v41
	v_dual_add_f32 v26, v1, v3 :: v_dual_add_f32 v27, v2, v4
.LBB181_73:
	s_or_b32 exec_lo, exec_lo, s3
	v_add_co_u32 v1, vcc_lo, 0xffffff00, v5
	v_add_co_ci_u32_e32 v2, vcc_lo, -1, v6, vcc_lo
	s_and_b32 vcc_lo, exec_lo, s7
	s_barrier
	buffer_gl0_inv
	s_cbranch_vccz .LBB181_94
; %bb.74:
	v_sub_co_u32 v3, vcc_lo, v1, v9
	s_ashr_i32 s9, s8, 31
	v_subrev_co_ci_u32_e32 v4, vcc_lo, 0, v2, vcc_lo
	s_lshl_b64 s[4:5], s[8:9], 3
	s_sub_i32 s6, s8, 32
	v_add_co_u32 v3, vcc_lo, v3, s4
	s_delay_alu instid0(VALU_DEP_2) | instskip(SKIP_1) | instid1(VALU_DEP_3)
	v_add_co_ci_u32_e32 v4, vcc_lo, s5, v4, vcc_lo
	v_cmp_le_i32_e64 s3, s6, v7
	v_add_co_u32 v3, vcc_lo, v3, -8
	s_delay_alu instid0(VALU_DEP_3) | instskip(SKIP_2) | instid1(VALU_DEP_3)
	v_add_co_ci_u32_e32 v4, vcc_lo, -1, v4, vcc_lo
	v_cmp_gt_i32_e32 vcc_lo, s8, v0
	v_add_lshl_u32 v16, v8, v0, 3
	v_dual_cndmask_b32 v4, v4, v2 :: v_dual_cndmask_b32 v3, v3, v1
	s_and_saveexec_b32 s7, s3
	s_delay_alu instid0(SALU_CYCLE_1)
	s_xor_b32 s3, exec_lo, s7
	s_cbranch_execz .LBB181_76
; %bb.75:
	v_mov_b32_e32 v5, 0
	s_delay_alu instid0(VALU_DEP_1)
	v_mov_b32_e32 v6, v5
	ds_store_b64 v16, v[5:6]
.LBB181_76:
	s_and_not1_saveexec_b32 s3, s3
	s_cbranch_execz .LBB181_78
; %bb.77:
	flat_load_b64 v[5:6], v[3:4]
	s_waitcnt vmcnt(0) lgkmcnt(0)
	ds_store_b64 v16, v[5:6]
.LBB181_78:
	s_or_b32 exec_lo, exec_lo, s3
	v_add_nc_u32_e32 v5, 8, v7
	s_delay_alu instid0(VALU_DEP_1) | instskip(NEXT) | instid1(VALU_DEP_1)
	v_cmp_le_i32_e64 s3, s6, v5
	s_and_saveexec_b32 s7, s3
	s_delay_alu instid0(SALU_CYCLE_1)
	s_xor_b32 s3, exec_lo, s7
	s_cbranch_execz .LBB181_80
; %bb.79:
	v_mul_u32_u24_e32 v6, 33, v5
	v_mov_b32_e32 v20, 0
	s_delay_alu instid0(VALU_DEP_2) | instskip(NEXT) | instid1(VALU_DEP_2)
	v_add_lshl_u32 v6, v6, v0, 3
	v_mov_b32_e32 v21, v20
	ds_store_b64 v6, v[20:21]
.LBB181_80:
	s_and_not1_saveexec_b32 s7, s3
	s_cbranch_execz .LBB181_82
; %bb.81:
	s_lshl_b32 s24, s10, 3
	s_delay_alu instid0(SALU_CYCLE_1) | instskip(NEXT) | instid1(SALU_CYCLE_1)
	s_ashr_i32 s25, s24, 31
	s_lshl_b64 s[24:25], s[24:25], 3
	s_delay_alu instid0(SALU_CYCLE_1) | instskip(NEXT) | instid1(VALU_DEP_1)
	v_add_co_u32 v20, s3, v3, s24
	v_add_co_ci_u32_e64 v21, s3, s25, v4, s3
	flat_load_b64 v[20:21], v[20:21]
	s_waitcnt vmcnt(0) lgkmcnt(0)
	ds_store_b64 v16, v[20:21] offset:2112
.LBB181_82:
	s_or_b32 exec_lo, exec_lo, s7
	v_add_nc_u32_e32 v6, 16, v7
	s_delay_alu instid0(VALU_DEP_1) | instskip(NEXT) | instid1(VALU_DEP_1)
	v_cmp_le_i32_e64 s3, s6, v6
	s_and_saveexec_b32 s7, s3
	s_delay_alu instid0(SALU_CYCLE_1)
	s_xor_b32 s3, exec_lo, s7
	s_cbranch_execz .LBB181_84
; %bb.83:
	v_mul_u32_u24_e32 v17, 33, v6
	v_mov_b32_e32 v20, 0
	s_delay_alu instid0(VALU_DEP_2) | instskip(NEXT) | instid1(VALU_DEP_2)
	v_add_lshl_u32 v17, v17, v0, 3
	v_mov_b32_e32 v21, v20
	ds_store_b64 v17, v[20:21]
.LBB181_84:
	s_and_not1_saveexec_b32 s7, s3
	s_cbranch_execz .LBB181_86
; %bb.85:
	s_lshl_b32 s24, s10, 4
	s_delay_alu instid0(SALU_CYCLE_1) | instskip(NEXT) | instid1(SALU_CYCLE_1)
	s_ashr_i32 s25, s24, 31
	s_lshl_b64 s[24:25], s[24:25], 3
	s_delay_alu instid0(SALU_CYCLE_1) | instskip(NEXT) | instid1(VALU_DEP_1)
	v_add_co_u32 v20, s3, v3, s24
	v_add_co_ci_u32_e64 v21, s3, s25, v4, s3
	flat_load_b64 v[20:21], v[20:21]
	s_waitcnt vmcnt(0) lgkmcnt(0)
	ds_store_b64 v16, v[20:21] offset:4224
.LBB181_86:
	s_or_b32 exec_lo, exec_lo, s7
	v_add_nc_u32_e32 v20, 24, v7
	s_delay_alu instid0(VALU_DEP_1) | instskip(NEXT) | instid1(VALU_DEP_1)
	v_cmp_le_i32_e64 s3, s6, v20
	s_and_saveexec_b32 s6, s3
	s_delay_alu instid0(SALU_CYCLE_1)
	s_xor_b32 s3, exec_lo, s6
	s_cbranch_execz .LBB181_88
; %bb.87:
	v_mov_b32_e32 v30, 0
	s_delay_alu instid0(VALU_DEP_1)
	v_mov_b32_e32 v31, v30
	ds_store_b64 v16, v[30:31] offset:6336
                                        ; implicit-def: $vgpr16
.LBB181_88:
	s_and_not1_saveexec_b32 s6, s3
	s_cbranch_execz .LBB181_90
; %bb.89:
	s_mul_i32 s24, s10, 24
	s_delay_alu instid0(SALU_CYCLE_1) | instskip(NEXT) | instid1(SALU_CYCLE_1)
	s_ashr_i32 s25, s24, 31
	s_lshl_b64 s[24:25], s[24:25], 3
	s_delay_alu instid0(SALU_CYCLE_1) | instskip(NEXT) | instid1(VALU_DEP_1)
	v_add_co_u32 v30, s3, v3, s24
	v_add_co_ci_u32_e64 v31, s3, s25, v4, s3
	flat_load_b64 v[30:31], v[30:31]
	s_waitcnt vmcnt(0) lgkmcnt(0)
	ds_store_b64 v16, v[30:31] offset:6336
.LBB181_90:
	s_or_b32 exec_lo, exec_lo, s6
	v_add_co_u32 v3, s3, v3, v9
	s_delay_alu instid0(VALU_DEP_1) | instskip(NEXT) | instid1(VALU_DEP_2)
	v_add_co_ci_u32_e64 v4, s3, 0, v4, s3
	v_sub_co_u32 v3, s3, v3, s4
	s_delay_alu instid0(VALU_DEP_1) | instskip(NEXT) | instid1(VALU_DEP_2)
	v_subrev_co_ci_u32_e64 v4, s3, s5, v4, s3
	v_add_co_u32 v3, s3, v3, 8
	s_delay_alu instid0(VALU_DEP_1) | instskip(NEXT) | instid1(VALU_DEP_1)
	v_add_co_ci_u32_e64 v4, s3, 0, v4, s3
	v_dual_cndmask_b32 v16, v3, v1 :: v_dual_cndmask_b32 v17, v4, v2
	s_branch .LBB181_96
.LBB181_91:
	ds_load_b64 v[1:2], v11
	s_waitcnt lgkmcnt(0)
	ds_store_b64 v16, v[1:2]
	s_or_b32 exec_lo, exec_lo, s6
	s_and_saveexec_b32 s1, s3
	s_cbranch_execz .LBB181_68
.LBB181_92:
	ds_load_b64 v[1:2], v19
	s_waitcnt lgkmcnt(0)
	ds_store_b64 v16, v[1:2] offset:8
	s_or_b32 exec_lo, exec_lo, s1
	s_and_saveexec_b32 s1, s4
	s_cbranch_execz .LBB181_69
.LBB181_93:
	ds_load_b64 v[1:2], v19 offset:264
	s_waitcnt lgkmcnt(0)
	ds_store_b64 v16, v[1:2] offset:16
	s_or_b32 exec_lo, exec_lo, s1
	v_add_nc_u32_e32 v29, 0x2380, v17
	s_and_saveexec_b32 s1, s5
	s_cbranch_execnz .LBB181_70
	s_branch .LBB181_71
.LBB181_94:
                                        ; implicit-def: $vgpr16_vgpr17
                                        ; implicit-def: $vgpr5
                                        ; implicit-def: $vgpr6
                                        ; implicit-def: $vgpr20
	s_cbranch_execz .LBB181_96
; %bb.95:
	flat_load_b64 v[3:4], v[1:2]
	s_lshl_b32 s4, s10, 3
	v_add_lshl_u32 v0, v8, v0, 3
	s_ashr_i32 s5, s4, 31
	s_ashr_i32 s11, s10, 31
	s_lshl_b64 s[4:5], s[4:5], 3
	v_add_nc_u32_e32 v20, 24, v7
	v_add_co_u32 v5, vcc_lo, v1, s4
	v_add_co_ci_u32_e32 v6, vcc_lo, s5, v2, vcc_lo
	s_lshl_b64 s[4:5], s[10:11], 6
	v_dual_mov_b32 v17, v2 :: v_dual_mov_b32 v16, v1
	s_waitcnt vmcnt(0) lgkmcnt(0)
	ds_store_b64 v0, v[3:4]
	flat_load_b64 v[3:4], v[5:6]
	v_add_co_u32 v5, vcc_lo, v5, s4
	v_add_co_ci_u32_e32 v6, vcc_lo, s5, v6, vcc_lo
	s_waitcnt vmcnt(0) lgkmcnt(0)
	ds_store_b64 v0, v[3:4] offset:2112
	flat_load_b64 v[3:4], v[5:6]
	v_add_co_u32 v5, vcc_lo, v5, s4
	v_add_co_ci_u32_e32 v6, vcc_lo, s5, v6, vcc_lo
	s_waitcnt vmcnt(0) lgkmcnt(0)
	ds_store_b64 v0, v[3:4] offset:4224
	flat_load_b64 v[3:4], v[5:6]
	v_add_nc_u32_e32 v6, 16, v7
	v_add_nc_u32_e32 v5, 8, v7
	s_waitcnt vmcnt(0) lgkmcnt(0)
	ds_store_b64 v0, v[3:4] offset:6336
.LBB181_96:
	s_waitcnt lgkmcnt(0)
	s_barrier
	buffer_gl0_inv
	ds_load_b64 v[30:31], v28
	v_lshlrev_b32_e32 v0, 3, v7
	v_add_lshl_u32 v1, v5, v10, 3
	v_lshlrev_b32_e32 v2, 3, v5
	v_add_lshl_u32 v3, v6, v10, 3
	;; [unrolled: 2-line block ×3, first 2 shown]
	v_lshlrev_b32_e32 v6, 3, v20
	ds_load_b64 v[32:33], v0 offset:9088
	ds_load_b64 v[34:35], v1
	ds_load_b64 v[36:37], v2 offset:9088
	ds_load_b64 v[38:39], v3
	;; [unrolled: 2-line block ×4, first 2 shown]
	ds_load_b128 v[8:11], v29 offset:256
	ds_load_b128 v[0:3], v29 offset:272
	ds_load_2addr_b64 v[4:7], v19 offset1:33
	ds_load_b64 v[18:19], v18
	s_waitcnt lgkmcnt(0)
	s_barrier
	buffer_gl0_inv
	v_mul_f32_e32 v29, v33, v31
	v_mul_f32_e32 v47, v41, v39
	;; [unrolled: 1-line block ×4, first 2 shown]
	s_delay_alu instid0(VALU_DEP_4) | instskip(SKIP_1) | instid1(VALU_DEP_4)
	v_fma_f32 v29, v32, v30, -v29
	v_mul_f32_e32 v46, v37, v35
	v_dual_fmac_f32 v31, v33, v30 :: v_dual_mul_f32 v30, v40, v39
	v_mul_f32_e32 v35, v36, v35
	s_delay_alu instid0(VALU_DEP_4) | instskip(NEXT) | instid1(VALU_DEP_4)
	v_add_f32_e32 v29, 0, v29
	v_fma_f32 v32, v36, v34, -v46
	s_delay_alu instid0(VALU_DEP_4) | instskip(NEXT) | instid1(VALU_DEP_4)
	v_dual_fmac_f32 v30, v41, v38 :: v_dual_mul_f32 v33, v44, v43
	v_fmac_f32_e32 v35, v37, v34
	v_fma_f32 v34, v40, v38, -v47
	s_delay_alu instid0(VALU_DEP_4) | instskip(SKIP_3) | instid1(VALU_DEP_4)
	v_add_f32_e32 v29, v29, v32
	v_fma_f32 v32, v44, v42, -v48
	v_fmac_f32_e32 v33, v45, v42
	v_add_f32_e32 v31, 0, v31
	v_add_f32_e32 v29, v29, v34
	s_delay_alu instid0(VALU_DEP_2) | instskip(NEXT) | instid1(VALU_DEP_1)
	v_add_f32_e32 v31, v31, v35
	v_dual_add_f32 v29, v29, v32 :: v_dual_add_f32 v30, v31, v30
	s_delay_alu instid0(VALU_DEP_1)
	v_add_f32_e32 v30, v30, v33
	ds_store_b64 v28, v[29:30]
	s_waitcnt lgkmcnt(0)
	s_barrier
	buffer_gl0_inv
	s_and_saveexec_b32 s3, s1
	s_cbranch_execz .LBB181_98
; %bb.97:
	ds_load_2addr_b64 v[29:32], v23 offset1:1
	ds_load_2addr_b64 v[33:36], v23 offset0:2 offset1:3
	ds_load_2addr_b64 v[37:40], v23 offset0:4 offset1:5
	s_waitcnt lgkmcnt(2)
	v_dual_add_f32 v26, v26, v29 :: v_dual_add_f32 v27, v27, v30
	s_delay_alu instid0(VALU_DEP_1) | instskip(SKIP_3) | instid1(VALU_DEP_1)
	v_dual_add_f32 v26, v26, v31 :: v_dual_add_f32 v27, v27, v32
	ds_load_2addr_b64 v[29:32], v23 offset0:6 offset1:7
	s_waitcnt lgkmcnt(2)
	v_dual_add_f32 v26, v26, v33 :: v_dual_add_f32 v27, v27, v34
	v_dual_add_f32 v26, v26, v35 :: v_dual_add_f32 v27, v27, v36
	s_waitcnt lgkmcnt(1)
	s_delay_alu instid0(VALU_DEP_1) | instskip(NEXT) | instid1(VALU_DEP_1)
	v_dual_add_f32 v26, v26, v37 :: v_dual_add_f32 v27, v27, v38
	v_dual_add_f32 v26, v26, v39 :: v_dual_add_f32 v27, v27, v40
	s_waitcnt lgkmcnt(0)
	s_delay_alu instid0(VALU_DEP_1) | instskip(NEXT) | instid1(VALU_DEP_1)
	v_dual_add_f32 v26, v26, v29 :: v_dual_add_f32 v27, v27, v30
	v_dual_add_f32 v26, v26, v31 :: v_dual_add_f32 v27, v27, v32
.LBB181_98:
	s_or_b32 exec_lo, exec_lo, s3
	v_mul_f32_e32 v29, v9, v21
	v_mul_f32_e32 v21, v8, v21
	v_dual_mul_f32 v30, v11, v5 :: v_dual_mul_f32 v31, v1, v7
	s_delay_alu instid0(VALU_DEP_3) | instskip(NEXT) | instid1(VALU_DEP_3)
	v_fma_f32 v8, v8, v20, -v29
	v_fmac_f32_e32 v21, v9, v20
	v_mul_f32_e32 v7, v0, v7
	s_delay_alu instid0(VALU_DEP_4)
	v_fma_f32 v0, v0, v6, -v31
	s_barrier
	v_dual_add_f32 v8, 0, v8 :: v_dual_mul_f32 v5, v10, v5
	v_fma_f32 v10, v10, v4, -v30
	buffer_gl0_inv
	v_dual_add_f32 v8, v8, v10 :: v_dual_mul_f32 v9, v3, v19
	v_fmac_f32_e32 v5, v11, v4
	s_delay_alu instid0(VALU_DEP_2) | instskip(NEXT) | instid1(VALU_DEP_3)
	v_dual_mul_f32 v11, v2, v19 :: v_dual_add_f32 v0, v8, v0
	v_fma_f32 v2, v2, v18, -v9
	s_delay_alu instid0(VALU_DEP_2) | instskip(NEXT) | instid1(VALU_DEP_2)
	v_fmac_f32_e32 v11, v3, v18
	v_add_f32_e32 v0, v0, v2
	v_dual_add_f32 v4, 0, v21 :: v_dual_fmac_f32 v7, v1, v6
	s_delay_alu instid0(VALU_DEP_1) | instskip(NEXT) | instid1(VALU_DEP_1)
	v_add_f32_e32 v1, v4, v5
	v_add_f32_e32 v1, v1, v7
	s_delay_alu instid0(VALU_DEP_1)
	v_add_f32_e32 v1, v1, v11
	ds_store_b64 v28, v[0:1]
	s_waitcnt lgkmcnt(0)
	s_barrier
	buffer_gl0_inv
	s_and_saveexec_b32 s1, s0
	s_cbranch_execz .LBB181_100
; %bb.99:
	ds_load_2addr_b64 v[0:3], v23 offset1:1
	ds_load_2addr_b64 v[4:7], v23 offset0:2 offset1:3
	ds_load_2addr_b64 v[8:11], v23 offset0:4 offset1:5
	s_waitcnt lgkmcnt(2)
	v_dual_add_f32 v0, v26, v0 :: v_dual_add_f32 v1, v27, v1
	s_delay_alu instid0(VALU_DEP_1) | instskip(SKIP_3) | instid1(VALU_DEP_1)
	v_dual_add_f32 v18, v0, v2 :: v_dual_add_f32 v19, v1, v3
	ds_load_2addr_b64 v[0:3], v23 offset0:6 offset1:7
	s_waitcnt lgkmcnt(2)
	v_dual_add_f32 v4, v18, v4 :: v_dual_add_f32 v5, v19, v5
	v_dual_add_f32 v4, v4, v6 :: v_dual_add_f32 v5, v5, v7
	s_waitcnt lgkmcnt(1)
	s_delay_alu instid0(VALU_DEP_1) | instskip(NEXT) | instid1(VALU_DEP_1)
	v_dual_add_f32 v4, v4, v8 :: v_dual_add_f32 v5, v5, v9
	v_dual_add_f32 v4, v4, v10 :: v_dual_add_f32 v5, v5, v11
	s_waitcnt lgkmcnt(0)
	s_delay_alu instid0(VALU_DEP_1) | instskip(NEXT) | instid1(VALU_DEP_1)
	v_dual_add_f32 v0, v4, v0 :: v_dual_add_f32 v1, v5, v1
	v_dual_add_f32 v26, v0, v2 :: v_dual_add_f32 v27, v1, v3
.LBB181_100:
	s_or_b32 exec_lo, exec_lo, s1
	s_mul_hi_u32 s0, s13, s12
	s_mul_i32 s27, s27, s12
	s_mul_i32 s1, s13, s12
	s_add_i32 s0, s0, s27
	s_mul_hi_u32 s4, s1, s15
	s_mul_i32 s3, s0, s15
	s_mul_i32 s0, s1, s15
	s_add_i32 s1, s4, s3
	s_mul_hi_i32 s5, s13, s14
	s_lshl_b64 s[0:1], s[0:1], 3
	s_mul_i32 s4, s13, s14
	s_add_u32 s3, s16, s0
	s_addc_u32 s6, s17, s1
	s_lshl_b64 s[0:1], s[4:5], 3
	v_lshlrev_b32_e32 v96, 3, v25
	s_add_u32 s3, s3, s0
	s_addc_u32 s9, s6, s1
	s_add_i32 s1, s14, 1
	s_delay_alu instid0(SALU_CYCLE_1)
	s_cmp_ge_u32 s1, s15
	s_barrier
	buffer_gl0_inv
	s_cbranch_scc1 .LBB181_158
; %bb.101:
	v_dual_mov_b32 v30, 0 :: v_dual_lshlrev_b32 v97, 2, v95
	v_and_b32_e32 v4, 48, v25
	v_and_b32_e32 v2, 15, v25
	v_lshrrev_b32_e32 v3, 4, v22
	s_delay_alu instid0(VALU_DEP_4) | instskip(NEXT) | instid1(VALU_DEP_4)
	v_mad_u64_u32 v[0:1], null, v97, s10, v[25:26]
	v_lshlrev_b32_e32 v5, 3, v4
	s_mul_i32 s4, s18, s26
	v_or_b32_e32 v6, 0x78, v96
	v_lshlrev_b32_e32 v7, 5, v3
	s_ashr_i32 s5, s4, 31
	v_mad_u32_u24 v102, 0x218, v2, v5
	v_ashrrev_i32_e32 v1, 31, v0
	v_mul_i32_i24_e32 v5, 0xffffffe8, v3
	v_add_nc_u32_e32 v3, s18, v4
	s_lshl_b64 s[4:5], s[4:5], 3
	v_mad_u32_u24 v103, 0x218, v2, v6
	v_sub_co_u32 v98, vcc_lo, v12, s4
	v_mad_u32_u24 v104, 0x218, v2, v7
	s_ashr_i32 s11, s10, 31
	v_add3_u32 v28, v3, v2, 64
	v_lshlrev_b64 v[2:3], 3, v[0:1]
	s_lshl_b32 s31, s26, 6
	s_lshl_b32 s12, s10, 4
	s_lshl_b32 s24, s10, 1
	s_mul_i32 s34, s10, 3
	s_mul_i32 s26, s26, s1
	v_subrev_co_ci_u32_e32 v99, vcc_lo, s5, v13, vcc_lo
	s_lshl_b64 s[18:19], s[10:11], 4
	s_add_i32 s30, s15, -2
	s_ashr_i32 s13, s12, 31
	s_ashr_i32 s25, s24, 31
	s_ashr_i32 s35, s34, 31
	s_lshl_b64 s[16:17], s[10:11], 3
	s_lshl_b32 s4, s26, 6
	v_sub_co_u32 v122, vcc_lo, 0, v14
	s_add_u32 s1, s18, s22
	v_sub_co_ci_u32_e32 v123, vcc_lo, 0, v15, vcc_lo
	s_addc_u32 s5, s19, s23
	v_add_co_u32 v4, vcc_lo, s1, v2
	s_lshl_b64 s[6:7], s[12:13], 5
	s_add_u32 s11, s16, s22
	v_add_co_ci_u32_e32 v6, vcc_lo, s5, v3, vcc_lo
	s_addc_u32 s33, s17, s23
	v_add_co_u32 v7, vcc_lo, s11, v2
	v_add_co_ci_u32_e32 v8, vcc_lo, s33, v3, vcc_lo
	v_add_co_u32 v124, vcc_lo, v16, v4
	v_add_co_ci_u32_e32 v125, vcc_lo, v17, v6, vcc_lo
	s_delay_alu instid0(VALU_DEP_4) | instskip(NEXT) | instid1(VALU_DEP_4)
	v_add_co_u32 v126, vcc_lo, v16, v7
	v_add_co_ci_u32_e32 v127, vcc_lo, v17, v8, vcc_lo
	v_add_co_u32 v4, vcc_lo, s22, v2
	v_add_co_ci_u32_e32 v6, vcc_lo, s23, v3, vcc_lo
	s_lshl_b64 s[24:25], s[24:25], 3
	s_delay_alu instid0(VALU_DEP_2) | instskip(SKIP_1) | instid1(VALU_DEP_2)
	v_add_co_u32 v128, vcc_lo, v16, v4
	s_add_u32 s26, s22, s24
	v_add_co_ci_u32_e32 v129, vcc_lo, v17, v6, vcc_lo
	s_addc_u32 s27, s23, s25
	v_add_co_u32 v4, vcc_lo, s26, v2
	v_add_co_ci_u32_e32 v6, vcc_lo, s27, v3, vcc_lo
	s_lshl_b64 s[26:27], s[34:35], 3
	s_delay_alu instid0(VALU_DEP_2) | instskip(SKIP_1) | instid1(VALU_DEP_2)
	v_add_co_u32 v130, vcc_lo, v16, v4
	s_add_u32 s34, s22, s26
	v_add_co_ci_u32_e32 v131, vcc_lo, v17, v6, vcc_lo
	s_addc_u32 s35, s23, s27
	;; [unrolled: 8-line block ×3, first 2 shown]
	v_add_co_u32 v4, vcc_lo, s36, v2
	s_add_u32 s11, s11, s34
	v_add_co_ci_u32_e32 v6, vcc_lo, s37, v3, vcc_lo
	s_addc_u32 s33, s33, s35
	v_add_co_u32 v7, vcc_lo, s11, v2
	v_add_co_ci_u32_e32 v8, vcc_lo, s33, v3, vcc_lo
	v_add_co_u32 v134, vcc_lo, v16, v4
	v_add_co_ci_u32_e32 v135, vcc_lo, v17, v6, vcc_lo
	s_delay_alu instid0(VALU_DEP_4)
	v_add_co_u32 v136, vcc_lo, v16, v7
	s_add_u32 s11, s22, s34
	v_add_co_ci_u32_e32 v137, vcc_lo, v17, v8, vcc_lo
	s_addc_u32 s33, s23, s35
	v_add_co_u32 v4, vcc_lo, s11, v2
	s_add_u32 s34, s11, s24
	v_add_co_ci_u32_e32 v6, vcc_lo, s33, v3, vcc_lo
	s_addc_u32 s35, s33, s25
	v_add_co_u32 v7, vcc_lo, s34, v2
	v_add_co_ci_u32_e32 v8, vcc_lo, s35, v3, vcc_lo
	v_add_co_u32 v138, vcc_lo, v16, v4
	v_add_co_ci_u32_e32 v139, vcc_lo, v17, v6, vcc_lo
	s_delay_alu instid0(VALU_DEP_4)
	v_add_co_u32 v140, vcc_lo, v16, v7
	s_add_u32 s11, s11, s26
	v_add_co_ci_u32_e32 v141, vcc_lo, v17, v8, vcc_lo
	s_addc_u32 s33, s33, s27
	v_add_co_u32 v4, vcc_lo, s11, v2
	v_add_co_ci_u32_e32 v6, vcc_lo, s33, v3, vcc_lo
	s_lshl_b64 s[34:35], s[12:13], 4
	s_delay_alu instid0(VALU_DEP_2) | instskip(SKIP_1) | instid1(VALU_DEP_2)
	v_add_co_u32 v142, vcc_lo, v16, v4
	s_add_u32 s1, s1, s34
	v_add_co_ci_u32_e32 v143, vcc_lo, v17, v6, vcc_lo
	s_addc_u32 s5, s5, s35
	v_add_co_u32 v4, vcc_lo, s1, v2
	s_add_u32 s1, s34, s22
	v_add_co_ci_u32_e32 v6, vcc_lo, s5, v3, vcc_lo
	s_addc_u32 s5, s35, s23
	s_add_u32 s11, s1, s16
	s_addc_u32 s13, s5, s17
	v_add_co_u32 v7, vcc_lo, s11, v2
	v_add_co_ci_u32_e32 v8, vcc_lo, s13, v3, vcc_lo
	v_add_co_u32 v144, vcc_lo, v16, v4
	v_add_co_ci_u32_e32 v145, vcc_lo, v17, v6, vcc_lo
	s_delay_alu instid0(VALU_DEP_4) | instskip(NEXT) | instid1(VALU_DEP_4)
	v_add_co_u32 v146, vcc_lo, v16, v7
	v_add_co_ci_u32_e32 v147, vcc_lo, v17, v8, vcc_lo
	v_add_co_u32 v4, vcc_lo, s1, v2
	s_add_u32 s11, s1, s24
	v_add_co_ci_u32_e32 v6, vcc_lo, s5, v3, vcc_lo
	s_addc_u32 s13, s5, s25
	v_add_co_u32 v7, vcc_lo, s11, v2
	v_add_co_ci_u32_e32 v8, vcc_lo, s13, v3, vcc_lo
	v_add_co_u32 v148, vcc_lo, v16, v4
	v_add_co_ci_u32_e32 v149, vcc_lo, v17, v6, vcc_lo
	s_delay_alu instid0(VALU_DEP_4) | instskip(NEXT) | instid1(VALU_DEP_4)
	v_add_co_u32 v150, vcc_lo, v16, v7
	v_add_co_ci_u32_e32 v151, vcc_lo, v17, v8, vcc_lo
	v_add_co_u32 v0, vcc_lo, s20, v0
	v_add_co_ci_u32_e32 v1, vcc_lo, s21, v1, vcc_lo
	s_add_u32 s1, s1, s26
	s_addc_u32 s5, s5, s27
	v_add_co_u32 v2, vcc_lo, s1, v2
	s_delay_alu instid0(VALU_DEP_2) | instskip(SKIP_1) | instid1(VALU_DEP_3)
	v_lshlrev_b64 v[0:1], 3, v[0:1]
	v_add_co_ci_u32_e32 v3, vcc_lo, s5, v3, vcc_lo
	v_add_co_u32 v152, vcc_lo, v16, v2
	s_mul_i32 s1, s10, 0x180
	s_delay_alu instid0(VALU_DEP_2) | instskip(NEXT) | instid1(VALU_DEP_4)
	v_add_co_ci_u32_e32 v153, vcc_lo, v17, v3, vcc_lo
	v_mad_i64_i32 v[2:3], null, s12, 24, v[0:1]
	s_mul_hi_i32 s5, s12, 24
	s_add_u32 s1, s1, s18
	s_addc_u32 s5, s5, s19
	v_add_co_u32 v0, vcc_lo, s1, v0
	v_add_co_ci_u32_e32 v1, vcc_lo, s5, v1, vcc_lo
	s_delay_alu instid0(VALU_DEP_3) | instskip(NEXT) | instid1(VALU_DEP_4)
	v_add_co_u32 v4, vcc_lo, v2, s16
	v_add_co_ci_u32_e32 v6, vcc_lo, s17, v3, vcc_lo
	s_delay_alu instid0(VALU_DEP_4) | instskip(NEXT) | instid1(VALU_DEP_4)
	v_add_co_u32 v154, vcc_lo, v16, v0
	v_add_co_ci_u32_e32 v155, vcc_lo, v17, v1, vcc_lo
	s_delay_alu instid0(VALU_DEP_4) | instskip(NEXT) | instid1(VALU_DEP_4)
	v_add_co_u32 v156, vcc_lo, v16, v4
	v_add_co_ci_u32_e32 v157, vcc_lo, v17, v6, vcc_lo
	v_add_co_u32 v158, vcc_lo, v16, v2
	v_add_co_ci_u32_e32 v159, vcc_lo, v17, v3, vcc_lo
	;; [unrolled: 2-line block ×4, first 2 shown]
	s_delay_alu instid0(VALU_DEP_4) | instskip(NEXT) | instid1(VALU_DEP_4)
	v_add_co_u32 v160, vcc_lo, v16, v0
	v_add_co_ci_u32_e32 v161, vcc_lo, v17, v1, vcc_lo
	s_delay_alu instid0(VALU_DEP_4)
	v_add_co_u32 v162, vcc_lo, v16, v2
	v_add_nc_u32_e32 v100, 0x2180, v96
	v_add_nc_u32_e32 v101, 0x2380, v96
	v_cmp_gt_u32_e64 s0, 64, v22
	v_or_b32_e32 v105, 1, v97
	v_or_b32_e32 v106, 2, v97
	;; [unrolled: 1-line block ×3, first 2 shown]
	v_lshl_add_u32 v108, v95, 5, 0x2180
	v_mad_u32_u24 v109, 0x860, v95, v96
	v_add_nc_u32_e32 v110, 16, v97
	v_add_nc_u32_e32 v111, 17, v97
	;; [unrolled: 1-line block ×12, first 2 shown]
	v_add_co_ci_u32_e32 v163, vcc_lo, v17, v3, vcc_lo
	v_add_nc_u32_e32 v164, v104, v5
	s_cmp_eq_u32 s30, s14
	s_cselect_b32 s12, s28, 0
	s_and_saveexec_b32 s1, s2
	s_cbranch_execz .LBB181_106
.LBB181_102:
	v_cmp_le_i32_e32 vcc_lo, s12, v25
	s_cmp_lg_u32 s12, 0
	s_cselect_b32 s5, -1, 0
	s_delay_alu instid0(SALU_CYCLE_1) | instskip(NEXT) | instid1(SALU_CYCLE_1)
	s_and_b32 s5, s5, vcc_lo
	s_and_saveexec_b32 s10, s5
	s_delay_alu instid0(SALU_CYCLE_1)
	s_xor_b32 s5, exec_lo, s10
	s_cbranch_execz .LBB181_104
; %bb.103:
	v_mov_b32_e32 v31, v30
	ds_store_b64 v100, v[30:31]
.LBB181_104:
	s_and_not1_saveexec_b32 s5, s5
	s_cbranch_execz .LBB181_106
; %bb.105:
	s_ashr_i32 s5, s4, 31
	s_delay_alu instid0(SALU_CYCLE_1) | instskip(NEXT) | instid1(SALU_CYCLE_1)
	s_lshl_b64 s[10:11], s[4:5], 3
	v_add_co_u32 v0, vcc_lo, v98, s10
	v_add_co_ci_u32_e32 v1, vcc_lo, s11, v99, vcc_lo
	flat_load_b64 v[0:1], v[0:1]
	s_waitcnt vmcnt(0) lgkmcnt(0)
	ds_store_b64 v100, v[0:1]
.LBB181_106:                            ; =>This Inner Loop Header: Depth=1
	s_or_b32 exec_lo, exec_lo, s1
	s_cmp_eq_u32 s12, 0
	v_add_co_u32 v0, vcc_lo, v128, v122
	s_cselect_b32 s5, -1, 0
	s_cmp_lg_u32 s12, 0
	v_add_co_ci_u32_e32 v1, vcc_lo, v129, v123, vcc_lo
	s_cselect_b32 s1, -1, 0
	s_waitcnt lgkmcnt(0)
	s_and_b32 vcc_lo, exec_lo, s1
	s_barrier
	buffer_gl0_inv
	s_cbranch_vccz .LBB181_114
; %bb.107:                              ;   in Loop: Header=BB181_106 Depth=1
	v_mov_b32_e32 v31, 0
	v_mov_b32_e32 v32, 0
	s_mov_b32 s10, exec_lo
	s_delay_alu instid0(VALU_DEP_1)
	v_dual_mov_b32 v34, v32 :: v_dual_mov_b32 v33, v31
	v_cmpx_gt_i32_e64 s12, v97
	s_cbranch_execz .LBB181_109
; %bb.108:                              ;   in Loop: Header=BB181_106 Depth=1
	flat_load_b64 v[33:34], v[0:1]
.LBB181_109:                            ;   in Loop: Header=BB181_106 Depth=1
	s_or_b32 exec_lo, exec_lo, s10
	s_delay_alu instid0(SALU_CYCLE_1)
	s_mov_b32 s10, exec_lo
	v_cmpx_gt_i32_e64 s12, v105
	s_cbranch_execz .LBB181_111
; %bb.110:                              ;   in Loop: Header=BB181_106 Depth=1
	v_add_co_u32 v2, vcc_lo, v126, v122
	v_add_co_ci_u32_e32 v3, vcc_lo, v127, v123, vcc_lo
	flat_load_b64 v[31:32], v[2:3]
.LBB181_111:                            ;   in Loop: Header=BB181_106 Depth=1
	s_or_b32 exec_lo, exec_lo, s10
	v_mov_b32_e32 v35, 0
	v_mov_b32_e32 v36, 0
	s_mov_b32 s10, exec_lo
	v_cmpx_gt_i32_e64 s12, v106
	s_cbranch_execz .LBB181_113
; %bb.112:                              ;   in Loop: Header=BB181_106 Depth=1
	v_add_co_u32 v2, vcc_lo, v130, v122
	v_add_co_ci_u32_e32 v3, vcc_lo, v131, v123, vcc_lo
	flat_load_b64 v[35:36], v[2:3]
.LBB181_113:                            ;   in Loop: Header=BB181_106 Depth=1
	s_or_b32 exec_lo, exec_lo, s10
	v_cmp_gt_i32_e64 s13, s12, v107
	s_mov_b64 s[10:11], 0
	s_branch .LBB181_116
.LBB181_114:                            ;   in Loop: Header=BB181_106 Depth=1
	s_mov_b32 s13, 0
                                        ; implicit-def: $sgpr10_sgpr11
                                        ; implicit-def: $vgpr35_vgpr36
                                        ; implicit-def: $vgpr31_vgpr32
                                        ; implicit-def: $vgpr33_vgpr34
	s_cbranch_execz .LBB181_116
; %bb.115:                              ;   in Loop: Header=BB181_106 Depth=1
	v_add_co_u32 v2, vcc_lo, v126, v122
	v_add_co_ci_u32_e32 v3, vcc_lo, v127, v123, vcc_lo
	v_add_co_u32 v4, vcc_lo, v124, v122
	v_add_co_ci_u32_e32 v5, vcc_lo, v125, v123, vcc_lo
	s_waitcnt vmcnt(0) lgkmcnt(0)
	flat_load_b64 v[33:34], v[0:1]
	flat_load_b64 v[31:32], v[2:3]
	;; [unrolled: 1-line block ×3, first 2 shown]
	s_or_b32 s13, s13, exec_lo
                                        ; implicit-def: $sgpr10_sgpr11
.LBB181_116:                            ;   in Loop: Header=BB181_106 Depth=1
	v_dual_mov_b32 v38, s11 :: v_dual_mov_b32 v37, s10
	s_delay_alu instid0(VALU_DEP_2)
	s_and_saveexec_b32 s10, s13
	s_cbranch_execz .LBB181_118
; %bb.117:                              ;   in Loop: Header=BB181_106 Depth=1
	v_add_co_u32 v0, vcc_lo, v132, v122
	v_add_co_ci_u32_e32 v1, vcc_lo, v133, v123, vcc_lo
	flat_load_b64 v[37:38], v[0:1]
.LBB181_118:                            ;   in Loop: Header=BB181_106 Depth=1
	s_or_b32 exec_lo, exec_lo, s10
	ds_load_b64 v[0:1], v101
	ds_load_b64 v[39:40], v108
	v_cndmask_b32_e64 v29, 0, 1, s1
	s_waitcnt vmcnt(0) lgkmcnt(1)
	v_mul_f32_e32 v3, v1, v33
	v_mul_f32_e32 v5, v1, v31
	;; [unrolled: 1-line block ×3, first 2 shown]
	v_dual_mul_f32 v4, v1, v32 :: v_dual_mul_f32 v9, v0, v38
	s_delay_alu instid0(VALU_DEP_4) | instskip(SKIP_4) | instid1(VALU_DEP_4)
	v_dual_mul_f32 v6, v1, v36 :: v_dual_fmac_f32 v3, v0, v34
	v_mul_f32_e32 v7, v1, v35
	v_dual_mul_f32 v8, v1, v38 :: v_dual_fmac_f32 v5, v0, v32
	v_fma_f32 v2, v0, v33, -v2
	v_fma_f32 v4, v0, v31, -v4
	v_fmac_f32_e32 v7, v0, v36
	v_fma_f32 v6, v0, v35, -v6
	v_fma_f32 v8, v0, v37, -v8
	v_fmac_f32_e32 v9, v1, v37
	ds_store_b64 v109, v[2:3]
	ds_load_b64 v[45:46], v108 offset:8
	ds_store_b64 v109, v[4:5] offset:536
	ds_load_b64 v[43:44], v108 offset:16
	ds_store_b64 v109, v[6:7] offset:1072
	;; [unrolled: 2-line block ×3, first 2 shown]
	s_waitcnt lgkmcnt(0)
	s_barrier
	buffer_gl0_inv
	ds_load_2addr_b64 v[4:7], v104 offset1:1
	ds_load_2addr_b64 v[0:3], v104 offset0:2 offset1:3
	v_add_co_u32 v8, vcc_lo, v138, v122
	v_add_co_ci_u32_e32 v9, vcc_lo, v139, v123, vcc_lo
	s_and_not1_b32 vcc_lo, exec_lo, s1
	s_waitcnt lgkmcnt(0)
	s_barrier
	buffer_gl0_inv
	s_cbranch_vccnz .LBB181_126
; %bb.119:                              ;   in Loop: Header=BB181_106 Depth=1
	v_mov_b32_e32 v47, 0
	v_mov_b32_e32 v48, 0
	s_mov_b32 s1, exec_lo
	s_delay_alu instid0(VALU_DEP_1)
	v_dual_mov_b32 v50, v48 :: v_dual_mov_b32 v49, v47
	v_cmpx_gt_i32_e64 s12, v110
	s_cbranch_execz .LBB181_121
; %bb.120:                              ;   in Loop: Header=BB181_106 Depth=1
	flat_load_b64 v[49:50], v[8:9]
.LBB181_121:                            ;   in Loop: Header=BB181_106 Depth=1
	s_or_b32 exec_lo, exec_lo, s1
	s_delay_alu instid0(SALU_CYCLE_1)
	s_mov_b32 s1, exec_lo
	v_cmpx_gt_i32_e64 s12, v111
	s_cbranch_execz .LBB181_123
; %bb.122:                              ;   in Loop: Header=BB181_106 Depth=1
	v_add_co_u32 v10, vcc_lo, v136, v122
	v_add_co_ci_u32_e32 v11, vcc_lo, v137, v123, vcc_lo
	flat_load_b64 v[47:48], v[10:11]
.LBB181_123:                            ;   in Loop: Header=BB181_106 Depth=1
	s_or_b32 exec_lo, exec_lo, s1
	v_mov_b32_e32 v51, 0
	v_mov_b32_e32 v52, 0
	s_mov_b32 s1, exec_lo
	v_cmpx_gt_i32_e64 s12, v112
	s_cbranch_execz .LBB181_125
; %bb.124:                              ;   in Loop: Header=BB181_106 Depth=1
	v_add_co_u32 v10, vcc_lo, v140, v122
	v_add_co_ci_u32_e32 v11, vcc_lo, v141, v123, vcc_lo
	flat_load_b64 v[51:52], v[10:11]
.LBB181_125:                            ;   in Loop: Header=BB181_106 Depth=1
	s_or_b32 exec_lo, exec_lo, s1
	v_cmp_gt_i32_e64 s1, s12, v113
	s_mov_b64 s[10:11], 0
	s_branch .LBB181_128
.LBB181_126:                            ;   in Loop: Header=BB181_106 Depth=1
	s_mov_b32 s1, 0
                                        ; implicit-def: $sgpr10_sgpr11
                                        ; implicit-def: $vgpr51_vgpr52
                                        ; implicit-def: $vgpr47_vgpr48
                                        ; implicit-def: $vgpr49_vgpr50
	s_cbranch_execz .LBB181_128
; %bb.127:                              ;   in Loop: Header=BB181_106 Depth=1
	v_add_co_u32 v10, vcc_lo, v136, v122
	v_add_co_ci_u32_e32 v11, vcc_lo, v137, v123, vcc_lo
	v_add_co_u32 v12, vcc_lo, v134, v122
	v_add_co_ci_u32_e32 v13, vcc_lo, v135, v123, vcc_lo
	s_waitcnt vmcnt(0) lgkmcnt(0)
	flat_load_b64 v[49:50], v[8:9]
	flat_load_b64 v[47:48], v[10:11]
	;; [unrolled: 1-line block ×3, first 2 shown]
	s_or_b32 s1, s1, exec_lo
                                        ; implicit-def: $sgpr10_sgpr11
.LBB181_128:                            ;   in Loop: Header=BB181_106 Depth=1
	v_dual_mov_b32 v54, s11 :: v_dual_mov_b32 v53, s10
	s_delay_alu instid0(VALU_DEP_2)
	s_and_saveexec_b32 s10, s1
	s_cbranch_execz .LBB181_130
; %bb.129:                              ;   in Loop: Header=BB181_106 Depth=1
	v_add_co_u32 v8, vcc_lo, v142, v122
	v_add_co_ci_u32_e32 v9, vcc_lo, v143, v123, vcc_lo
	flat_load_b64 v[53:54], v[8:9]
.LBB181_130:                            ;   in Loop: Header=BB181_106 Depth=1
	s_or_b32 exec_lo, exec_lo, s10
	ds_load_b64 v[8:9], v101
	ds_load_b64 v[55:56], v108 offset:128
	v_cmp_ne_u32_e32 vcc_lo, 1, v29
	s_and_b32 vcc_lo, exec_lo, vcc_lo
	s_waitcnt vmcnt(0) lgkmcnt(1)
	v_mul_f32_e32 v11, v9, v49
	v_mul_f32_e32 v13, v9, v47
	v_mul_f32_e32 v10, v9, v50
	v_dual_mul_f32 v12, v9, v48 :: v_dual_mul_f32 v17, v8, v54
	s_delay_alu instid0(VALU_DEP_4) | instskip(SKIP_4) | instid1(VALU_DEP_4)
	v_dual_mul_f32 v14, v9, v52 :: v_dual_fmac_f32 v11, v8, v50
	v_mul_f32_e32 v15, v9, v51
	v_dual_mul_f32 v16, v9, v54 :: v_dual_fmac_f32 v13, v8, v48
	v_fma_f32 v10, v8, v49, -v10
	v_fma_f32 v12, v8, v47, -v12
	v_fmac_f32_e32 v15, v8, v52
	v_fma_f32 v14, v8, v51, -v14
	v_fma_f32 v16, v8, v53, -v16
	v_fmac_f32_e32 v17, v9, v53
	ds_store_b64 v109, v[10:11]
	ds_load_b64 v[61:62], v108 offset:136
	ds_store_b64 v109, v[12:13] offset:536
	ds_load_b64 v[59:60], v108 offset:144
	ds_store_b64 v109, v[14:15] offset:1072
	;; [unrolled: 2-line block ×3, first 2 shown]
	s_waitcnt lgkmcnt(0)
	s_barrier
	buffer_gl0_inv
	ds_load_2addr_b64 v[12:15], v104 offset1:1
	ds_load_2addr_b64 v[8:11], v104 offset0:2 offset1:3
	v_add_co_u32 v16, s1, v148, v122
	s_delay_alu instid0(VALU_DEP_1)
	v_add_co_ci_u32_e64 v17, s1, v149, v123, s1
	s_waitcnt lgkmcnt(0)
	s_barrier
	buffer_gl0_inv
	s_cbranch_vccnz .LBB181_138
; %bb.131:                              ;   in Loop: Header=BB181_106 Depth=1
	v_mov_b32_e32 v63, 0
	v_mov_b32_e32 v64, 0
	s_mov_b32 s1, exec_lo
	s_delay_alu instid0(VALU_DEP_1)
	v_dual_mov_b32 v66, v64 :: v_dual_mov_b32 v65, v63
	v_cmpx_gt_i32_e64 s12, v114
	s_cbranch_execz .LBB181_133
; %bb.132:                              ;   in Loop: Header=BB181_106 Depth=1
	flat_load_b64 v[65:66], v[16:17]
.LBB181_133:                            ;   in Loop: Header=BB181_106 Depth=1
	s_or_b32 exec_lo, exec_lo, s1
	s_delay_alu instid0(SALU_CYCLE_1)
	s_mov_b32 s1, exec_lo
	v_cmpx_gt_i32_e64 s12, v115
	s_cbranch_execz .LBB181_135
; %bb.134:                              ;   in Loop: Header=BB181_106 Depth=1
	v_add_co_u32 v18, vcc_lo, v146, v122
	v_add_co_ci_u32_e32 v19, vcc_lo, v147, v123, vcc_lo
	flat_load_b64 v[63:64], v[18:19]
.LBB181_135:                            ;   in Loop: Header=BB181_106 Depth=1
	s_or_b32 exec_lo, exec_lo, s1
	v_mov_b32_e32 v67, 0
	v_mov_b32_e32 v68, 0
	s_mov_b32 s1, exec_lo
	v_cmpx_gt_i32_e64 s12, v116
	s_cbranch_execz .LBB181_137
; %bb.136:                              ;   in Loop: Header=BB181_106 Depth=1
	v_add_co_u32 v18, vcc_lo, v150, v122
	v_add_co_ci_u32_e32 v19, vcc_lo, v151, v123, vcc_lo
	flat_load_b64 v[67:68], v[18:19]
.LBB181_137:                            ;   in Loop: Header=BB181_106 Depth=1
	s_or_b32 exec_lo, exec_lo, s1
	v_cmp_gt_i32_e64 s1, s12, v117
	s_mov_b64 s[10:11], 0
	s_branch .LBB181_140
.LBB181_138:                            ;   in Loop: Header=BB181_106 Depth=1
	s_mov_b32 s1, 0
                                        ; implicit-def: $sgpr10_sgpr11
                                        ; implicit-def: $vgpr67_vgpr68
                                        ; implicit-def: $vgpr63_vgpr64
                                        ; implicit-def: $vgpr65_vgpr66
	s_cbranch_execz .LBB181_140
; %bb.139:                              ;   in Loop: Header=BB181_106 Depth=1
	v_add_co_u32 v18, vcc_lo, v146, v122
	v_add_co_ci_u32_e32 v19, vcc_lo, v147, v123, vcc_lo
	v_add_co_u32 v20, vcc_lo, v144, v122
	v_add_co_ci_u32_e32 v21, vcc_lo, v145, v123, vcc_lo
	s_waitcnt vmcnt(0) lgkmcnt(0)
	flat_load_b64 v[65:66], v[16:17]
	flat_load_b64 v[63:64], v[18:19]
	;; [unrolled: 1-line block ×3, first 2 shown]
	s_or_b32 s1, s1, exec_lo
                                        ; implicit-def: $sgpr10_sgpr11
.LBB181_140:                            ;   in Loop: Header=BB181_106 Depth=1
	v_dual_mov_b32 v70, s11 :: v_dual_mov_b32 v69, s10
	s_delay_alu instid0(VALU_DEP_2)
	s_and_saveexec_b32 s10, s1
	s_cbranch_execz .LBB181_142
; %bb.141:                              ;   in Loop: Header=BB181_106 Depth=1
	v_add_co_u32 v16, vcc_lo, v152, v122
	v_add_co_ci_u32_e32 v17, vcc_lo, v153, v123, vcc_lo
	flat_load_b64 v[69:70], v[16:17]
.LBB181_142:                            ;   in Loop: Header=BB181_106 Depth=1
	s_or_b32 exec_lo, exec_lo, s10
	ds_load_b64 v[16:17], v101
	ds_load_b64 v[71:72], v108 offset:256
	v_cmp_ne_u32_e32 vcc_lo, 1, v29
	v_add_co_u32 v85, s1, v158, v122
	s_delay_alu instid0(VALU_DEP_1)
	v_add_co_ci_u32_e64 v86, s1, v159, v123, s1
	s_and_b32 vcc_lo, exec_lo, vcc_lo
	s_waitcnt vmcnt(0) lgkmcnt(1)
	v_dual_mul_f32 v19, v17, v65 :: v_dual_mul_f32 v80, v16, v70
	v_mul_f32_e32 v21, v17, v63
	v_mul_f32_e32 v18, v17, v66
	s_delay_alu instid0(VALU_DEP_3)
	v_dual_mul_f32 v20, v17, v64 :: v_dual_fmac_f32 v19, v16, v66
	v_mul_f32_e32 v22, v17, v68
	v_mul_f32_e32 v23, v17, v67
	;; [unrolled: 1-line block ×3, first 2 shown]
	v_fmac_f32_e32 v21, v16, v64
	v_fma_f32 v18, v16, v65, -v18
	v_fma_f32 v20, v16, v63, -v20
	;; [unrolled: 1-line block ×3, first 2 shown]
	v_dual_fmac_f32 v23, v16, v68 :: v_dual_fmac_f32 v80, v17, v69
	v_fma_f32 v79, v16, v69, -v73
	ds_store_b64 v109, v[18:19]
	ds_load_b64 v[77:78], v108 offset:264
	ds_store_b64 v109, v[20:21] offset:536
	ds_load_b64 v[75:76], v108 offset:272
	ds_store_b64 v109, v[22:23] offset:1072
	;; [unrolled: 2-line block ×3, first 2 shown]
	s_waitcnt lgkmcnt(0)
	s_barrier
	buffer_gl0_inv
	ds_load_2addr_b64 v[20:23], v104 offset1:1
	ds_load_2addr_b64 v[16:19], v104 offset0:2 offset1:3
	s_waitcnt lgkmcnt(0)
	s_barrier
	buffer_gl0_inv
	s_cbranch_vccnz .LBB181_150
; %bb.143:                              ;   in Loop: Header=BB181_106 Depth=1
	v_mov_b32_e32 v79, 0
	v_mov_b32_e32 v80, 0
	s_mov_b32 s1, exec_lo
	s_delay_alu instid0(VALU_DEP_1)
	v_dual_mov_b32 v82, v80 :: v_dual_mov_b32 v81, v79
	v_cmpx_gt_i32_e64 s12, v118
	s_cbranch_execz .LBB181_145
; %bb.144:                              ;   in Loop: Header=BB181_106 Depth=1
	flat_load_b64 v[81:82], v[85:86]
.LBB181_145:                            ;   in Loop: Header=BB181_106 Depth=1
	s_or_b32 exec_lo, exec_lo, s1
	s_delay_alu instid0(SALU_CYCLE_1)
	s_mov_b32 s1, exec_lo
	v_cmpx_gt_i32_e64 s12, v119
	s_cbranch_execz .LBB181_147
; %bb.146:                              ;   in Loop: Header=BB181_106 Depth=1
	v_add_co_u32 v79, vcc_lo, v156, v122
	v_add_co_ci_u32_e32 v80, vcc_lo, v157, v123, vcc_lo
	flat_load_b64 v[79:80], v[79:80]
.LBB181_147:                            ;   in Loop: Header=BB181_106 Depth=1
	s_or_b32 exec_lo, exec_lo, s1
	v_mov_b32_e32 v83, 0
	v_mov_b32_e32 v84, 0
	s_mov_b32 s1, exec_lo
	v_cmpx_gt_i32_e64 s12, v120
	s_cbranch_execz .LBB181_149
; %bb.148:                              ;   in Loop: Header=BB181_106 Depth=1
	v_add_co_u32 v83, vcc_lo, v160, v122
	v_add_co_ci_u32_e32 v84, vcc_lo, v161, v123, vcc_lo
	flat_load_b64 v[83:84], v[83:84]
.LBB181_149:                            ;   in Loop: Header=BB181_106 Depth=1
	s_or_b32 exec_lo, exec_lo, s1
	v_cmp_gt_i32_e64 s1, s12, v121
	s_mov_b64 s[10:11], 0
	s_branch .LBB181_152
.LBB181_150:                            ;   in Loop: Header=BB181_106 Depth=1
	s_mov_b32 s1, 0
                                        ; implicit-def: $sgpr10_sgpr11
                                        ; implicit-def: $vgpr83_vgpr84
                                        ; implicit-def: $vgpr79_vgpr80
                                        ; implicit-def: $vgpr81_vgpr82
	s_cbranch_execz .LBB181_152
; %bb.151:                              ;   in Loop: Header=BB181_106 Depth=1
	s_waitcnt vmcnt(0) lgkmcnt(0)
	v_add_co_u32 v79, vcc_lo, v156, v122
	v_add_co_ci_u32_e32 v80, vcc_lo, v157, v123, vcc_lo
	v_add_co_u32 v83, vcc_lo, v154, v122
	v_add_co_ci_u32_e32 v84, vcc_lo, v155, v123, vcc_lo
	flat_load_b64 v[81:82], v[85:86]
	flat_load_b64 v[79:80], v[79:80]
	;; [unrolled: 1-line block ×3, first 2 shown]
	s_or_b32 s1, s1, exec_lo
                                        ; implicit-def: $sgpr10_sgpr11
.LBB181_152:                            ;   in Loop: Header=BB181_106 Depth=1
	v_dual_mov_b32 v86, s11 :: v_dual_mov_b32 v85, s10
	s_delay_alu instid0(VALU_DEP_2)
	s_and_saveexec_b32 s10, s1
	s_cbranch_execz .LBB181_154
; %bb.153:                              ;   in Loop: Header=BB181_106 Depth=1
	v_add_co_u32 v85, vcc_lo, v162, v122
	v_add_co_ci_u32_e32 v86, vcc_lo, v163, v123, vcc_lo
	flat_load_b64 v[85:86], v[85:86]
.LBB181_154:                            ;   in Loop: Header=BB181_106 Depth=1
	s_or_b32 exec_lo, exec_lo, s10
	ds_load_b64 v[89:90], v101
	ds_load_b64 v[87:88], v108 offset:384
	v_add_f32_e32 v4, 0, v4
	v_cmp_gt_i32_e32 vcc_lo, s12, v25
	v_add_f32_e32 v13, 0, v13
	v_dual_add_f32 v5, 0, v5 :: v_dual_add_f32 v20, 0, v20
	v_dual_add_f32 v21, 0, v21 :: v_dual_add_f32 v12, 0, v12
	s_or_b32 s1, s5, vcc_lo
	s_delay_alu instid0(VALU_DEP_2) | instskip(SKIP_1) | instid1(VALU_DEP_3)
	v_add_f32_e32 v5, v5, v7
	v_dual_add_f32 v13, v13, v15 :: v_dual_add_f32 v4, v4, v6
	v_add_f32_e32 v12, v12, v14
	s_and_b32 s5, s0, s1
	s_delay_alu instid0(VALU_DEP_3) | instskip(NEXT) | instid1(VALU_DEP_3)
	v_add_f32_e32 v15, v5, v1
	v_add_f32_e32 v9, v13, v9
	;; [unrolled: 1-line block ×3, first 2 shown]
	s_waitcnt vmcnt(0) lgkmcnt(1)
	v_mul_f32_e32 v94, v90, v84
	v_mul_f32_e32 v168, v90, v83
	;; [unrolled: 1-line block ×5, first 2 shown]
	v_dual_mul_f32 v93, v90, v80 :: v_dual_mul_f32 v170, v89, v86
	v_dual_mul_f32 v169, v90, v86 :: v_dual_fmac_f32 v168, v89, v84
	s_delay_alu instid0(VALU_DEP_4) | instskip(NEXT) | instid1(VALU_DEP_4)
	v_fmac_f32_e32 v166, v89, v80
	v_fma_f32 v91, v89, v81, -v29
	v_add_f32_e32 v29, v20, v22
	v_fmac_f32_e32 v92, v89, v82
	v_fma_f32 v165, v89, v79, -v93
	v_fma_f32 v167, v89, v83, -v94
	;; [unrolled: 1-line block ×3, first 2 shown]
	v_fmac_f32_e32 v170, v90, v85
	ds_store_b64 v109, v[91:92]
	ds_load_b64 v[93:94], v108 offset:392
	ds_store_b64 v109, v[165:166] offset:536
	ds_load_b64 v[91:92], v108 offset:400
	ds_store_b64 v109, v[167:168] offset:1072
	;; [unrolled: 2-line block ×3, first 2 shown]
	v_add_f32_e32 v169, v21, v23
	s_waitcnt lgkmcnt(0)
	s_barrier
	buffer_gl0_inv
	ds_load_2addr_b64 v[165:168], v104 offset1:1
	ds_load_2addr_b64 v[20:23], v104 offset0:2 offset1:3
	v_dual_add_f32 v7, v169, v17 :: v_dual_add_f32 v8, v12, v8
	v_add_f32_e32 v2, v13, v2
	s_waitcnt lgkmcnt(0)
	s_barrier
	s_delay_alu instid0(VALU_DEP_2) | instskip(SKIP_3) | instid1(VALU_DEP_2)
	v_dual_add_f32 v1, v7, v19 :: v_dual_add_f32 v4, v8, v10
	buffer_gl0_inv
	v_dual_add_f32 v3, v15, v3 :: v_dual_add_f32 v12, 0, v165
	v_add_f32_e32 v14, 0, v166
	v_dual_add_f32 v6, v29, v16 :: v_dual_add_f32 v5, v12, v167
	s_delay_alu instid0(VALU_DEP_2) | instskip(NEXT) | instid1(VALU_DEP_1)
	v_add_f32_e32 v12, v14, v168
	v_dual_add_f32 v7, v12, v21 :: v_dual_add_f32 v0, v6, v18
	s_delay_alu instid0(VALU_DEP_3) | instskip(SKIP_1) | instid1(VALU_DEP_2)
	v_add_f32_e32 v6, v5, v20
	v_add_f32_e32 v5, v9, v11
	v_dual_add_f32 v7, v7, v23 :: v_dual_add_f32 v6, v6, v22
	ds_store_2addr_b64 v164, v[2:3], v[4:5] offset1:16
	ds_store_2addr_b64 v164, v[0:1], v[6:7] offset0:32 offset1:48
	s_waitcnt lgkmcnt(0)
	s_barrier
	buffer_gl0_inv
	s_and_saveexec_b32 s1, s5
	s_cbranch_execz .LBB181_156
; %bb.155:                              ;   in Loop: Header=BB181_106 Depth=1
	ds_load_b64 v[11:12], v102
	ds_load_2addr_b64 v[0:3], v102 offset0:1 offset1:2
	ds_load_2addr_b64 v[4:7], v102 offset0:3 offset1:4
	v_ashrrev_i32_e32 v29, 31, v28
	s_waitcnt lgkmcnt(1)
	v_dual_add_f32 v0, v0, v11 :: v_dual_add_f32 v1, v1, v12
	ds_load_2addr_b64 v[8:11], v102 offset0:5 offset1:6
	v_add_f32_e32 v0, v0, v2
	v_add_f32_e32 v12, v1, v3
	s_waitcnt lgkmcnt(1)
	s_delay_alu instid0(VALU_DEP_2) | instskip(SKIP_3) | instid1(VALU_DEP_2)
	v_add_f32_e32 v4, v0, v4
	ds_load_2addr_b64 v[0:3], v102 offset0:7 offset1:8
	v_add_f32_e32 v5, v12, v5
	v_add_f32_e32 v4, v4, v6
	;; [unrolled: 1-line block ×3, first 2 shown]
	s_waitcnt lgkmcnt(1)
	s_delay_alu instid0(VALU_DEP_2) | instskip(SKIP_3) | instid1(VALU_DEP_2)
	v_add_f32_e32 v8, v4, v8
	ds_load_2addr_b64 v[4:7], v102 offset0:9 offset1:10
	v_add_f32_e32 v9, v12, v9
	v_add_f32_e32 v8, v8, v10
	;; [unrolled: 1-line block ×3, first 2 shown]
	s_waitcnt lgkmcnt(1)
	s_delay_alu instid0(VALU_DEP_2) | instskip(SKIP_4) | instid1(VALU_DEP_1)
	v_add_f32_e32 v0, v8, v0
	ds_load_2addr_b64 v[8:11], v102 offset0:11 offset1:12
	v_add_f32_e32 v1, v12, v1
	v_add_f32_e32 v12, v0, v2
	s_waitcnt lgkmcnt(1)
	v_add_f32_e32 v4, v12, v4
	s_delay_alu instid0(VALU_DEP_1) | instskip(SKIP_1) | instid1(VALU_DEP_1)
	v_add_f32_e32 v6, v4, v6
	s_waitcnt lgkmcnt(0)
	v_add_f32_e32 v6, v6, v8
	s_delay_alu instid0(VALU_DEP_1) | instskip(SKIP_2) | instid1(VALU_DEP_1)
	v_dual_add_f32 v6, v6, v10 :: v_dual_add_f32 v13, v1, v3
	ds_load_2addr_b64 v[0:3], v102 offset0:13 offset1:14
	v_add_f32_e32 v5, v13, v5
	v_add_f32_e32 v7, v5, v7
	ds_load_b64 v[4:5], v103
	v_add_f32_e32 v7, v7, v9
	s_waitcnt lgkmcnt(1)
	s_delay_alu instid0(VALU_DEP_1) | instskip(NEXT) | instid1(VALU_DEP_1)
	v_dual_add_f32 v7, v7, v11 :: v_dual_add_f32 v0, v6, v0
	v_dual_add_f32 v1, v7, v1 :: v_dual_add_f32 v2, v0, v2
	s_delay_alu instid0(VALU_DEP_1) | instskip(SKIP_2) | instid1(VALU_DEP_2)
	v_add_f32_e32 v3, v1, v3
	v_lshlrev_b64 v[0:1], 3, v[28:29]
	s_waitcnt lgkmcnt(0)
	v_dual_add_f32 v2, v2, v4 :: v_dual_add_f32 v3, v3, v5
	s_delay_alu instid0(VALU_DEP_2) | instskip(NEXT) | instid1(VALU_DEP_3)
	v_add_co_u32 v0, vcc_lo, s3, v0
	v_add_co_ci_u32_e32 v1, vcc_lo, s9, v1, vcc_lo
	global_store_b64 v[0:1], v[2:3], off
.LBB181_156:                            ;   in Loop: Header=BB181_106 Depth=1
	s_or_b32 exec_lo, exec_lo, s1
	v_dual_mul_f32 v0, v40, v34 :: v_dual_mul_f32 v3, v46, v31
	v_dual_mul_f32 v1, v40, v33 :: v_dual_mul_f32 v2, v46, v32
	;; [unrolled: 1-line block ×3, first 2 shown]
	s_delay_alu instid0(VALU_DEP_3) | instskip(NEXT) | instid1(VALU_DEP_3)
	v_fma_f32 v0, v39, v33, -v0
	v_fmac_f32_e32 v1, v39, v34
	s_delay_alu instid0(VALU_DEP_4) | instskip(SKIP_1) | instid1(VALU_DEP_4)
	v_fma_f32 v2, v45, v31, -v2
	v_dual_mul_f32 v5, v44, v35 :: v_dual_mul_f32 v6, v42, v38
	v_dual_add_f32 v0, v26, v0 :: v_dual_mul_f32 v9, v56, v49
	v_dual_mul_f32 v8, v56, v50 :: v_dual_fmac_f32 v3, v45, v32
	v_fma_f32 v4, v43, v35, -v4
	s_delay_alu instid0(VALU_DEP_3) | instskip(SKIP_3) | instid1(VALU_DEP_4)
	v_add_f32_e32 v0, v0, v2
	v_dual_mul_f32 v2, v62, v48 :: v_dual_add_f32 v1, v27, v1
	v_fma_f32 v6, v41, v37, -v6
	v_fmac_f32_e32 v5, v43, v36
	v_add_f32_e32 v0, v0, v4
	v_mul_f32_e32 v4, v62, v47
	v_add_f32_e32 v1, v1, v3
	v_fma_f32 v3, v55, v49, -v8
	v_fmac_f32_e32 v7, v41, v38
	v_add_f32_e32 v0, v0, v6
	s_delay_alu instid0(VALU_DEP_4) | instskip(SKIP_1) | instid1(VALU_DEP_3)
	v_dual_mul_f32 v6, v60, v52 :: v_dual_add_f32 v1, v1, v5
	v_fma_f32 v2, v61, v47, -v2
	v_dual_fmac_f32 v9, v55, v50 :: v_dual_add_f32 v0, v0, v3
	v_mul_f32_e32 v3, v58, v54
	s_delay_alu instid0(VALU_DEP_4) | instskip(SKIP_3) | instid1(VALU_DEP_4)
	v_add_f32_e32 v1, v1, v7
	v_fma_f32 v5, v59, v51, -v6
	v_fmac_f32_e32 v4, v61, v48
	v_add_f32_e32 v0, v0, v2
	v_dual_mul_f32 v2, v60, v51 :: v_dual_add_f32 v1, v1, v9
	v_fma_f32 v3, v57, v53, -v3
	v_add_co_u32 v124, vcc_lo, v124, s6
	s_delay_alu instid0(VALU_DEP_3) | instskip(SKIP_4) | instid1(VALU_DEP_4)
	v_fmac_f32_e32 v2, v59, v52
	v_add_f32_e32 v0, v0, v5
	v_mul_f32_e32 v5, v72, v66
	v_dual_add_f32 v1, v1, v4 :: v_dual_mul_f32 v4, v58, v53
	v_add_co_ci_u32_e32 v125, vcc_lo, s7, v125, vcc_lo
	v_add_f32_e32 v0, v0, v3
	s_delay_alu instid0(VALU_DEP_4)
	v_fma_f32 v3, v71, v65, -v5
	v_mul_f32_e32 v5, v78, v64
	v_add_f32_e32 v1, v1, v2
	v_fmac_f32_e32 v4, v57, v54
	v_add_co_u32 v126, vcc_lo, v126, s6
	v_add_f32_e32 v0, v0, v3
	v_fma_f32 v3, v77, v63, -v5
	v_mul_f32_e32 v5, v76, v68
	v_dual_mul_f32 v2, v72, v65 :: v_dual_add_f32 v1, v1, v4
	v_mul_f32_e32 v4, v78, v63
	s_delay_alu instid0(VALU_DEP_4) | instskip(NEXT) | instid1(VALU_DEP_4)
	v_add_f32_e32 v0, v0, v3
	v_fma_f32 v3, v75, v67, -v5
	v_mul_f32_e32 v5, v74, v70
	v_add_co_ci_u32_e32 v127, vcc_lo, s7, v127, vcc_lo
	v_fmac_f32_e32 v4, v77, v64
	v_fmac_f32_e32 v2, v71, v66
	v_add_co_u32 v128, vcc_lo, v128, s6
	v_add_co_ci_u32_e32 v129, vcc_lo, s7, v129, vcc_lo
	s_delay_alu instid0(VALU_DEP_3) | instskip(SKIP_2) | instid1(VALU_DEP_3)
	v_dual_add_f32 v1, v1, v2 :: v_dual_mul_f32 v2, v76, v67
	v_add_co_u32 v130, vcc_lo, v130, s6
	v_add_co_ci_u32_e32 v131, vcc_lo, s7, v131, vcc_lo
	v_dual_add_f32 v1, v1, v4 :: v_dual_add_f32 v0, v0, v3
	v_fma_f32 v3, v73, v69, -v5
	v_add_co_u32 v132, vcc_lo, v132, s6
	v_mul_f32_e32 v5, v74, v69
	v_add_co_ci_u32_e32 v133, vcc_lo, s7, v133, vcc_lo
	s_delay_alu instid0(VALU_DEP_4) | instskip(NEXT) | instid1(VALU_DEP_3)
	v_dual_add_f32 v0, v0, v3 :: v_dual_mul_f32 v3, v94, v80
	v_dual_fmac_f32 v2, v75, v68 :: v_dual_fmac_f32 v5, v73, v70
	v_add_co_u32 v134, vcc_lo, v134, s6
	v_add_co_ci_u32_e32 v135, vcc_lo, s7, v135, vcc_lo
	v_add_co_u32 v136, vcc_lo, v136, s6
	s_delay_alu instid0(VALU_DEP_4) | instskip(SKIP_3) | instid1(VALU_DEP_4)
	v_add_f32_e32 v1, v1, v2
	v_mul_f32_e32 v4, v88, v82
	v_add_co_ci_u32_e32 v137, vcc_lo, s7, v137, vcc_lo
	v_add_co_u32 v138, vcc_lo, v138, s6
	v_add_f32_e32 v1, v1, v5
	v_add_co_ci_u32_e32 v139, vcc_lo, s7, v139, vcc_lo
	v_fma_f32 v2, v87, v81, -v4
	v_mul_f32_e32 v4, v88, v81
	v_add_co_u32 v140, vcc_lo, v140, s6
	v_add_co_ci_u32_e32 v141, vcc_lo, s7, v141, vcc_lo
	v_add_co_u32 v142, vcc_lo, v142, s6
	s_delay_alu instid0(VALU_DEP_4) | instskip(SKIP_3) | instid1(VALU_DEP_4)
	v_dual_fmac_f32 v4, v87, v82 :: v_dual_mul_f32 v5, v92, v84
	v_add_f32_e32 v0, v0, v2
	v_fma_f32 v2, v93, v79, -v3
	v_mul_f32_e32 v3, v94, v79
	v_add_f32_e32 v1, v1, v4
	v_add_co_ci_u32_e32 v143, vcc_lo, s7, v143, vcc_lo
	v_add_co_u32 v144, vcc_lo, v144, s6
	v_add_co_ci_u32_e32 v145, vcc_lo, s7, v145, vcc_lo
	v_add_co_u32 v146, vcc_lo, v146, s6
	v_fmac_f32_e32 v3, v93, v80
	v_add_co_ci_u32_e32 v147, vcc_lo, s7, v147, vcc_lo
	v_add_co_u32 v148, vcc_lo, v148, s6
	v_add_co_ci_u32_e32 v149, vcc_lo, s7, v149, vcc_lo
	s_delay_alu instid0(VALU_DEP_4) | instskip(SKIP_4) | instid1(VALU_DEP_4)
	v_dual_add_f32 v0, v0, v2 :: v_dual_add_f32 v1, v1, v3
	v_mul_f32_e32 v6, v90, v85
	v_add_co_u32 v150, vcc_lo, v150, s6
	v_add_co_ci_u32_e32 v151, vcc_lo, s7, v151, vcc_lo
	v_add_co_u32 v152, vcc_lo, v152, s6
	v_fmac_f32_e32 v6, v89, v86
	v_mul_f32_e32 v2, v92, v83
	v_add_co_ci_u32_e32 v153, vcc_lo, s7, v153, vcc_lo
	v_add_co_u32 v154, vcc_lo, v154, s6
	v_add_co_ci_u32_e32 v155, vcc_lo, s7, v155, vcc_lo
	v_add_co_u32 v156, vcc_lo, v156, s6
	v_fma_f32 v4, v91, v83, -v5
	v_dual_mul_f32 v5, v90, v86 :: v_dual_fmac_f32 v2, v91, v84
	v_add_co_ci_u32_e32 v157, vcc_lo, s7, v157, vcc_lo
	v_add_co_u32 v158, vcc_lo, v158, s6
	v_add_co_ci_u32_e32 v159, vcc_lo, s7, v159, vcc_lo
	v_add_f32_e32 v0, v0, v4
	v_fma_f32 v3, v89, v85, -v5
	v_add_f32_e32 v1, v1, v2
	v_add_co_u32 v160, vcc_lo, v160, s6
	v_add_co_ci_u32_e32 v161, vcc_lo, s7, v161, vcc_lo
	s_delay_alu instid0(VALU_DEP_3)
	v_add_f32_e32 v27, v1, v6
	v_add_co_u32 v162, vcc_lo, v162, s6
	v_add_f32_e32 v26, v0, v3
	v_add_nc_u32_e32 v28, 64, v28
	v_add_co_ci_u32_e32 v163, vcc_lo, s7, v163, vcc_lo
	s_add_i32 s5, s14, 2
	s_add_i32 s1, s14, 1
	;; [unrolled: 1-line block ×3, first 2 shown]
	s_cmp_ge_u32 s5, s15
	s_waitcnt_vscnt null, 0x0
	s_barrier
	buffer_gl0_inv
	s_cbranch_scc1 .LBB181_158
; %bb.157:                              ;   in Loop: Header=BB181_106 Depth=1
	s_mov_b32 s14, s1
	s_delay_alu instid0(SALU_CYCLE_1)
	s_cmp_eq_u32 s30, s14
	s_cselect_b32 s12, s28, 0
	s_and_saveexec_b32 s1, s2
	s_cbranch_execnz .LBB181_102
	s_branch .LBB181_106
.LBB181_158:
	v_cmp_gt_i32_e32 vcc_lo, s8, v25
	v_mad_u32_u24 v0, 0x218, v95, v96
	s_or_b32 s0, s29, vcc_lo
	ds_store_b64 v0, v[26:27]
	s_and_b32 s0, s2, s0
	s_waitcnt lgkmcnt(0)
	s_barrier
	buffer_gl0_inv
	s_and_saveexec_b32 s1, s0
	s_cbranch_execz .LBB181_160
; %bb.159:
	ds_load_2addr_b64 v[0:3], v96 offset1:67
	ds_load_2addr_b64 v[4:7], v96 offset0:134 offset1:201
	v_ashrrev_i32_e32 v25, 31, v24
	s_waitcnt lgkmcnt(1)
	v_dual_add_f32 v0, v2, v0 :: v_dual_add_f32 v1, v3, v1
	s_waitcnt lgkmcnt(0)
	s_delay_alu instid0(VALU_DEP_1) | instskip(SKIP_1) | instid1(VALU_DEP_2)
	v_dual_add_f32 v2, v0, v4 :: v_dual_add_f32 v3, v1, v5
	v_lshlrev_b64 v[0:1], 3, v[24:25]
	v_dual_add_f32 v2, v2, v6 :: v_dual_add_f32 v3, v3, v7
	s_delay_alu instid0(VALU_DEP_2) | instskip(NEXT) | instid1(VALU_DEP_3)
	v_add_co_u32 v0, vcc_lo, s3, v0
	v_add_co_ci_u32_e32 v1, vcc_lo, s9, v1, vcc_lo
	global_store_b64 v[0:1], v[2:3], off
.LBB181_160:
	s_nop 0
	s_sendmsg sendmsg(MSG_DEALLOC_VGPRS)
	s_endpgm
	.section	.rodata,"a",@progbits
	.p2align	6, 0x0
	.amdhsa_kernel _ZL26rocblas_hemvn_kernel_upperILb0ELi64ELi4ELi33ELi32ELi16EiPK19rocblas_complex_numIfEPKS3_PS1_EviT6_lT7_lT5_lS8_lS9_lS7_lT8_i
		.amdhsa_group_segment_fixed_size 9600
		.amdhsa_private_segment_fixed_size 0
		.amdhsa_kernarg_size 376
		.amdhsa_user_sgpr_count 14
		.amdhsa_user_sgpr_dispatch_ptr 0
		.amdhsa_user_sgpr_queue_ptr 0
		.amdhsa_user_sgpr_kernarg_segment_ptr 1
		.amdhsa_user_sgpr_dispatch_id 0
		.amdhsa_user_sgpr_private_segment_size 0
		.amdhsa_wavefront_size32 1
		.amdhsa_uses_dynamic_stack 0
		.amdhsa_enable_private_segment 0
		.amdhsa_system_sgpr_workgroup_id_x 1
		.amdhsa_system_sgpr_workgroup_id_y 0
		.amdhsa_system_sgpr_workgroup_id_z 1
		.amdhsa_system_sgpr_workgroup_info 0
		.amdhsa_system_vgpr_workitem_id 1
		.amdhsa_next_free_vgpr 171
		.amdhsa_next_free_sgpr 38
		.amdhsa_reserve_vcc 1
		.amdhsa_float_round_mode_32 0
		.amdhsa_float_round_mode_16_64 0
		.amdhsa_float_denorm_mode_32 3
		.amdhsa_float_denorm_mode_16_64 3
		.amdhsa_dx10_clamp 1
		.amdhsa_ieee_mode 1
		.amdhsa_fp16_overflow 0
		.amdhsa_workgroup_processor_mode 1
		.amdhsa_memory_ordered 1
		.amdhsa_forward_progress 0
		.amdhsa_shared_vgpr_count 0
		.amdhsa_exception_fp_ieee_invalid_op 0
		.amdhsa_exception_fp_denorm_src 0
		.amdhsa_exception_fp_ieee_div_zero 0
		.amdhsa_exception_fp_ieee_overflow 0
		.amdhsa_exception_fp_ieee_underflow 0
		.amdhsa_exception_fp_ieee_inexact 0
		.amdhsa_exception_int_div_zero 0
	.end_amdhsa_kernel
	.section	.text._ZL26rocblas_hemvn_kernel_upperILb0ELi64ELi4ELi33ELi32ELi16EiPK19rocblas_complex_numIfEPKS3_PS1_EviT6_lT7_lT5_lS8_lS9_lS7_lT8_i,"axG",@progbits,_ZL26rocblas_hemvn_kernel_upperILb0ELi64ELi4ELi33ELi32ELi16EiPK19rocblas_complex_numIfEPKS3_PS1_EviT6_lT7_lT5_lS8_lS9_lS7_lT8_i,comdat
.Lfunc_end181:
	.size	_ZL26rocblas_hemvn_kernel_upperILb0ELi64ELi4ELi33ELi32ELi16EiPK19rocblas_complex_numIfEPKS3_PS1_EviT6_lT7_lT5_lS8_lS9_lS7_lT8_i, .Lfunc_end181-_ZL26rocblas_hemvn_kernel_upperILb0ELi64ELi4ELi33ELi32ELi16EiPK19rocblas_complex_numIfEPKS3_PS1_EviT6_lT7_lT5_lS8_lS9_lS7_lT8_i
                                        ; -- End function
	.section	.AMDGPU.csdata,"",@progbits
; Kernel info:
; codeLenInByte = 10004
; NumSgprs: 40
; NumVgprs: 171
; ScratchSize: 0
; MemoryBound: 1
; FloatMode: 240
; IeeeMode: 1
; LDSByteSize: 9600 bytes/workgroup (compile time only)
; SGPRBlocks: 4
; VGPRBlocks: 21
; NumSGPRsForWavesPerEU: 40
; NumVGPRsForWavesPerEU: 171
; Occupancy: 8
; WaveLimiterHint : 1
; COMPUTE_PGM_RSRC2:SCRATCH_EN: 0
; COMPUTE_PGM_RSRC2:USER_SGPR: 14
; COMPUTE_PGM_RSRC2:TRAP_HANDLER: 0
; COMPUTE_PGM_RSRC2:TGID_X_EN: 1
; COMPUTE_PGM_RSRC2:TGID_Y_EN: 0
; COMPUTE_PGM_RSRC2:TGID_Z_EN: 1
; COMPUTE_PGM_RSRC2:TIDIG_COMP_CNT: 1
	.section	.text._ZL26rocblas_hemvn_kernel_upperILb0ELi64ELi4ELi33ELi32ELi16El19rocblas_complex_numIfEPKPKS1_PS1_EviT6_lT7_lT5_lS8_lS9_lS7_lT8_i,"axG",@progbits,_ZL26rocblas_hemvn_kernel_upperILb0ELi64ELi4ELi33ELi32ELi16El19rocblas_complex_numIfEPKPKS1_PS1_EviT6_lT7_lT5_lS8_lS9_lS7_lT8_i,comdat
	.globl	_ZL26rocblas_hemvn_kernel_upperILb0ELi64ELi4ELi33ELi32ELi16El19rocblas_complex_numIfEPKPKS1_PS1_EviT6_lT7_lT5_lS8_lS9_lS7_lT8_i ; -- Begin function _ZL26rocblas_hemvn_kernel_upperILb0ELi64ELi4ELi33ELi32ELi16El19rocblas_complex_numIfEPKPKS1_PS1_EviT6_lT7_lT5_lS8_lS9_lS7_lT8_i
	.p2align	8
	.type	_ZL26rocblas_hemvn_kernel_upperILb0ELi64ELi4ELi33ELi32ELi16El19rocblas_complex_numIfEPKPKS1_PS1_EviT6_lT7_lT5_lS8_lS9_lS7_lT8_i,@function
_ZL26rocblas_hemvn_kernel_upperILb0ELi64ELi4ELi33ELi32ELi16El19rocblas_complex_numIfEPKPKS1_PS1_EviT6_lT7_lT5_lS8_lS9_lS7_lT8_i: ; @_ZL26rocblas_hemvn_kernel_upperILb0ELi64ELi4ELi33ELi32ELi16El19rocblas_complex_numIfEPKPKS1_PS1_EviT6_lT7_lT5_lS8_lS9_lS7_lT8_i
; %bb.0:
	s_load_b64 s[4:5], s[0:1], 0x84
	s_add_u32 s2, s0, 0x78
	s_addc_u32 s3, s1, 0
	s_waitcnt lgkmcnt(0)
	s_lshr_b32 s6, s4, 16
	s_and_b32 s4, s4, 0xffff
	s_and_b32 s5, s5, 0xffff
	s_mul_i32 s4, s6, s4
	s_delay_alu instid0(SALU_CYCLE_1) | instskip(NEXT) | instid1(SALU_CYCLE_1)
	s_mul_i32 s4, s4, s5
	s_cmpk_lg_i32 s4, 0x100
	s_cbranch_scc1 .LBB182_160
; %bb.1:
	s_clause 0x2
	s_load_b64 s[8:9], s[0:1], 0x4
	s_load_b128 s[4:7], s[0:1], 0x18
	s_load_b64 s[16:17], s[0:1], 0x28
	s_mov_b32 s20, s15
	s_mov_b32 s10, 0
	s_waitcnt lgkmcnt(0)
	s_or_b32 s8, s8, s9
	s_delay_alu instid0(SALU_CYCLE_1) | instskip(NEXT) | instid1(SALU_CYCLE_1)
	s_bitset0_b32 s8, 31
	s_cmp_lg_u32 s8, 0
	s_cselect_b32 s12, -1, 0
	s_delay_alu instid0(SALU_CYCLE_1)
	s_and_b32 vcc_lo, exec_lo, s12
	s_cbranch_vccnz .LBB182_4
; %bb.2:
	s_load_b64 s[8:9], s[0:1], 0x58
	s_mov_b32 s11, 0
	s_waitcnt lgkmcnt(0)
	v_cmp_eq_f32_e64 s8, s8, 1.0
	v_cmp_eq_f32_e64 s9, s9, 0
	s_delay_alu instid0(VALU_DEP_1) | instskip(NEXT) | instid1(SALU_CYCLE_1)
	s_and_b32 s8, s8, s9
	s_and_not1_b32 vcc_lo, exec_lo, s8
                                        ; implicit-def: $sgpr8_sgpr9
	s_cbranch_vccz .LBB182_5
; %bb.3:
	s_mov_b32 s10, -1
	s_mov_b64 s[8:9], 0
	s_branch .LBB182_5
.LBB182_4:
	s_mov_b32 s11, -1
                                        ; implicit-def: $sgpr8_sgpr9
.LBB182_5:
	s_delay_alu instid0(SALU_CYCLE_1)
	s_and_b32 vcc_lo, exec_lo, s11
	s_cbranch_vccz .LBB182_7
; %bb.6:
	s_mov_b32 s21, 0
	s_mov_b32 s10, -1
	s_lshl_b64 s[8:9], s[20:21], 3
	s_delay_alu instid0(SALU_CYCLE_1)
	s_add_u32 s4, s4, s8
	s_addc_u32 s5, s5, s9
	s_lshl_b64 s[6:7], s[6:7], 3
	s_load_b64 s[4:5], s[4:5], 0x0
	s_waitcnt lgkmcnt(0)
	s_add_u32 s8, s4, s6
	s_addc_u32 s9, s5, s7
.LBB182_7:
	s_and_not1_b32 vcc_lo, exec_lo, s10
	s_cbranch_vccnz .LBB182_160
; %bb.8:
	s_clause 0x1
	s_load_b128 s[4:7], s[0:1], 0x38
	s_load_b64 s[10:11], s[0:1], 0x48
	v_cndmask_b32_e64 v1, 0, 1, s12
	s_and_not1_b32 vcc_lo, exec_lo, s12
	s_mov_b64 s[12:13], 0
	s_cbranch_vccnz .LBB182_10
; %bb.9:
	s_mov_b32 s21, 0
	s_delay_alu instid0(SALU_CYCLE_1)
	s_lshl_b64 s[12:13], s[20:21], 3
	s_waitcnt lgkmcnt(0)
	s_add_u32 s4, s4, s12
	s_addc_u32 s5, s5, s13
	s_lshl_b64 s[6:7], s[6:7], 3
	s_load_b64 s[4:5], s[4:5], 0x0
	s_waitcnt lgkmcnt(0)
	s_add_u32 s12, s4, s6
	s_addc_u32 s13, s5, s7
.LBB182_10:
	s_delay_alu instid0(VALU_DEP_1)
	v_cmp_ne_u32_e32 vcc_lo, 1, v1
	s_cbranch_vccnz .LBB182_160
; %bb.11:
	v_and_b32_e32 v93, 0x3ff, v0
	s_lshl_b32 s18, s14, 6
	s_load_b32 s24, s[0:1], 0x0
	s_load_b32 s15, s[2:3], 0x0
	v_bfe_u32 v94, v0, 10, 10
	v_add_nc_u32_e32 v24, s18, v93
	s_waitcnt lgkmcnt(0)
	s_mov_b32 s5, -1
	s_delay_alu instid0(VALU_DEP_1) | instskip(SKIP_2) | instid1(VALU_DEP_3)
	v_ashrrev_i32_e32 v25, 31, v24
	v_mul_lo_u32 v3, v24, s11
	v_mad_u64_u32 v[1:2], null, v24, s10, 0
	v_mul_lo_u32 v4, v25, s10
	s_ashr_i32 s25, s24, 31
	s_delay_alu instid0(VALU_DEP_1) | instskip(SKIP_3) | instid1(SALU_CYCLE_1)
	v_add3_u32 v2, v2, v3, v4
	s_lshr_b32 s2, s25, 26
	s_add_i32 s3, s15, -1
	s_add_i32 s2, s24, s2
	s_and_not1_b32 s2, s2, 63
	v_lshlrev_b64 v[1:2], 3, v[1:2]
	s_sub_i32 s21, s24, s2
	v_cmp_eq_u32_e64 s2, 0, v94
	s_cmp_eq_u32 s14, s3
	s_delay_alu instid0(VALU_DEP_2) | instskip(NEXT) | instid1(VALU_DEP_3)
	v_add_co_u32 v14, vcc_lo, s12, v1
	v_add_co_ci_u32_e32 v15, vcc_lo, s13, v2, vcc_lo
	s_cselect_b32 s12, s21, 0
	s_and_saveexec_b32 s3, s2
	s_cbranch_execz .LBB182_16
; %bb.12:
	v_cmp_le_i32_e32 vcc_lo, s12, v93
	s_cmp_lg_u32 s12, 0
	v_lshl_add_u32 v0, v93, 3, 0x2380
	s_cselect_b32 s4, -1, 0
	s_delay_alu instid0(SALU_CYCLE_1) | instskip(NEXT) | instid1(SALU_CYCLE_1)
	s_and_b32 s4, s4, vcc_lo
	s_and_saveexec_b32 s6, s4
	s_delay_alu instid0(SALU_CYCLE_1)
	s_xor_b32 s4, exec_lo, s6
	s_cbranch_execz .LBB182_14
; %bb.13:
	v_mov_b32_e32 v1, 0
	s_delay_alu instid0(VALU_DEP_1)
	v_mov_b32_e32 v2, v1
	ds_store_b64 v0, v[1:2]
                                        ; implicit-def: $vgpr0
.LBB182_14:
	s_and_not1_saveexec_b32 s4, s4
	s_cbranch_execz .LBB182_16
; %bb.15:
	flat_load_b64 v[1:2], v[14:15]
	s_waitcnt vmcnt(0) lgkmcnt(0)
	ds_store_b64 v0, v[1:2]
.LBB182_16:
	s_or_b32 exec_lo, exec_lo, s3
	v_lshl_add_u32 v22, v94, 6, v93
	v_dual_mov_b32 v1, 0 :: v_dual_and_b32 v0, 31, v93
	s_ashr_i32 s19, s18, 31
	s_mul_i32 s3, s18, s17
	s_delay_alu instid0(VALU_DEP_2)
	v_lshrrev_b32_e32 v7, 5, v22
	s_lshl_b64 s[6:7], s[18:19], 3
	s_mul_hi_u32 s4, s18, s16
	s_add_u32 s8, s8, s6
	s_mul_i32 s13, s19, s16
	v_mad_u64_u32 v[2:3], null, v7, s16, v[0:1]
	s_addc_u32 s9, s9, s7
	s_add_i32 s3, s4, s3
	s_mul_i32 s6, s18, s16
	s_add_i32 s7, s3, s13
	v_cmp_gt_i32_e64 s3, s12, v0
	s_lshl_b64 s[6:7], s[6:7], 3
	s_delay_alu instid0(VALU_DEP_2)
	v_mov_b32_e32 v1, v3
	s_add_u32 s4, s6, s8
	s_addc_u32 s6, s7, s9
	s_cmp_eq_u32 s12, 0
	v_lshlrev_b32_e32 v9, 3, v0
	v_mad_u64_u32 v[3:4], null, v7, s17, v[1:2]
	s_cselect_b32 s9, -1, 0
	s_cmp_lg_u32 s12, 0
	v_mul_u32_u24_e32 v8, 33, v7
	s_cselect_b32 s26, -1, 0
	s_delay_alu instid0(SALU_CYCLE_1) | instskip(NEXT) | instid1(VALU_DEP_2)
	s_and_b32 vcc_lo, exec_lo, s26
	v_lshlrev_b64 v[12:13], 3, v[2:3]
	s_delay_alu instid0(VALU_DEP_1) | instskip(NEXT) | instid1(VALU_DEP_1)
	v_add_co_u32 v3, s4, s4, v12
	v_add_co_ci_u32_e64 v4, s4, s6, v13, s4
	s_cbranch_vccz .LBB182_34
; %bb.17:
	s_delay_alu instid0(VALU_DEP_2) | instskip(SKIP_1) | instid1(VALU_DEP_2)
	v_sub_co_u32 v1, vcc_lo, v3, v9
	s_ashr_i32 s13, s12, 31
	v_subrev_co_ci_u32_e32 v2, vcc_lo, 0, v4, vcc_lo
	s_lshl_b64 s[4:5], s[12:13], 3
	v_add_lshl_u32 v5, v8, v0, 3
	v_add_co_u32 v1, vcc_lo, v1, s4
	s_delay_alu instid0(VALU_DEP_3) | instskip(SKIP_1) | instid1(VALU_DEP_2)
	v_add_co_ci_u32_e32 v2, vcc_lo, s5, v2, vcc_lo
	s_mov_b32 s6, exec_lo
	v_add_co_u32 v1, vcc_lo, v1, -8
	s_delay_alu instid0(VALU_DEP_2) | instskip(NEXT) | instid1(VALU_DEP_2)
	v_add_co_ci_u32_e32 v2, vcc_lo, -1, v2, vcc_lo
	v_cndmask_b32_e64 v1, v1, v3, s3
	s_delay_alu instid0(VALU_DEP_2)
	v_cndmask_b32_e64 v2, v2, v4, s3
	v_cmpx_le_i32_e64 s12, v7
	s_xor_b32 s6, exec_lo, s6
	s_cbranch_execz .LBB182_19
; %bb.18:
	v_mov_b32_e32 v10, 0
	s_delay_alu instid0(VALU_DEP_1)
	v_mov_b32_e32 v11, v10
	ds_store_b64 v5, v[10:11]
.LBB182_19:
	s_and_not1_saveexec_b32 s6, s6
	s_cbranch_execz .LBB182_21
; %bb.20:
	flat_load_b64 v[10:11], v[1:2]
	s_waitcnt vmcnt(0) lgkmcnt(0)
	ds_store_b64 v5, v[10:11]
.LBB182_21:
	s_or_b32 exec_lo, exec_lo, s6
	v_add_nc_u32_e32 v6, 8, v7
	s_mov_b32 s6, exec_lo
	s_delay_alu instid0(VALU_DEP_1)
	v_cmpx_le_i32_e64 s12, v6
	s_xor_b32 s6, exec_lo, s6
	s_cbranch_execz .LBB182_23
; %bb.22:
	v_mul_u32_u24_e32 v6, 33, v6
	v_mov_b32_e32 v10, 0
	s_delay_alu instid0(VALU_DEP_2) | instskip(NEXT) | instid1(VALU_DEP_2)
	v_add_lshl_u32 v6, v6, v0, 3
	v_mov_b32_e32 v11, v10
	ds_store_b64 v6, v[10:11]
.LBB182_23:
	s_and_not1_saveexec_b32 s6, s6
	s_cbranch_execz .LBB182_25
; %bb.24:
	s_lshl_b64 s[22:23], s[16:17], 6
	s_delay_alu instid0(SALU_CYCLE_1)
	v_add_co_u32 v10, vcc_lo, v1, s22
	v_add_co_ci_u32_e32 v11, vcc_lo, s23, v2, vcc_lo
	flat_load_b64 v[10:11], v[10:11]
	s_waitcnt vmcnt(0) lgkmcnt(0)
	ds_store_b64 v5, v[10:11] offset:2112
.LBB182_25:
	s_or_b32 exec_lo, exec_lo, s6
	v_add_nc_u32_e32 v6, 16, v7
	s_mov_b32 s6, exec_lo
	s_delay_alu instid0(VALU_DEP_1)
	v_cmpx_le_i32_e64 s12, v6
	s_xor_b32 s6, exec_lo, s6
	s_cbranch_execz .LBB182_27
; %bb.26:
	v_mov_b32_e32 v10, 0
	s_delay_alu instid0(VALU_DEP_1)
	v_mov_b32_e32 v11, v10
	ds_store_b64 v5, v[10:11] offset:4224
.LBB182_27:
	s_and_not1_saveexec_b32 s6, s6
	s_cbranch_execz .LBB182_29
; %bb.28:
	s_lshl_b64 s[22:23], s[16:17], 7
	s_delay_alu instid0(SALU_CYCLE_1)
	v_add_co_u32 v10, vcc_lo, v1, s22
	v_add_co_ci_u32_e32 v11, vcc_lo, s23, v2, vcc_lo
	flat_load_b64 v[10:11], v[10:11]
	s_waitcnt vmcnt(0) lgkmcnt(0)
	ds_store_b64 v5, v[10:11] offset:4224
.LBB182_29:
	s_or_b32 exec_lo, exec_lo, s6
	v_add_nc_u32_e32 v6, 24, v7
	s_mov_b32 s6, exec_lo
	s_delay_alu instid0(VALU_DEP_1)
	v_cmpx_le_i32_e64 s12, v6
	s_xor_b32 s6, exec_lo, s6
	s_cbranch_execz .LBB182_31
; %bb.30:
	v_mov_b32_e32 v10, 0
	s_delay_alu instid0(VALU_DEP_1)
	v_mov_b32_e32 v11, v10
	ds_store_b64 v5, v[10:11] offset:6336
                                        ; implicit-def: $vgpr5
.LBB182_31:
	s_and_not1_saveexec_b32 s6, s6
	s_cbranch_execz .LBB182_33
; %bb.32:
	v_mad_u64_u32 v[10:11], null, 0xc0, s16, v[1:2]
	s_delay_alu instid0(VALU_DEP_1) | instskip(NEXT) | instid1(VALU_DEP_1)
	v_mov_b32_e32 v6, v11
	v_mad_u64_u32 v[16:17], null, 0xc0, s17, v[6:7]
	s_delay_alu instid0(VALU_DEP_1)
	v_mov_b32_e32 v11, v16
	flat_load_b64 v[10:11], v[10:11]
	s_waitcnt vmcnt(0) lgkmcnt(0)
	ds_store_b64 v5, v[10:11] offset:6336
.LBB182_33:
	s_or_b32 exec_lo, exec_lo, s6
	v_add_co_u32 v1, vcc_lo, v1, v9
	v_add_co_ci_u32_e32 v2, vcc_lo, 0, v2, vcc_lo
	s_delay_alu instid0(VALU_DEP_2) | instskip(NEXT) | instid1(VALU_DEP_2)
	v_sub_co_u32 v1, vcc_lo, v1, s4
	v_subrev_co_ci_u32_e32 v2, vcc_lo, s5, v2, vcc_lo
	s_delay_alu instid0(VALU_DEP_2) | instskip(NEXT) | instid1(VALU_DEP_2)
	v_add_co_u32 v1, vcc_lo, v1, 8
	v_add_co_ci_u32_e32 v2, vcc_lo, 0, v2, vcc_lo
	s_delay_alu instid0(VALU_DEP_2) | instskip(NEXT) | instid1(VALU_DEP_2)
	v_cndmask_b32_e64 v1, v1, v3, s3
	v_cndmask_b32_e64 v2, v2, v4, s3
	s_branch .LBB182_36
.LBB182_34:
                                        ; implicit-def: $vgpr1_vgpr2
	s_and_b32 vcc_lo, exec_lo, s5
	s_cbranch_vccz .LBB182_36
; %bb.35:
	flat_load_b64 v[1:2], v[3:4]
	s_lshl_b64 s[4:5], s[16:17], 6
	v_add_lshl_u32 v16, v8, v0, 3
	v_add_co_u32 v5, vcc_lo, v3, s4
	v_add_co_ci_u32_e32 v6, vcc_lo, s5, v4, vcc_lo
	s_waitcnt vmcnt(0) lgkmcnt(0)
	ds_store_b64 v16, v[1:2]
	flat_load_b64 v[1:2], v[5:6]
	v_add_co_u32 v5, vcc_lo, v5, s4
	v_add_co_ci_u32_e32 v6, vcc_lo, s5, v6, vcc_lo
	s_waitcnt vmcnt(0) lgkmcnt(0)
	ds_store_b64 v16, v[1:2] offset:2112
	flat_load_b64 v[1:2], v[5:6]
	v_mad_u64_u32 v[5:6], null, 0xc0, s16, v[3:4]
	s_delay_alu instid0(VALU_DEP_1) | instskip(NEXT) | instid1(VALU_DEP_1)
	v_mad_u64_u32 v[10:11], null, 0xc0, s17, v[6:7]
	v_mov_b32_e32 v6, v10
	s_waitcnt vmcnt(0) lgkmcnt(0)
	ds_store_b64 v16, v[1:2] offset:4224
	v_mov_b32_e32 v1, v3
	flat_load_b64 v[5:6], v[5:6]
	v_mov_b32_e32 v2, v4
	s_waitcnt vmcnt(0) lgkmcnt(0)
	ds_store_b64 v16, v[5:6] offset:6336
.LBB182_36:
	v_lshlrev_b32_e32 v3, 2, v7
	v_mul_u32_u24_e32 v10, 33, v0
	v_mul_u32_u24_e32 v4, 0x84, v7
	s_waitcnt lgkmcnt(0)
	s_barrier
	v_cmp_gt_u32_e64 s4, v3, v0
	v_add_lshl_u32 v16, v3, v10, 3
	buffer_gl0_inv
	s_and_saveexec_b32 s3, s4
	s_cbranch_execz .LBB182_38
; %bb.37:
	v_add_lshl_u32 v5, v4, v0, 3
	ds_load_b64 v[5:6], v5
	s_waitcnt lgkmcnt(0)
	ds_store_b64 v16, v[5:6]
.LBB182_38:
	s_or_b32 exec_lo, exec_lo, s3
	v_cmp_ge_u32_e64 s5, v3, v0
	s_delay_alu instid0(VALU_DEP_1)
	s_and_saveexec_b32 s3, s5
	s_cbranch_execz .LBB182_40
; %bb.39:
	v_or_b32_e32 v5, 1, v3
	s_delay_alu instid0(VALU_DEP_1) | instskip(NEXT) | instid1(VALU_DEP_1)
	v_mul_u32_u24_e32 v5, 33, v5
	v_add_lshl_u32 v5, v5, v0, 3
	ds_load_b64 v[5:6], v5
	s_waitcnt lgkmcnt(0)
	ds_store_b64 v16, v[5:6] offset:8
.LBB182_40:
	s_or_b32 exec_lo, exec_lo, s3
	v_or_b32_e32 v5, 2, v3
	s_delay_alu instid0(VALU_DEP_1) | instskip(NEXT) | instid1(VALU_DEP_1)
	v_cmp_gt_u32_e64 s6, v5, v0
	s_and_saveexec_b32 s3, s6
	s_cbranch_execz .LBB182_42
; %bb.41:
	v_mul_u32_u24_e32 v5, 33, v5
	s_delay_alu instid0(VALU_DEP_1)
	v_add_lshl_u32 v5, v5, v0, 3
	ds_load_b64 v[5:6], v5
	s_waitcnt lgkmcnt(0)
	ds_store_b64 v16, v[5:6] offset:16
.LBB182_42:
	s_or_b32 exec_lo, exec_lo, s3
	v_or_b32_e32 v5, 3, v3
	s_delay_alu instid0(VALU_DEP_1) | instskip(SKIP_1) | instid1(VALU_DEP_2)
	v_mad_u32_u24 v6, v5, 33, v0
	v_cmp_gt_u32_e64 s7, v5, v0
	v_lshlrev_b32_e32 v18, 3, v6
	s_delay_alu instid0(VALU_DEP_2)
	s_and_saveexec_b32 s3, s7
	s_cbranch_execz .LBB182_44
; %bb.43:
	ds_load_b64 v[5:6], v18
	s_waitcnt lgkmcnt(0)
	ds_store_b64 v16, v[5:6] offset:24
.LBB182_44:
	s_or_b32 exec_lo, exec_lo, s3
	v_add_lshl_u32 v11, v4, v0, 3
	v_lshlrev_b32_e32 v17, 3, v3
	v_add_nc_u32_e32 v19, 0xfffffdf0, v18
	s_waitcnt lgkmcnt(0)
	s_barrier
	buffer_gl0_inv
	ds_load_b64 v[20:21], v11
	ds_load_b128 v[3:6], v17 offset:9088
	ds_load_2addr_b64 v[26:29], v19 offset1:33
	ds_load_b128 v[30:33], v17 offset:9104
	ds_load_b64 v[34:35], v18
	v_cmp_gt_u32_e64 s3, 32, v22
	s_waitcnt lgkmcnt(0)
	s_barrier
	buffer_gl0_inv
	v_mul_f32_e32 v23, v4, v21
	v_dual_mul_f32 v21, v3, v21 :: v_dual_mul_f32 v36, v6, v27
	v_mul_f32_e32 v27, v5, v27
	s_delay_alu instid0(VALU_DEP_2) | instskip(NEXT) | instid1(VALU_DEP_4)
	v_dual_fmac_f32 v21, v4, v20 :: v_dual_mul_f32 v4, v33, v35
	v_fma_f32 v3, v3, v20, -v23
	v_dual_mul_f32 v20, v32, v35 :: v_dual_mul_f32 v37, v31, v29
	v_fma_f32 v5, v5, v26, -v36
	v_fmac_f32_e32 v27, v6, v26
	s_delay_alu instid0(VALU_DEP_3) | instskip(SKIP_3) | instid1(VALU_DEP_4)
	v_dual_add_f32 v3, 0, v3 :: v_dual_fmac_f32 v20, v33, v34
	v_mul_f32_e32 v29, v30, v29
	v_add_f32_e32 v6, 0, v21
	v_fma_f32 v21, v30, v28, -v37
	v_add_f32_e32 v3, v3, v5
	v_fma_f32 v4, v32, v34, -v4
	v_fmac_f32_e32 v29, v31, v28
	v_add_f32_e32 v5, v6, v27
	v_add_lshl_u32 v28, v7, v10, 3
	v_dual_add_f32 v3, v3, v21 :: v_dual_mov_b32 v26, 0
	v_lshlrev_b32_e32 v23, 3, v10
	s_delay_alu instid0(VALU_DEP_4) | instskip(SKIP_1) | instid1(VALU_DEP_4)
	v_add_f32_e32 v5, v5, v29
	v_mov_b32_e32 v27, 0
	v_add_f32_e32 v3, v3, v4
	s_delay_alu instid0(VALU_DEP_3)
	v_add_f32_e32 v4, v5, v20
	ds_store_b64 v28, v[3:4]
	s_waitcnt lgkmcnt(0)
	s_barrier
	buffer_gl0_inv
	s_and_saveexec_b32 s8, s3
	s_cbranch_execz .LBB182_46
; %bb.45:
	ds_load_2addr_b64 v[3:6], v23 offset1:7
	ds_load_2addr_b64 v[29:32], v23 offset0:1 offset1:2
	ds_load_2addr_b64 v[33:36], v23 offset0:3 offset1:4
	;; [unrolled: 1-line block ×3, first 2 shown]
	s_waitcnt lgkmcnt(2)
	v_dual_add_f32 v3, v29, v3 :: v_dual_add_f32 v4, v30, v4
	s_delay_alu instid0(VALU_DEP_1) | instskip(SKIP_1) | instid1(VALU_DEP_1)
	v_dual_add_f32 v3, v3, v31 :: v_dual_add_f32 v4, v4, v32
	s_waitcnt lgkmcnt(1)
	v_dual_add_f32 v3, v3, v33 :: v_dual_add_f32 v4, v4, v34
	s_delay_alu instid0(VALU_DEP_1) | instskip(SKIP_1) | instid1(VALU_DEP_1)
	v_dual_add_f32 v3, v3, v35 :: v_dual_add_f32 v4, v4, v36
	s_waitcnt lgkmcnt(0)
	v_dual_add_f32 v3, v3, v37 :: v_dual_add_f32 v4, v4, v38
	s_delay_alu instid0(VALU_DEP_1) | instskip(NEXT) | instid1(VALU_DEP_1)
	v_dual_add_f32 v3, v3, v39 :: v_dual_add_f32 v4, v4, v40
	v_dual_add_f32 v26, v3, v5 :: v_dual_add_f32 v27, v4, v6
.LBB182_46:
	s_or_b32 exec_lo, exec_lo, s8
	s_lshl_b64 s[22:23], s[16:17], 8
	s_delay_alu instid0(SALU_CYCLE_1) | instskip(SKIP_2) | instid1(VALU_DEP_2)
	v_add_co_u32 v3, vcc_lo, v1, s22
	v_add_co_ci_u32_e32 v4, vcc_lo, s23, v2, vcc_lo
	s_barrier
	v_add_co_u32 v1, vcc_lo, 0x100, v3
	s_delay_alu instid0(VALU_DEP_2)
	v_add_co_ci_u32_e32 v2, vcc_lo, 0, v4, vcc_lo
	s_and_b32 vcc_lo, exec_lo, s26
	buffer_gl0_inv
	s_cbranch_vccz .LBB182_64
; %bb.47:
	v_or_b32_e32 v5, 32, v0
	s_ashr_i32 s13, s12, 31
	s_delay_alu instid0(SALU_CYCLE_1) | instskip(SKIP_1) | instid1(VALU_DEP_1)
	s_lshl_b64 s[22:23], s[12:13], 3
	s_sub_i32 s13, s12, 32
	v_lshlrev_b32_e32 v6, 3, v5
	v_cmp_le_i32_e64 s8, s13, v7
	s_delay_alu instid0(VALU_DEP_2) | instskip(SKIP_1) | instid1(VALU_DEP_2)
	v_sub_co_u32 v6, vcc_lo, v1, v6
	v_subrev_co_ci_u32_e32 v20, vcc_lo, 0, v2, vcc_lo
	v_add_co_u32 v6, vcc_lo, v6, s22
	s_delay_alu instid0(VALU_DEP_2) | instskip(NEXT) | instid1(VALU_DEP_2)
	v_add_co_ci_u32_e32 v20, vcc_lo, s23, v20, vcc_lo
	v_add_co_u32 v21, vcc_lo, v6, -8
	s_delay_alu instid0(VALU_DEP_2) | instskip(SKIP_2) | instid1(VALU_DEP_3)
	v_add_co_ci_u32_e32 v6, vcc_lo, -1, v20, vcc_lo
	v_cmp_gt_i32_e32 vcc_lo, s12, v5
	v_add_lshl_u32 v20, v8, v0, 3
	v_dual_cndmask_b32 v6, v6, v2 :: v_dual_cndmask_b32 v5, v21, v1
	s_and_saveexec_b32 s27, s8
	s_delay_alu instid0(SALU_CYCLE_1)
	s_xor_b32 s8, exec_lo, s27
	s_cbranch_execz .LBB182_49
; %bb.48:
	v_mov_b32_e32 v29, 0
	s_delay_alu instid0(VALU_DEP_1)
	v_mov_b32_e32 v30, v29
	ds_store_b64 v20, v[29:30]
.LBB182_49:
	s_and_not1_saveexec_b32 s8, s8
	s_cbranch_execz .LBB182_51
; %bb.50:
	flat_load_b64 v[29:30], v[5:6]
	s_waitcnt vmcnt(0) lgkmcnt(0)
	ds_store_b64 v20, v[29:30]
.LBB182_51:
	s_or_b32 exec_lo, exec_lo, s8
	v_add_nc_u32_e32 v21, 8, v7
	s_delay_alu instid0(VALU_DEP_1) | instskip(NEXT) | instid1(VALU_DEP_1)
	v_cmp_le_i32_e64 s8, s13, v21
	s_and_saveexec_b32 s27, s8
	s_delay_alu instid0(SALU_CYCLE_1)
	s_xor_b32 s8, exec_lo, s27
	s_cbranch_execz .LBB182_53
; %bb.52:
	v_mul_u32_u24_e32 v21, 33, v21
	v_mov_b32_e32 v29, 0
	s_delay_alu instid0(VALU_DEP_2) | instskip(NEXT) | instid1(VALU_DEP_2)
	v_add_lshl_u32 v21, v21, v0, 3
	v_mov_b32_e32 v30, v29
	ds_store_b64 v21, v[29:30]
.LBB182_53:
	s_and_not1_saveexec_b32 s27, s8
	s_cbranch_execz .LBB182_55
; %bb.54:
	s_lshl_b64 s[28:29], s[16:17], 6
	s_delay_alu instid0(SALU_CYCLE_1) | instskip(NEXT) | instid1(VALU_DEP_1)
	v_add_co_u32 v29, s8, v5, s28
	v_add_co_ci_u32_e64 v30, s8, s29, v6, s8
	flat_load_b64 v[29:30], v[29:30]
	s_waitcnt vmcnt(0) lgkmcnt(0)
	ds_store_b64 v20, v[29:30] offset:2112
.LBB182_55:
	s_or_b32 exec_lo, exec_lo, s27
	v_add_nc_u32_e32 v21, 16, v7
	s_delay_alu instid0(VALU_DEP_1) | instskip(NEXT) | instid1(VALU_DEP_1)
	v_cmp_le_i32_e64 s8, s13, v21
	s_and_saveexec_b32 s27, s8
	s_delay_alu instid0(SALU_CYCLE_1)
	s_xor_b32 s8, exec_lo, s27
	s_cbranch_execz .LBB182_57
; %bb.56:
	v_mov_b32_e32 v29, 0
	s_delay_alu instid0(VALU_DEP_1)
	v_mov_b32_e32 v30, v29
	ds_store_b64 v20, v[29:30] offset:4224
.LBB182_57:
	s_and_not1_saveexec_b32 s27, s8
	s_cbranch_execz .LBB182_59
; %bb.58:
	s_lshl_b64 s[28:29], s[16:17], 7
	s_delay_alu instid0(SALU_CYCLE_1) | instskip(NEXT) | instid1(VALU_DEP_1)
	v_add_co_u32 v29, s8, v5, s28
	v_add_co_ci_u32_e64 v30, s8, s29, v6, s8
	flat_load_b64 v[29:30], v[29:30]
	s_waitcnt vmcnt(0) lgkmcnt(0)
	ds_store_b64 v20, v[29:30] offset:4224
.LBB182_59:
	s_or_b32 exec_lo, exec_lo, s27
	v_add_nc_u32_e32 v21, 24, v7
	s_delay_alu instid0(VALU_DEP_1) | instskip(NEXT) | instid1(VALU_DEP_1)
	v_cmp_le_i32_e64 s8, s13, v21
	s_and_saveexec_b32 s13, s8
	s_delay_alu instid0(SALU_CYCLE_1)
	s_xor_b32 s8, exec_lo, s13
	s_cbranch_execz .LBB182_61
; %bb.60:
	v_mov_b32_e32 v29, 0
	s_delay_alu instid0(VALU_DEP_1)
	v_mov_b32_e32 v30, v29
	ds_store_b64 v20, v[29:30] offset:6336
                                        ; implicit-def: $vgpr20
.LBB182_61:
	s_and_not1_saveexec_b32 s8, s8
	s_cbranch_execz .LBB182_63
; %bb.62:
	v_mad_u64_u32 v[29:30], null, 0xc0, s16, v[5:6]
	s_delay_alu instid0(VALU_DEP_1) | instskip(NEXT) | instid1(VALU_DEP_1)
	v_mov_b32_e32 v21, v30
	v_mad_u64_u32 v[30:31], null, 0xc0, s17, v[21:22]
	flat_load_b64 v[29:30], v[29:30]
	s_waitcnt vmcnt(0) lgkmcnt(0)
	ds_store_b64 v20, v[29:30] offset:6336
.LBB182_63:
	s_or_b32 exec_lo, exec_lo, s8
	v_add_co_u32 v5, s8, v5, v9
	s_delay_alu instid0(VALU_DEP_1) | instskip(NEXT) | instid1(VALU_DEP_2)
	v_add_co_ci_u32_e64 v6, s8, 0, v6, s8
	v_sub_co_u32 v5, s8, v5, s22
	s_delay_alu instid0(VALU_DEP_1) | instskip(NEXT) | instid1(VALU_DEP_2)
	v_subrev_co_ci_u32_e64 v6, s8, s23, v6, s8
	v_add_co_u32 v5, s8, 0x108, v5
	s_delay_alu instid0(VALU_DEP_1) | instskip(NEXT) | instid1(VALU_DEP_1)
	v_add_co_ci_u32_e64 v6, s8, 0, v6, s8
	v_dual_cndmask_b32 v5, v5, v1 :: v_dual_cndmask_b32 v6, v6, v2
	s_branch .LBB182_66
.LBB182_64:
                                        ; implicit-def: $vgpr5_vgpr6
	s_cbranch_execz .LBB182_66
; %bb.65:
	flat_load_b64 v[5:6], v[3:4] offset:256
	s_lshl_b64 s[22:23], s[16:17], 6
	v_add_lshl_u32 v31, v8, v0, 3
	v_add_co_u32 v20, vcc_lo, v3, s22
	v_add_co_ci_u32_e32 v21, vcc_lo, s23, v4, vcc_lo
	s_waitcnt vmcnt(0) lgkmcnt(0)
	ds_store_b64 v31, v[5:6]
	flat_load_b64 v[5:6], v[20:21] offset:256
	v_add_co_u32 v20, vcc_lo, v20, s22
	v_add_co_ci_u32_e32 v21, vcc_lo, s23, v21, vcc_lo
	s_waitcnt vmcnt(0) lgkmcnt(0)
	ds_store_b64 v31, v[5:6] offset:2112
	flat_load_b64 v[5:6], v[20:21] offset:256
	v_mad_u64_u32 v[20:21], null, 0xc0, s16, v[3:4]
	s_delay_alu instid0(VALU_DEP_1)
	v_mov_b32_e32 v3, v21
	s_waitcnt vmcnt(0) lgkmcnt(0)
	ds_store_b64 v31, v[5:6] offset:4224
	v_mov_b32_e32 v6, v2
	v_mad_u64_u32 v[29:30], null, 0xc0, s17, v[3:4]
	v_mov_b32_e32 v5, v1
	s_delay_alu instid0(VALU_DEP_2)
	v_mov_b32_e32 v21, v29
	flat_load_b64 v[3:4], v[20:21] offset:256
	s_waitcnt vmcnt(0) lgkmcnt(0)
	ds_store_b64 v31, v[3:4] offset:6336
.LBB182_66:
	s_waitcnt lgkmcnt(0)
	s_barrier
	buffer_gl0_inv
	s_and_saveexec_b32 s8, s4
	s_cbranch_execnz .LBB182_91
; %bb.67:
	s_or_b32 exec_lo, exec_lo, s8
	s_and_saveexec_b32 s4, s5
	s_cbranch_execnz .LBB182_92
.LBB182_68:
	s_or_b32 exec_lo, exec_lo, s4
	s_and_saveexec_b32 s4, s6
	s_cbranch_execnz .LBB182_93
.LBB182_69:
	s_or_b32 exec_lo, exec_lo, s4
	v_add_nc_u32_e32 v29, 0x2380, v17
	s_and_saveexec_b32 s4, s7
	s_cbranch_execz .LBB182_71
.LBB182_70:
	ds_load_b64 v[1:2], v18
	s_waitcnt lgkmcnt(0)
	ds_store_b64 v16, v[1:2] offset:24
.LBB182_71:
	s_or_b32 exec_lo, exec_lo, s4
	s_waitcnt lgkmcnt(0)
	s_barrier
	buffer_gl0_inv
	ds_load_b64 v[16:17], v11
	ds_load_b128 v[1:4], v29 offset:256
	ds_load_2addr_b64 v[30:33], v19 offset1:33
	ds_load_b128 v[34:37], v29 offset:272
	ds_load_b64 v[20:21], v18
	v_cmp_eq_u32_e64 s4, 1, v7
	s_waitcnt lgkmcnt(0)
	s_barrier
	buffer_gl0_inv
	v_dual_mul_f32 v38, v2, v17 :: v_dual_mul_f32 v39, v4, v31
	v_mul_f32_e32 v17, v1, v17
	v_mul_f32_e32 v31, v3, v31
	;; [unrolled: 1-line block ×3, first 2 shown]
	s_delay_alu instid0(VALU_DEP_4) | instskip(SKIP_3) | instid1(VALU_DEP_4)
	v_fma_f32 v1, v1, v16, -v38
	v_fma_f32 v3, v3, v30, -v39
	v_dual_fmac_f32 v17, v2, v16 :: v_dual_mul_f32 v2, v37, v21
	v_fmac_f32_e32 v31, v4, v30
	v_add_f32_e32 v1, 0, v1
	v_mul_f32_e32 v16, v36, v21
	v_mul_f32_e32 v33, v34, v33
	v_add_f32_e32 v4, 0, v17
	v_fma_f32 v17, v34, v32, -v40
	v_add_f32_e32 v1, v1, v3
	v_fmac_f32_e32 v16, v37, v20
	v_fmac_f32_e32 v33, v35, v32
	v_add_f32_e32 v3, v4, v31
	v_fma_f32 v2, v36, v20, -v2
	v_add_f32_e32 v1, v1, v17
	s_delay_alu instid0(VALU_DEP_3) | instskip(NEXT) | instid1(VALU_DEP_1)
	v_add_f32_e32 v3, v3, v33
	v_dual_add_f32 v1, v1, v2 :: v_dual_add_f32 v2, v3, v16
	ds_store_b64 v28, v[1:2]
	s_waitcnt lgkmcnt(0)
	s_barrier
	buffer_gl0_inv
	s_and_saveexec_b32 s5, s4
	s_cbranch_execz .LBB182_73
; %bb.72:
	ds_load_2addr_b64 v[1:4], v23 offset1:7
	ds_load_2addr_b64 v[30:33], v23 offset0:1 offset1:2
	ds_load_2addr_b64 v[34:37], v23 offset0:3 offset1:4
	;; [unrolled: 1-line block ×3, first 2 shown]
	s_waitcnt lgkmcnt(2)
	v_dual_add_f32 v1, v30, v1 :: v_dual_add_f32 v2, v31, v2
	s_delay_alu instid0(VALU_DEP_1) | instskip(SKIP_1) | instid1(VALU_DEP_1)
	v_dual_add_f32 v1, v1, v32 :: v_dual_add_f32 v2, v2, v33
	s_waitcnt lgkmcnt(1)
	v_dual_add_f32 v1, v1, v34 :: v_dual_add_f32 v2, v2, v35
	s_delay_alu instid0(VALU_DEP_1) | instskip(SKIP_1) | instid1(VALU_DEP_1)
	v_dual_add_f32 v1, v1, v36 :: v_dual_add_f32 v2, v2, v37
	s_waitcnt lgkmcnt(0)
	v_dual_add_f32 v1, v1, v38 :: v_dual_add_f32 v2, v2, v39
	s_delay_alu instid0(VALU_DEP_1) | instskip(NEXT) | instid1(VALU_DEP_1)
	v_dual_add_f32 v1, v1, v40 :: v_dual_add_f32 v2, v2, v41
	v_dual_add_f32 v26, v1, v3 :: v_dual_add_f32 v27, v2, v4
.LBB182_73:
	s_or_b32 exec_lo, exec_lo, s5
	v_add_co_u32 v1, vcc_lo, 0xffffff00, v5
	v_add_co_ci_u32_e32 v2, vcc_lo, -1, v6, vcc_lo
	s_and_b32 vcc_lo, exec_lo, s26
	s_barrier
	buffer_gl0_inv
	s_cbranch_vccz .LBB182_94
; %bb.74:
	v_sub_co_u32 v3, vcc_lo, v1, v9
	s_ashr_i32 s13, s12, 31
	v_subrev_co_ci_u32_e32 v4, vcc_lo, 0, v2, vcc_lo
	s_lshl_b64 s[6:7], s[12:13], 3
	s_sub_i32 s8, s12, 32
	v_add_co_u32 v3, vcc_lo, v3, s6
	s_delay_alu instid0(VALU_DEP_2) | instskip(SKIP_1) | instid1(VALU_DEP_3)
	v_add_co_ci_u32_e32 v4, vcc_lo, s7, v4, vcc_lo
	v_cmp_le_i32_e64 s5, s8, v7
	v_add_co_u32 v3, vcc_lo, v3, -8
	s_delay_alu instid0(VALU_DEP_3) | instskip(SKIP_2) | instid1(VALU_DEP_3)
	v_add_co_ci_u32_e32 v4, vcc_lo, -1, v4, vcc_lo
	v_cmp_gt_i32_e32 vcc_lo, s12, v0
	v_add_lshl_u32 v16, v8, v0, 3
	v_dual_cndmask_b32 v4, v4, v2 :: v_dual_cndmask_b32 v3, v3, v1
	s_and_saveexec_b32 s13, s5
	s_delay_alu instid0(SALU_CYCLE_1)
	s_xor_b32 s5, exec_lo, s13
	s_cbranch_execz .LBB182_76
; %bb.75:
	v_mov_b32_e32 v5, 0
	s_delay_alu instid0(VALU_DEP_1)
	v_mov_b32_e32 v6, v5
	ds_store_b64 v16, v[5:6]
.LBB182_76:
	s_and_not1_saveexec_b32 s5, s5
	s_cbranch_execz .LBB182_78
; %bb.77:
	flat_load_b64 v[5:6], v[3:4]
	s_waitcnt vmcnt(0) lgkmcnt(0)
	ds_store_b64 v16, v[5:6]
.LBB182_78:
	s_or_b32 exec_lo, exec_lo, s5
	v_add_nc_u32_e32 v5, 8, v7
	s_delay_alu instid0(VALU_DEP_1) | instskip(NEXT) | instid1(VALU_DEP_1)
	v_cmp_le_i32_e64 s5, s8, v5
	s_and_saveexec_b32 s13, s5
	s_delay_alu instid0(SALU_CYCLE_1)
	s_xor_b32 s5, exec_lo, s13
	s_cbranch_execz .LBB182_80
; %bb.79:
	v_mul_u32_u24_e32 v6, 33, v5
	v_mov_b32_e32 v20, 0
	s_delay_alu instid0(VALU_DEP_2) | instskip(NEXT) | instid1(VALU_DEP_2)
	v_add_lshl_u32 v6, v6, v0, 3
	v_mov_b32_e32 v21, v20
	ds_store_b64 v6, v[20:21]
.LBB182_80:
	s_and_not1_saveexec_b32 s13, s5
	s_cbranch_execz .LBB182_82
; %bb.81:
	s_lshl_b64 s[22:23], s[16:17], 6
	s_delay_alu instid0(SALU_CYCLE_1) | instskip(NEXT) | instid1(VALU_DEP_1)
	v_add_co_u32 v20, s5, v3, s22
	v_add_co_ci_u32_e64 v21, s5, s23, v4, s5
	flat_load_b64 v[20:21], v[20:21]
	s_waitcnt vmcnt(0) lgkmcnt(0)
	ds_store_b64 v16, v[20:21] offset:2112
.LBB182_82:
	s_or_b32 exec_lo, exec_lo, s13
	v_add_nc_u32_e32 v6, 16, v7
	s_delay_alu instid0(VALU_DEP_1) | instskip(NEXT) | instid1(VALU_DEP_1)
	v_cmp_le_i32_e64 s5, s8, v6
	s_and_saveexec_b32 s13, s5
	s_delay_alu instid0(SALU_CYCLE_1)
	s_xor_b32 s5, exec_lo, s13
	s_cbranch_execz .LBB182_84
; %bb.83:
	v_mov_b32_e32 v20, 0
	s_delay_alu instid0(VALU_DEP_1)
	v_mov_b32_e32 v21, v20
	ds_store_b64 v16, v[20:21] offset:4224
.LBB182_84:
	s_and_not1_saveexec_b32 s13, s5
	s_cbranch_execz .LBB182_86
; %bb.85:
	s_lshl_b64 s[22:23], s[16:17], 7
	s_delay_alu instid0(SALU_CYCLE_1) | instskip(NEXT) | instid1(VALU_DEP_1)
	v_add_co_u32 v20, s5, v3, s22
	v_add_co_ci_u32_e64 v21, s5, s23, v4, s5
	flat_load_b64 v[20:21], v[20:21]
	s_waitcnt vmcnt(0) lgkmcnt(0)
	ds_store_b64 v16, v[20:21] offset:4224
.LBB182_86:
	s_or_b32 exec_lo, exec_lo, s13
	v_add_nc_u32_e32 v20, 24, v7
	s_delay_alu instid0(VALU_DEP_1) | instskip(NEXT) | instid1(VALU_DEP_1)
	v_cmp_le_i32_e64 s5, s8, v20
	s_and_saveexec_b32 s8, s5
	s_delay_alu instid0(SALU_CYCLE_1)
	s_xor_b32 s5, exec_lo, s8
	s_cbranch_execz .LBB182_88
; %bb.87:
	v_mov_b32_e32 v30, 0
	s_delay_alu instid0(VALU_DEP_1)
	v_mov_b32_e32 v31, v30
	ds_store_b64 v16, v[30:31] offset:6336
                                        ; implicit-def: $vgpr16
.LBB182_88:
	s_and_not1_saveexec_b32 s5, s5
	s_cbranch_execz .LBB182_90
; %bb.89:
	v_mad_u64_u32 v[30:31], null, 0xc0, s16, v[3:4]
	s_delay_alu instid0(VALU_DEP_1) | instskip(NEXT) | instid1(VALU_DEP_1)
	v_mov_b32_e32 v17, v31
	v_mad_u64_u32 v[31:32], null, 0xc0, s17, v[17:18]
	flat_load_b64 v[30:31], v[30:31]
	s_waitcnt vmcnt(0) lgkmcnt(0)
	ds_store_b64 v16, v[30:31] offset:6336
.LBB182_90:
	s_or_b32 exec_lo, exec_lo, s5
	v_add_co_u32 v3, s5, v3, v9
	s_delay_alu instid0(VALU_DEP_1) | instskip(NEXT) | instid1(VALU_DEP_2)
	v_add_co_ci_u32_e64 v4, s5, 0, v4, s5
	v_sub_co_u32 v3, s5, v3, s6
	s_delay_alu instid0(VALU_DEP_1) | instskip(NEXT) | instid1(VALU_DEP_2)
	v_subrev_co_ci_u32_e64 v4, s5, s7, v4, s5
	v_add_co_u32 v3, s5, v3, 8
	s_delay_alu instid0(VALU_DEP_1) | instskip(NEXT) | instid1(VALU_DEP_1)
	v_add_co_ci_u32_e64 v4, s5, 0, v4, s5
	v_dual_cndmask_b32 v16, v3, v1 :: v_dual_cndmask_b32 v17, v4, v2
	s_branch .LBB182_96
.LBB182_91:
	ds_load_b64 v[1:2], v11
	s_waitcnt lgkmcnt(0)
	ds_store_b64 v16, v[1:2]
	s_or_b32 exec_lo, exec_lo, s8
	s_and_saveexec_b32 s4, s5
	s_cbranch_execz .LBB182_68
.LBB182_92:
	ds_load_b64 v[1:2], v19
	s_waitcnt lgkmcnt(0)
	ds_store_b64 v16, v[1:2] offset:8
	s_or_b32 exec_lo, exec_lo, s4
	s_and_saveexec_b32 s4, s6
	s_cbranch_execz .LBB182_69
.LBB182_93:
	ds_load_b64 v[1:2], v19 offset:264
	s_waitcnt lgkmcnt(0)
	ds_store_b64 v16, v[1:2] offset:16
	s_or_b32 exec_lo, exec_lo, s4
	v_add_nc_u32_e32 v29, 0x2380, v17
	s_and_saveexec_b32 s4, s7
	s_cbranch_execnz .LBB182_70
	s_branch .LBB182_71
.LBB182_94:
                                        ; implicit-def: $vgpr16_vgpr17
                                        ; implicit-def: $vgpr5
                                        ; implicit-def: $vgpr6
                                        ; implicit-def: $vgpr20
	s_cbranch_execz .LBB182_96
; %bb.95:
	flat_load_b64 v[3:4], v[1:2]
	s_lshl_b64 s[6:7], s[16:17], 6
	v_add_lshl_u32 v21, v8, v0, 3
	v_add_co_u32 v5, vcc_lo, v1, s6
	v_add_co_ci_u32_e32 v6, vcc_lo, s7, v2, vcc_lo
	v_dual_mov_b32 v17, v2 :: v_dual_add_nc_u32 v20, 24, v7
	v_mov_b32_e32 v16, v1
	s_waitcnt vmcnt(0) lgkmcnt(0)
	ds_store_b64 v21, v[3:4]
	flat_load_b64 v[3:4], v[5:6]
	v_add_co_u32 v5, vcc_lo, v5, s6
	v_add_co_ci_u32_e32 v6, vcc_lo, s7, v6, vcc_lo
	s_waitcnt vmcnt(0) lgkmcnt(0)
	ds_store_b64 v21, v[3:4] offset:2112
	flat_load_b64 v[3:4], v[5:6]
	v_mad_u64_u32 v[5:6], null, 0xc0, s16, v[1:2]
	s_delay_alu instid0(VALU_DEP_1) | instskip(NEXT) | instid1(VALU_DEP_1)
	v_mov_b32_e32 v0, v6
	v_mad_u64_u32 v[8:9], null, 0xc0, s17, v[0:1]
	s_delay_alu instid0(VALU_DEP_1)
	v_mov_b32_e32 v6, v8
	s_waitcnt vmcnt(0) lgkmcnt(0)
	ds_store_b64 v21, v[3:4] offset:4224
	flat_load_b64 v[3:4], v[5:6]
	v_add_nc_u32_e32 v5, 8, v7
	v_add_nc_u32_e32 v6, 16, v7
	s_waitcnt vmcnt(0) lgkmcnt(0)
	ds_store_b64 v21, v[3:4] offset:6336
.LBB182_96:
	s_waitcnt lgkmcnt(0)
	s_barrier
	buffer_gl0_inv
	ds_load_b64 v[30:31], v28
	v_lshlrev_b32_e32 v0, 3, v7
	v_add_lshl_u32 v1, v5, v10, 3
	v_lshlrev_b32_e32 v2, 3, v5
	v_add_lshl_u32 v3, v6, v10, 3
	;; [unrolled: 2-line block ×3, first 2 shown]
	v_lshlrev_b32_e32 v6, 3, v20
	ds_load_b64 v[32:33], v0 offset:9088
	ds_load_b64 v[34:35], v1
	ds_load_b64 v[36:37], v2 offset:9088
	ds_load_b64 v[38:39], v3
	;; [unrolled: 2-line block ×4, first 2 shown]
	ds_load_b128 v[8:11], v29 offset:256
	ds_load_b128 v[0:3], v29 offset:272
	ds_load_2addr_b64 v[4:7], v19 offset1:33
	ds_load_b64 v[18:19], v18
	s_waitcnt lgkmcnt(0)
	s_barrier
	buffer_gl0_inv
	v_mul_f32_e32 v29, v33, v31
	v_mul_f32_e32 v47, v41, v39
	v_mul_f32_e32 v31, v32, v31
	v_mul_f32_e32 v48, v45, v43
	s_delay_alu instid0(VALU_DEP_4) | instskip(SKIP_1) | instid1(VALU_DEP_4)
	v_fma_f32 v29, v32, v30, -v29
	v_mul_f32_e32 v46, v37, v35
	v_dual_fmac_f32 v31, v33, v30 :: v_dual_mul_f32 v30, v40, v39
	v_mul_f32_e32 v35, v36, v35
	s_delay_alu instid0(VALU_DEP_4) | instskip(NEXT) | instid1(VALU_DEP_4)
	v_add_f32_e32 v29, 0, v29
	v_fma_f32 v32, v36, v34, -v46
	s_delay_alu instid0(VALU_DEP_4) | instskip(NEXT) | instid1(VALU_DEP_4)
	v_dual_fmac_f32 v30, v41, v38 :: v_dual_mul_f32 v33, v44, v43
	v_fmac_f32_e32 v35, v37, v34
	v_fma_f32 v34, v40, v38, -v47
	s_delay_alu instid0(VALU_DEP_4) | instskip(SKIP_3) | instid1(VALU_DEP_4)
	v_add_f32_e32 v29, v29, v32
	v_fma_f32 v32, v44, v42, -v48
	v_fmac_f32_e32 v33, v45, v42
	v_add_f32_e32 v31, 0, v31
	v_add_f32_e32 v29, v29, v34
	s_delay_alu instid0(VALU_DEP_2) | instskip(NEXT) | instid1(VALU_DEP_1)
	v_add_f32_e32 v31, v31, v35
	v_dual_add_f32 v29, v29, v32 :: v_dual_add_f32 v30, v31, v30
	s_delay_alu instid0(VALU_DEP_1)
	v_add_f32_e32 v30, v30, v33
	ds_store_b64 v28, v[29:30]
	s_waitcnt lgkmcnt(0)
	s_barrier
	buffer_gl0_inv
	s_and_saveexec_b32 s5, s4
	s_cbranch_execz .LBB182_98
; %bb.97:
	ds_load_2addr_b64 v[29:32], v23 offset1:1
	ds_load_2addr_b64 v[33:36], v23 offset0:2 offset1:3
	ds_load_2addr_b64 v[37:40], v23 offset0:4 offset1:5
	s_waitcnt lgkmcnt(2)
	v_dual_add_f32 v26, v26, v29 :: v_dual_add_f32 v27, v27, v30
	s_delay_alu instid0(VALU_DEP_1) | instskip(SKIP_3) | instid1(VALU_DEP_1)
	v_dual_add_f32 v26, v26, v31 :: v_dual_add_f32 v27, v27, v32
	ds_load_2addr_b64 v[29:32], v23 offset0:6 offset1:7
	s_waitcnt lgkmcnt(2)
	v_dual_add_f32 v26, v26, v33 :: v_dual_add_f32 v27, v27, v34
	v_dual_add_f32 v26, v26, v35 :: v_dual_add_f32 v27, v27, v36
	s_waitcnt lgkmcnt(1)
	s_delay_alu instid0(VALU_DEP_1) | instskip(NEXT) | instid1(VALU_DEP_1)
	v_dual_add_f32 v26, v26, v37 :: v_dual_add_f32 v27, v27, v38
	v_dual_add_f32 v26, v26, v39 :: v_dual_add_f32 v27, v27, v40
	s_waitcnt lgkmcnt(0)
	s_delay_alu instid0(VALU_DEP_1) | instskip(NEXT) | instid1(VALU_DEP_1)
	v_dual_add_f32 v26, v26, v29 :: v_dual_add_f32 v27, v27, v30
	v_dual_add_f32 v26, v26, v31 :: v_dual_add_f32 v27, v27, v32
.LBB182_98:
	s_or_b32 exec_lo, exec_lo, s5
	v_mul_f32_e32 v29, v9, v21
	v_mul_f32_e32 v21, v8, v21
	v_dual_mul_f32 v30, v11, v5 :: v_dual_mul_f32 v31, v1, v7
	s_delay_alu instid0(VALU_DEP_3) | instskip(NEXT) | instid1(VALU_DEP_3)
	v_fma_f32 v8, v8, v20, -v29
	v_fmac_f32_e32 v21, v9, v20
	v_mul_f32_e32 v7, v0, v7
	s_delay_alu instid0(VALU_DEP_4)
	v_fma_f32 v0, v0, v6, -v31
	s_barrier
	v_dual_add_f32 v8, 0, v8 :: v_dual_mul_f32 v5, v10, v5
	v_fma_f32 v10, v10, v4, -v30
	buffer_gl0_inv
	v_dual_add_f32 v8, v8, v10 :: v_dual_mul_f32 v9, v3, v19
	v_fmac_f32_e32 v5, v11, v4
	s_delay_alu instid0(VALU_DEP_2) | instskip(NEXT) | instid1(VALU_DEP_3)
	v_dual_mul_f32 v11, v2, v19 :: v_dual_add_f32 v0, v8, v0
	v_fma_f32 v2, v2, v18, -v9
	s_delay_alu instid0(VALU_DEP_2) | instskip(NEXT) | instid1(VALU_DEP_2)
	v_fmac_f32_e32 v11, v3, v18
	v_add_f32_e32 v0, v0, v2
	v_dual_add_f32 v4, 0, v21 :: v_dual_fmac_f32 v7, v1, v6
	s_delay_alu instid0(VALU_DEP_1) | instskip(NEXT) | instid1(VALU_DEP_1)
	v_add_f32_e32 v1, v4, v5
	v_add_f32_e32 v1, v1, v7
	s_delay_alu instid0(VALU_DEP_1)
	v_add_f32_e32 v1, v1, v11
	ds_store_b64 v28, v[0:1]
	s_waitcnt lgkmcnt(0)
	s_barrier
	buffer_gl0_inv
	s_and_saveexec_b32 s4, s3
	s_cbranch_execz .LBB182_100
; %bb.99:
	ds_load_2addr_b64 v[0:3], v23 offset1:1
	ds_load_2addr_b64 v[4:7], v23 offset0:2 offset1:3
	ds_load_2addr_b64 v[8:11], v23 offset0:4 offset1:5
	s_waitcnt lgkmcnt(2)
	v_dual_add_f32 v0, v26, v0 :: v_dual_add_f32 v1, v27, v1
	s_delay_alu instid0(VALU_DEP_1) | instskip(SKIP_3) | instid1(VALU_DEP_1)
	v_dual_add_f32 v18, v0, v2 :: v_dual_add_f32 v19, v1, v3
	ds_load_2addr_b64 v[0:3], v23 offset0:6 offset1:7
	s_waitcnt lgkmcnt(2)
	v_dual_add_f32 v4, v18, v4 :: v_dual_add_f32 v5, v19, v5
	v_dual_add_f32 v4, v4, v6 :: v_dual_add_f32 v5, v5, v7
	s_waitcnt lgkmcnt(1)
	s_delay_alu instid0(VALU_DEP_1) | instskip(NEXT) | instid1(VALU_DEP_1)
	v_dual_add_f32 v4, v4, v8 :: v_dual_add_f32 v5, v5, v9
	v_dual_add_f32 v4, v4, v10 :: v_dual_add_f32 v5, v5, v11
	s_waitcnt lgkmcnt(0)
	s_delay_alu instid0(VALU_DEP_1) | instskip(NEXT) | instid1(VALU_DEP_1)
	v_dual_add_f32 v0, v4, v0 :: v_dual_add_f32 v1, v5, v1
	v_dual_add_f32 v26, v0, v2 :: v_dual_add_f32 v27, v1, v3
.LBB182_100:
	s_or_b32 exec_lo, exec_lo, s4
	s_load_b64 s[0:1], s[0:1], 0x68
	s_mul_hi_u32 s3, s24, s20
	s_mul_i32 s25, s25, s20
	s_mul_i32 s4, s24, s20
	s_add_i32 s3, s3, s25
	s_mul_hi_u32 s5, s4, s15
	s_mul_i32 s3, s3, s15
	s_mul_i32 s4, s4, s15
	s_add_i32 s5, s5, s3
	s_mul_hi_i32 s7, s24, s14
	s_lshl_b64 s[4:5], s[4:5], 3
	s_mul_i32 s6, s24, s14
	v_lshlrev_b32_e32 v95, 3, v93
	s_waitcnt lgkmcnt(0)
	s_barrier
	buffer_gl0_inv
	s_add_u32 s3, s0, s4
	s_addc_u32 s4, s1, s5
	s_lshl_b64 s[0:1], s[6:7], 3
	s_delay_alu instid0(SALU_CYCLE_1) | instskip(SKIP_2) | instid1(SALU_CYCLE_1)
	s_add_u32 s3, s3, s0
	s_addc_u32 s8, s4, s1
	s_add_i32 s0, s14, 1
	s_cmp_ge_u32 s0, s15
	s_cbranch_scc1 .LBB182_158
; %bb.101:
	v_and_b32_e32 v6, 48, v93
	v_lshrrev_b32_e32 v8, 4, v22
	v_lshlrev_b32_e32 v9, 5, v94
	v_dual_mov_b32 v28, 0 :: v_dual_and_b32 v7, 15, v93
	s_delay_alu instid0(VALU_DEP_4)
	v_lshlrev_b32_e32 v0, 3, v6
	v_or_b32_e32 v1, 0x78, v95
	v_lshlrev_b32_e32 v2, 5, v8
	v_add_nc_u32_e32 v10, 0x110, v9
	v_add_nc_u32_e32 v11, 0x108, v9
	v_mad_u32_u24 v101, 0x218, v7, v0
	v_mad_u32_u24 v102, 0x218, v7, v1
	;; [unrolled: 1-line block ×3, first 2 shown]
	v_mad_u64_u32 v[0:1], null, s16, v10, 0
	v_mad_u64_u32 v[2:3], null, s16, v11, 0
	s_mul_i32 s0, s18, s11
	s_mul_hi_u32 s1, s18, s10
	s_mul_i32 s4, s19, s10
	s_add_i32 s0, s1, s0
	v_lshlrev_b32_e32 v96, 2, v94
	s_add_i32 s1, s0, s4
	s_delay_alu instid0(VALU_DEP_2)
	v_mad_u64_u32 v[4:5], null, s17, v10, v[1:2]
	v_mov_b32_e32 v1, v3
	v_mul_i32_i24_e32 v10, 0xffffffe8, v8
	v_add_nc_u32_e32 v8, 0x100, v9
	s_mul_i32 s0, s18, s10
	v_or_b32_e32 v121, v6, v7
	s_lshl_b64 s[0:1], s[0:1], 3
	v_mov_b32_e32 v7, v4
	v_mad_u64_u32 v[5:6], null, s16, v8, 0
	v_sub_co_u32 v97, vcc_lo, v14, s0
	v_mad_u64_u32 v[3:4], null, s17, v11, v[1:2]
	v_subrev_co_ci_u32_e32 v98, vcc_lo, s1, v15, vcc_lo
	v_sub_co_u32 v1, vcc_lo, v0, v12
	v_dual_mov_b32 v0, v6 :: v_dual_add_nc_u32 v99, 0x2180, v95
	v_sub_co_ci_u32_e32 v4, vcc_lo, v7, v13, vcc_lo
	s_delay_alu instid0(VALU_DEP_3) | instskip(SKIP_1) | instid1(VALU_DEP_3)
	v_add_co_u32 v122, vcc_lo, v16, v1
	v_mov_b32_e32 v7, v3
	v_add_co_ci_u32_e32 v123, vcc_lo, v17, v4, vcc_lo
	v_mad_u64_u32 v[3:4], null, s17, v8, v[0:1]
	v_sub_co_u32 v2, vcc_lo, v2, v12
	s_delay_alu instid0(VALU_DEP_4) | instskip(SKIP_1) | instid1(VALU_DEP_3)
	v_sub_co_ci_u32_e32 v4, vcc_lo, v7, v13, vcc_lo
	v_cmp_gt_u32_e64 s0, 64, v22
	v_add_co_u32 v124, vcc_lo, v16, v2
	s_delay_alu instid0(VALU_DEP_3)
	v_add_co_ci_u32_e32 v125, vcc_lo, v17, v4, vcc_lo
	v_mov_b32_e32 v4, v3
	v_add_nc_u32_e32 v6, 0x118, v9
	v_add_nc_u32_e32 v11, 0x190, v9
	;; [unrolled: 1-line block ×3, first 2 shown]
	v_sub_co_u32 v7, vcc_lo, v5, v12
	s_delay_alu instid0(VALU_DEP_4) | instskip(NEXT) | instid1(VALU_DEP_4)
	v_mad_u64_u32 v[0:1], null, s16, v6, 0
	v_mad_u64_u32 v[2:3], null, s16, v11, 0
	v_sub_co_ci_u32_e32 v8, vcc_lo, v4, v13, vcc_lo
	v_add_nc_u32_e32 v100, 0x2380, v95
	v_add_co_u32 v126, vcc_lo, v16, v7
	s_delay_alu instid0(VALU_DEP_3)
	v_add_co_ci_u32_e32 v127, vcc_lo, v17, v8, vcc_lo
	v_mad_u64_u32 v[4:5], null, s17, v6, v[1:2]
	v_mov_b32_e32 v1, v3
	v_mad_u64_u32 v[5:6], null, s16, v14, 0
	v_add_nc_u32_e32 v110, 17, v96
	v_add_nc_u32_e32 v15, 0x290, v9
	s_delay_alu instid0(VALU_DEP_4) | instskip(SKIP_4) | instid1(VALU_DEP_4)
	v_mad_u64_u32 v[7:8], null, s17, v11, v[1:2]
	v_mov_b32_e32 v3, v4
	v_add_nc_u32_e32 v11, 0x180, v9
	v_mov_b32_e32 v1, v6
	v_sub_co_u32 v6, vcc_lo, v0, v12
	v_sub_co_ci_u32_e32 v8, vcc_lo, v3, v13, vcc_lo
	s_delay_alu instid0(VALU_DEP_3) | instskip(SKIP_1) | instid1(VALU_DEP_4)
	v_mad_u64_u32 v[3:4], null, s17, v14, v[1:2]
	v_mad_u64_u32 v[0:1], null, s16, v11, 0
	v_add_co_u32 v128, vcc_lo, v16, v6
	s_delay_alu instid0(VALU_DEP_4)
	v_add_co_ci_u32_e32 v129, vcc_lo, v17, v8, vcc_lo
	v_add_nc_u32_e32 v107, 0x2180, v9
	v_sub_co_u32 v6, vcc_lo, v2, v12
	v_mov_b32_e32 v2, v3
	v_add_nc_u32_e32 v8, 0x198, v9
	v_sub_co_ci_u32_e32 v7, vcc_lo, v7, v13, vcc_lo
	v_sub_co_u32 v5, vcc_lo, v5, v12
	s_delay_alu instid0(VALU_DEP_4)
	v_sub_co_ci_u32_e32 v14, vcc_lo, v2, v13, vcc_lo
	v_mad_u64_u32 v[2:3], null, s17, v11, v[1:2]
	v_mad_u64_u32 v[3:4], null, s16, v8, 0
	v_add_co_u32 v130, vcc_lo, v16, v6
	v_add_co_ci_u32_e32 v131, vcc_lo, v17, v7, vcc_lo
	v_add_co_u32 v132, vcc_lo, v16, v5
	v_add_co_ci_u32_e32 v133, vcc_lo, v17, v14, vcc_lo
	v_sub_co_u32 v0, vcc_lo, v0, v12
	v_mov_b32_e32 v1, v4
	v_sub_co_ci_u32_e32 v2, vcc_lo, v2, v13, vcc_lo
	v_add_nc_u32_e32 v11, 0x210, v9
	s_delay_alu instid0(VALU_DEP_4) | instskip(NEXT) | instid1(VALU_DEP_3)
	v_add_co_u32 v134, vcc_lo, v16, v0
	v_mad_u64_u32 v[6:7], null, s17, v8, v[1:2]
	s_delay_alu instid0(VALU_DEP_3) | instskip(SKIP_4) | instid1(VALU_DEP_4)
	v_mad_u64_u32 v[4:5], null, s16, v11, 0
	v_add_nc_u32_e32 v7, 0x208, v9
	v_add_co_ci_u32_e32 v135, vcc_lo, v17, v2, vcc_lo
	v_add_nc_u32_e32 v109, 16, v96
	v_dual_mov_b32 v8, v6 :: v_dual_add_nc_u32 v111, 18, v96
	v_mad_u64_u32 v[1:2], null, s16, v7, 0
	v_mov_b32_e32 v0, v5
	v_sub_co_u32 v3, vcc_lo, v3, v12
	v_add_nc_u32_e32 v113, 32, v96
	v_or_b32_e32 v104, 1, v96
	v_or_b32_e32 v105, 2, v96
	v_mad_u64_u32 v[5:6], null, s17, v11, v[0:1]
	v_mov_b32_e32 v0, v2
	v_sub_co_ci_u32_e32 v6, vcc_lo, v8, v13, vcc_lo
	v_add_nc_u32_e32 v112, 19, v96
	v_add_co_u32 v136, vcc_lo, v16, v3
	v_dual_mov_b32 v11, v5 :: v_dual_add_nc_u32 v8, 0x200, v9
	s_delay_alu instid0(VALU_DEP_4) | instskip(SKIP_2) | instid1(VALU_DEP_4)
	v_add_co_ci_u32_e32 v137, vcc_lo, v17, v6, vcc_lo
	v_mad_u64_u32 v[2:3], null, s17, v7, v[0:1]
	v_sub_co_u32 v0, vcc_lo, v4, v12
	v_mad_u64_u32 v[5:6], null, s16, v8, 0
	v_sub_co_ci_u32_e32 v3, vcc_lo, v11, v13, vcc_lo
	v_add_nc_u32_e32 v11, 0x218, v9
	s_delay_alu instid0(VALU_DEP_4) | instskip(SKIP_1) | instid1(VALU_DEP_4)
	v_add_co_u32 v138, vcc_lo, v16, v0
	v_dual_mov_b32 v4, v2 :: v_dual_add_nc_u32 v115, 34, v96
	v_add_co_ci_u32_e32 v139, vcc_lo, v17, v3, vcc_lo
	s_delay_alu instid0(VALU_DEP_4) | instskip(SKIP_4) | instid1(VALU_DEP_3)
	v_mad_u64_u32 v[2:3], null, s16, v11, 0
	v_dual_mov_b32 v0, v6 :: v_dual_add_nc_u32 v117, 48, v96
	v_sub_co_u32 v1, vcc_lo, v1, v12
	v_sub_co_ci_u32_e32 v14, vcc_lo, v4, v13, vcc_lo
	v_or_b32_e32 v106, 3, v96
	v_mad_u64_u32 v[6:7], null, s17, v8, v[0:1]
	v_mov_b32_e32 v0, v3
	v_mad_u64_u32 v[3:4], null, s16, v15, 0
	v_add_nc_u32_e32 v114, 33, v96
	v_add_nc_u32_e32 v119, 50, v96
	v_add_co_u32 v140, vcc_lo, v16, v1
	v_mad_u64_u32 v[7:8], null, s17, v11, v[0:1]
	v_dual_mov_b32 v0, v4 :: v_dual_mov_b32 v1, v6
	v_add_nc_u32_e32 v11, 0x288, v9
	v_add_co_ci_u32_e32 v141, vcc_lo, v17, v14, vcc_lo
	v_sub_co_u32 v6, vcc_lo, v5, v12
	s_delay_alu instid0(VALU_DEP_4) | instskip(SKIP_2) | instid1(VALU_DEP_4)
	v_sub_co_ci_u32_e32 v8, vcc_lo, v1, v13, vcc_lo
	v_mad_u64_u32 v[4:5], null, s17, v15, v[0:1]
	v_mad_u64_u32 v[0:1], null, s16, v11, 0
	v_add_co_u32 v142, vcc_lo, v16, v6
	v_add_nc_u32_e32 v15, 0x280, v9
	v_add_nc_u32_e32 v9, 0x298, v9
	v_add_co_ci_u32_e32 v143, vcc_lo, v17, v8, vcc_lo
	v_sub_co_u32 v8, vcc_lo, v2, v12
	v_mov_b32_e32 v14, v4
	v_mad_u64_u32 v[4:5], null, s17, v11, v[1:2]
	v_sub_co_ci_u32_e32 v7, vcc_lo, v7, v13, vcc_lo
	v_mad_u64_u32 v[5:6], null, s16, v9, 0
	v_add_co_u32 v144, vcc_lo, v16, v8
	v_mad_u64_u32 v[1:2], null, s16, v15, 0
	s_delay_alu instid0(VALU_DEP_4)
	v_add_co_ci_u32_e32 v145, vcc_lo, v17, v7, vcc_lo
	v_sub_co_u32 v11, vcc_lo, v3, v12
	v_dual_mov_b32 v3, v6 :: v_dual_add_nc_u32 v116, 35, v96
	v_sub_co_ci_u32_e32 v14, vcc_lo, v14, v13, vcc_lo
	v_sub_co_u32 v0, vcc_lo, v0, v12
	v_sub_co_ci_u32_e32 v4, vcc_lo, v4, v13, vcc_lo
	s_delay_alu instid0(VALU_DEP_4) | instskip(SKIP_1) | instid1(VALU_DEP_3)
	v_mad_u64_u32 v[6:7], null, s17, v15, v[2:3]
	v_add_co_u32 v146, vcc_lo, v16, v11
	v_mad_u64_u32 v[7:8], null, s17, v9, v[3:4]
	v_add_co_ci_u32_e32 v147, vcc_lo, v17, v14, vcc_lo
	v_add_co_u32 v148, vcc_lo, v16, v0
	v_mov_b32_e32 v0, v6
	v_add_co_ci_u32_e32 v149, vcc_lo, v17, v4, vcc_lo
	v_mov_b32_e32 v2, v7
	v_sub_co_u32 v1, vcc_lo, v1, v12
	s_delay_alu instid0(VALU_DEP_4) | instskip(SKIP_1) | instid1(VALU_DEP_4)
	v_sub_co_ci_u32_e32 v0, vcc_lo, v0, v13, vcc_lo
	v_sub_co_u32 v3, vcc_lo, v5, v12
	v_sub_co_ci_u32_e32 v2, vcc_lo, v2, v13, vcc_lo
	s_delay_alu instid0(VALU_DEP_4) | instskip(NEXT) | instid1(VALU_DEP_4)
	v_add_co_u32 v150, vcc_lo, v16, v1
	v_add_co_ci_u32_e32 v151, vcc_lo, v17, v0, vcc_lo
	s_delay_alu instid0(VALU_DEP_4)
	v_add_co_u32 v152, vcc_lo, v16, v3
	v_mad_u32_u24 v108, 0x860, v94, v95
	v_add_nc_u32_e32 v118, 49, v96
	v_add_nc_u32_e32 v120, 51, v96
	v_add_co_ci_u32_e32 v153, vcc_lo, v17, v2, vcc_lo
	v_add_nc_u32_e32 v154, v103, v10
	s_add_i32 s13, s15, -2
	s_add_i32 s18, s18, 64
	s_lshl_b64 s[4:5], s[16:17], 9
	s_cmp_eq_u32 s13, s14
	s_cselect_b32 s16, s21, 0
	s_and_saveexec_b32 s1, s2
	s_cbranch_execz .LBB182_106
.LBB182_102:
	v_cmp_le_i32_e32 vcc_lo, s16, v93
	s_cmp_lg_u32 s16, 0
	s_cselect_b32 s6, -1, 0
	s_delay_alu instid0(SALU_CYCLE_1) | instskip(NEXT) | instid1(SALU_CYCLE_1)
	s_and_b32 s6, s6, vcc_lo
	s_and_saveexec_b32 s7, s6
	s_delay_alu instid0(SALU_CYCLE_1)
	s_xor_b32 s6, exec_lo, s7
	s_cbranch_execz .LBB182_104
; %bb.103:
	v_mov_b32_e32 v29, v28
	ds_store_b64 v99, v[28:29]
.LBB182_104:
	s_and_not1_saveexec_b32 s6, s6
	s_cbranch_execz .LBB182_106
; %bb.105:
	s_mul_i32 s6, s18, s11
	s_mul_hi_u32 s7, s18, s10
	s_ashr_i32 s17, s18, 31
	s_add_i32 s6, s7, s6
	s_mul_i32 s17, s17, s10
	s_delay_alu instid0(SALU_CYCLE_1) | instskip(SKIP_1) | instid1(SALU_CYCLE_1)
	s_add_i32 s7, s6, s17
	s_mul_i32 s6, s18, s10
	s_lshl_b64 s[6:7], s[6:7], 3
	s_delay_alu instid0(SALU_CYCLE_1)
	v_add_co_u32 v0, vcc_lo, v97, s6
	v_add_co_ci_u32_e32 v1, vcc_lo, s7, v98, vcc_lo
	flat_load_b64 v[0:1], v[0:1]
	s_waitcnt vmcnt(0) lgkmcnt(0)
	ds_store_b64 v99, v[0:1]
.LBB182_106:                            ; =>This Inner Loop Header: Depth=1
	s_or_b32 exec_lo, exec_lo, s1
	s_cmp_eq_u32 s16, 0
	v_add_co_u32 v0, vcc_lo, v126, v95
	s_cselect_b32 s17, -1, 0
	s_cmp_lg_u32 s16, 0
	v_add_co_ci_u32_e32 v1, vcc_lo, 0, v127, vcc_lo
	s_cselect_b32 s1, -1, 0
	s_waitcnt lgkmcnt(0)
	s_and_b32 vcc_lo, exec_lo, s1
	s_barrier
	buffer_gl0_inv
	s_cbranch_vccz .LBB182_114
; %bb.107:                              ;   in Loop: Header=BB182_106 Depth=1
	v_mov_b32_e32 v29, 0
	v_mov_b32_e32 v30, 0
	s_mov_b32 s6, exec_lo
	s_delay_alu instid0(VALU_DEP_1)
	v_dual_mov_b32 v32, v30 :: v_dual_mov_b32 v31, v29
	v_cmpx_gt_i32_e64 s16, v96
	s_cbranch_execz .LBB182_109
; %bb.108:                              ;   in Loop: Header=BB182_106 Depth=1
	flat_load_b64 v[31:32], v[0:1]
.LBB182_109:                            ;   in Loop: Header=BB182_106 Depth=1
	s_or_b32 exec_lo, exec_lo, s6
	s_delay_alu instid0(SALU_CYCLE_1)
	s_mov_b32 s6, exec_lo
	v_cmpx_gt_i32_e64 s16, v104
	s_cbranch_execz .LBB182_111
; %bb.110:                              ;   in Loop: Header=BB182_106 Depth=1
	v_add_co_u32 v2, vcc_lo, v124, v95
	v_add_co_ci_u32_e32 v3, vcc_lo, 0, v125, vcc_lo
	flat_load_b64 v[29:30], v[2:3]
.LBB182_111:                            ;   in Loop: Header=BB182_106 Depth=1
	s_or_b32 exec_lo, exec_lo, s6
	v_mov_b32_e32 v33, 0
	v_mov_b32_e32 v34, 0
	s_mov_b32 s6, exec_lo
	v_cmpx_gt_i32_e64 s16, v105
	s_cbranch_execz .LBB182_113
; %bb.112:                              ;   in Loop: Header=BB182_106 Depth=1
	v_add_co_u32 v2, vcc_lo, v122, v95
	v_add_co_ci_u32_e32 v3, vcc_lo, 0, v123, vcc_lo
	flat_load_b64 v[33:34], v[2:3]
.LBB182_113:                            ;   in Loop: Header=BB182_106 Depth=1
	s_or_b32 exec_lo, exec_lo, s6
	v_cmp_gt_i32_e64 s19, s16, v106
	s_mov_b64 s[6:7], 0
	s_branch .LBB182_116
.LBB182_114:                            ;   in Loop: Header=BB182_106 Depth=1
	s_mov_b32 s19, 0
                                        ; implicit-def: $sgpr6_sgpr7
                                        ; implicit-def: $vgpr33_vgpr34
                                        ; implicit-def: $vgpr29_vgpr30
                                        ; implicit-def: $vgpr31_vgpr32
	s_cbranch_execz .LBB182_116
; %bb.115:                              ;   in Loop: Header=BB182_106 Depth=1
	v_add_co_u32 v2, vcc_lo, v124, v95
	v_add_co_ci_u32_e32 v3, vcc_lo, 0, v125, vcc_lo
	v_add_co_u32 v4, vcc_lo, v122, v95
	v_add_co_ci_u32_e32 v5, vcc_lo, 0, v123, vcc_lo
	s_waitcnt vmcnt(0) lgkmcnt(0)
	flat_load_b64 v[31:32], v[0:1]
	flat_load_b64 v[29:30], v[2:3]
	;; [unrolled: 1-line block ×3, first 2 shown]
	s_or_b32 s19, s19, exec_lo
                                        ; implicit-def: $sgpr6_sgpr7
.LBB182_116:                            ;   in Loop: Header=BB182_106 Depth=1
	v_dual_mov_b32 v36, s7 :: v_dual_mov_b32 v35, s6
	s_delay_alu instid0(VALU_DEP_2)
	s_and_saveexec_b32 s6, s19
	s_cbranch_execz .LBB182_118
; %bb.117:                              ;   in Loop: Header=BB182_106 Depth=1
	v_add_co_u32 v0, vcc_lo, v128, v95
	v_add_co_ci_u32_e32 v1, vcc_lo, 0, v129, vcc_lo
	flat_load_b64 v[35:36], v[0:1]
.LBB182_118:                            ;   in Loop: Header=BB182_106 Depth=1
	s_or_b32 exec_lo, exec_lo, s6
	ds_load_b64 v[0:1], v100
	ds_load_b64 v[37:38], v107
	v_cndmask_b32_e64 v77, 0, 1, s1
	s_waitcnt vmcnt(0) lgkmcnt(1)
	v_mul_f32_e32 v3, v1, v31
	v_mul_f32_e32 v5, v1, v29
	;; [unrolled: 1-line block ×3, first 2 shown]
	v_dual_mul_f32 v4, v1, v30 :: v_dual_mul_f32 v9, v0, v36
	s_delay_alu instid0(VALU_DEP_4) | instskip(SKIP_4) | instid1(VALU_DEP_4)
	v_dual_mul_f32 v6, v1, v34 :: v_dual_fmac_f32 v3, v0, v32
	v_mul_f32_e32 v7, v1, v33
	v_dual_mul_f32 v8, v1, v36 :: v_dual_fmac_f32 v5, v0, v30
	v_fma_f32 v2, v0, v31, -v2
	v_fma_f32 v4, v0, v29, -v4
	v_fmac_f32_e32 v7, v0, v34
	v_fma_f32 v6, v0, v33, -v6
	v_fma_f32 v8, v0, v35, -v8
	v_fmac_f32_e32 v9, v1, v35
	ds_store_b64 v108, v[2:3]
	ds_load_b64 v[43:44], v107 offset:8
	ds_store_b64 v108, v[4:5] offset:536
	ds_load_b64 v[41:42], v107 offset:16
	ds_store_b64 v108, v[6:7] offset:1072
	;; [unrolled: 2-line block ×3, first 2 shown]
	s_waitcnt lgkmcnt(0)
	s_barrier
	buffer_gl0_inv
	ds_load_2addr_b64 v[4:7], v103 offset1:1
	ds_load_2addr_b64 v[0:3], v103 offset0:2 offset1:3
	v_add_co_u32 v8, vcc_lo, v134, v95
	v_add_co_ci_u32_e32 v9, vcc_lo, 0, v135, vcc_lo
	s_and_not1_b32 vcc_lo, exec_lo, s1
	s_waitcnt lgkmcnt(0)
	s_barrier
	buffer_gl0_inv
	s_cbranch_vccnz .LBB182_126
; %bb.119:                              ;   in Loop: Header=BB182_106 Depth=1
	v_mov_b32_e32 v45, 0
	v_mov_b32_e32 v46, 0
	s_mov_b32 s1, exec_lo
	s_delay_alu instid0(VALU_DEP_1)
	v_dual_mov_b32 v48, v46 :: v_dual_mov_b32 v47, v45
	v_cmpx_gt_i32_e64 s16, v109
	s_cbranch_execz .LBB182_121
; %bb.120:                              ;   in Loop: Header=BB182_106 Depth=1
	flat_load_b64 v[47:48], v[8:9]
.LBB182_121:                            ;   in Loop: Header=BB182_106 Depth=1
	s_or_b32 exec_lo, exec_lo, s1
	s_delay_alu instid0(SALU_CYCLE_1)
	s_mov_b32 s1, exec_lo
	v_cmpx_gt_i32_e64 s16, v110
	s_cbranch_execz .LBB182_123
; %bb.122:                              ;   in Loop: Header=BB182_106 Depth=1
	v_add_co_u32 v10, vcc_lo, v132, v95
	v_add_co_ci_u32_e32 v11, vcc_lo, 0, v133, vcc_lo
	flat_load_b64 v[45:46], v[10:11]
.LBB182_123:                            ;   in Loop: Header=BB182_106 Depth=1
	s_or_b32 exec_lo, exec_lo, s1
	v_mov_b32_e32 v49, 0
	v_mov_b32_e32 v50, 0
	s_mov_b32 s1, exec_lo
	v_cmpx_gt_i32_e64 s16, v111
	s_cbranch_execz .LBB182_125
; %bb.124:                              ;   in Loop: Header=BB182_106 Depth=1
	v_add_co_u32 v10, vcc_lo, v130, v95
	v_add_co_ci_u32_e32 v11, vcc_lo, 0, v131, vcc_lo
	flat_load_b64 v[49:50], v[10:11]
.LBB182_125:                            ;   in Loop: Header=BB182_106 Depth=1
	s_or_b32 exec_lo, exec_lo, s1
	v_cmp_gt_i32_e64 s1, s16, v112
	s_mov_b64 s[6:7], 0
	s_branch .LBB182_128
.LBB182_126:                            ;   in Loop: Header=BB182_106 Depth=1
	s_mov_b32 s1, 0
                                        ; implicit-def: $sgpr6_sgpr7
                                        ; implicit-def: $vgpr49_vgpr50
                                        ; implicit-def: $vgpr45_vgpr46
                                        ; implicit-def: $vgpr47_vgpr48
	s_cbranch_execz .LBB182_128
; %bb.127:                              ;   in Loop: Header=BB182_106 Depth=1
	v_add_co_u32 v10, vcc_lo, v132, v95
	v_add_co_ci_u32_e32 v11, vcc_lo, 0, v133, vcc_lo
	v_add_co_u32 v12, vcc_lo, v130, v95
	v_add_co_ci_u32_e32 v13, vcc_lo, 0, v131, vcc_lo
	s_waitcnt vmcnt(0) lgkmcnt(0)
	flat_load_b64 v[47:48], v[8:9]
	flat_load_b64 v[45:46], v[10:11]
	;; [unrolled: 1-line block ×3, first 2 shown]
	s_or_b32 s1, s1, exec_lo
                                        ; implicit-def: $sgpr6_sgpr7
.LBB182_128:                            ;   in Loop: Header=BB182_106 Depth=1
	v_dual_mov_b32 v52, s7 :: v_dual_mov_b32 v51, s6
	s_delay_alu instid0(VALU_DEP_2)
	s_and_saveexec_b32 s6, s1
	s_cbranch_execz .LBB182_130
; %bb.129:                              ;   in Loop: Header=BB182_106 Depth=1
	v_add_co_u32 v8, vcc_lo, v136, v95
	v_add_co_ci_u32_e32 v9, vcc_lo, 0, v137, vcc_lo
	flat_load_b64 v[51:52], v[8:9]
.LBB182_130:                            ;   in Loop: Header=BB182_106 Depth=1
	s_or_b32 exec_lo, exec_lo, s6
	ds_load_b64 v[8:9], v100
	ds_load_b64 v[53:54], v107 offset:128
	v_cmp_ne_u32_e32 vcc_lo, 1, v77
	s_and_b32 vcc_lo, exec_lo, vcc_lo
	s_waitcnt vmcnt(0) lgkmcnt(1)
	v_mul_f32_e32 v11, v9, v47
	v_mul_f32_e32 v13, v9, v45
	;; [unrolled: 1-line block ×3, first 2 shown]
	v_dual_mul_f32 v12, v9, v46 :: v_dual_mul_f32 v17, v8, v52
	s_delay_alu instid0(VALU_DEP_4) | instskip(SKIP_4) | instid1(VALU_DEP_4)
	v_dual_mul_f32 v14, v9, v50 :: v_dual_fmac_f32 v11, v8, v48
	v_mul_f32_e32 v15, v9, v49
	v_dual_mul_f32 v16, v9, v52 :: v_dual_fmac_f32 v13, v8, v46
	v_fma_f32 v10, v8, v47, -v10
	v_fma_f32 v12, v8, v45, -v12
	v_fmac_f32_e32 v15, v8, v50
	v_fma_f32 v14, v8, v49, -v14
	v_fma_f32 v16, v8, v51, -v16
	v_fmac_f32_e32 v17, v9, v51
	ds_store_b64 v108, v[10:11]
	ds_load_b64 v[59:60], v107 offset:136
	ds_store_b64 v108, v[12:13] offset:536
	ds_load_b64 v[57:58], v107 offset:144
	ds_store_b64 v108, v[14:15] offset:1072
	ds_load_b64 v[55:56], v107 offset:152
	ds_store_b64 v108, v[16:17] offset:1608
	s_waitcnt lgkmcnt(0)
	s_barrier
	buffer_gl0_inv
	ds_load_2addr_b64 v[12:15], v103 offset1:1
	ds_load_2addr_b64 v[8:11], v103 offset0:2 offset1:3
	v_add_co_u32 v16, s1, v142, v95
	s_delay_alu instid0(VALU_DEP_1)
	v_add_co_ci_u32_e64 v17, s1, 0, v143, s1
	s_waitcnt lgkmcnt(0)
	s_barrier
	buffer_gl0_inv
	s_cbranch_vccnz .LBB182_138
; %bb.131:                              ;   in Loop: Header=BB182_106 Depth=1
	v_mov_b32_e32 v61, 0
	v_mov_b32_e32 v62, 0
	s_mov_b32 s1, exec_lo
	s_delay_alu instid0(VALU_DEP_1)
	v_dual_mov_b32 v64, v62 :: v_dual_mov_b32 v63, v61
	v_cmpx_gt_i32_e64 s16, v113
	s_cbranch_execz .LBB182_133
; %bb.132:                              ;   in Loop: Header=BB182_106 Depth=1
	flat_load_b64 v[63:64], v[16:17]
.LBB182_133:                            ;   in Loop: Header=BB182_106 Depth=1
	s_or_b32 exec_lo, exec_lo, s1
	s_delay_alu instid0(SALU_CYCLE_1)
	s_mov_b32 s1, exec_lo
	v_cmpx_gt_i32_e64 s16, v114
	s_cbranch_execz .LBB182_135
; %bb.134:                              ;   in Loop: Header=BB182_106 Depth=1
	v_add_co_u32 v18, vcc_lo, v140, v95
	v_add_co_ci_u32_e32 v19, vcc_lo, 0, v141, vcc_lo
	flat_load_b64 v[61:62], v[18:19]
.LBB182_135:                            ;   in Loop: Header=BB182_106 Depth=1
	s_or_b32 exec_lo, exec_lo, s1
	v_mov_b32_e32 v65, 0
	v_mov_b32_e32 v66, 0
	s_mov_b32 s1, exec_lo
	v_cmpx_gt_i32_e64 s16, v115
	s_cbranch_execz .LBB182_137
; %bb.136:                              ;   in Loop: Header=BB182_106 Depth=1
	v_add_co_u32 v18, vcc_lo, v138, v95
	v_add_co_ci_u32_e32 v19, vcc_lo, 0, v139, vcc_lo
	flat_load_b64 v[65:66], v[18:19]
.LBB182_137:                            ;   in Loop: Header=BB182_106 Depth=1
	s_or_b32 exec_lo, exec_lo, s1
	v_cmp_gt_i32_e64 s1, s16, v116
	s_mov_b64 s[6:7], 0
	s_branch .LBB182_140
.LBB182_138:                            ;   in Loop: Header=BB182_106 Depth=1
	s_mov_b32 s1, 0
                                        ; implicit-def: $sgpr6_sgpr7
                                        ; implicit-def: $vgpr65_vgpr66
                                        ; implicit-def: $vgpr61_vgpr62
                                        ; implicit-def: $vgpr63_vgpr64
	s_cbranch_execz .LBB182_140
; %bb.139:                              ;   in Loop: Header=BB182_106 Depth=1
	v_add_co_u32 v18, vcc_lo, v140, v95
	v_add_co_ci_u32_e32 v19, vcc_lo, 0, v141, vcc_lo
	v_add_co_u32 v20, vcc_lo, v138, v95
	v_add_co_ci_u32_e32 v21, vcc_lo, 0, v139, vcc_lo
	s_waitcnt vmcnt(0) lgkmcnt(0)
	flat_load_b64 v[63:64], v[16:17]
	flat_load_b64 v[61:62], v[18:19]
	;; [unrolled: 1-line block ×3, first 2 shown]
	s_or_b32 s1, s1, exec_lo
                                        ; implicit-def: $sgpr6_sgpr7
.LBB182_140:                            ;   in Loop: Header=BB182_106 Depth=1
	v_dual_mov_b32 v68, s7 :: v_dual_mov_b32 v67, s6
	s_delay_alu instid0(VALU_DEP_2)
	s_and_saveexec_b32 s6, s1
	s_cbranch_execz .LBB182_142
; %bb.141:                              ;   in Loop: Header=BB182_106 Depth=1
	v_add_co_u32 v16, vcc_lo, v144, v95
	v_add_co_ci_u32_e32 v17, vcc_lo, 0, v145, vcc_lo
	flat_load_b64 v[67:68], v[16:17]
.LBB182_142:                            ;   in Loop: Header=BB182_106 Depth=1
	s_or_b32 exec_lo, exec_lo, s6
	ds_load_b64 v[16:17], v100
	ds_load_b64 v[69:70], v107 offset:256
	v_cmp_ne_u32_e32 vcc_lo, 1, v77
	v_add_co_u32 v83, s1, v150, v95
	s_delay_alu instid0(VALU_DEP_1)
	v_add_co_ci_u32_e64 v84, s1, 0, v151, s1
	s_and_b32 vcc_lo, exec_lo, vcc_lo
	s_waitcnt vmcnt(0) lgkmcnt(1)
	v_mul_f32_e32 v19, v17, v63
	v_mul_f32_e32 v21, v17, v61
	;; [unrolled: 1-line block ×3, first 2 shown]
	v_dual_mul_f32 v20, v17, v62 :: v_dual_mul_f32 v79, v16, v68
	s_delay_alu instid0(VALU_DEP_4)
	v_dual_mul_f32 v22, v17, v66 :: v_dual_fmac_f32 v19, v16, v64
	v_mul_f32_e32 v23, v17, v65
	v_mul_f32_e32 v71, v17, v68
	v_fmac_f32_e32 v21, v16, v62
	v_fma_f32 v18, v16, v63, -v18
	v_fma_f32 v20, v16, v61, -v20
	;; [unrolled: 1-line block ×3, first 2 shown]
	v_fmac_f32_e32 v23, v16, v66
	v_fma_f32 v78, v16, v67, -v71
	v_fmac_f32_e32 v79, v17, v67
	ds_store_b64 v108, v[18:19]
	ds_load_b64 v[75:76], v107 offset:264
	ds_store_b64 v108, v[20:21] offset:536
	ds_load_b64 v[73:74], v107 offset:272
	ds_store_b64 v108, v[22:23] offset:1072
	ds_load_b64 v[71:72], v107 offset:280
	ds_store_b64 v108, v[78:79] offset:1608
	s_waitcnt lgkmcnt(0)
	s_barrier
	buffer_gl0_inv
	ds_load_2addr_b64 v[20:23], v103 offset1:1
	ds_load_2addr_b64 v[16:19], v103 offset0:2 offset1:3
	s_waitcnt lgkmcnt(0)
	s_barrier
	buffer_gl0_inv
	s_cbranch_vccnz .LBB182_150
; %bb.143:                              ;   in Loop: Header=BB182_106 Depth=1
	v_mov_b32_e32 v77, 0
	v_mov_b32_e32 v78, 0
	s_mov_b32 s1, exec_lo
	s_delay_alu instid0(VALU_DEP_1)
	v_dual_mov_b32 v80, v78 :: v_dual_mov_b32 v79, v77
	v_cmpx_gt_i32_e64 s16, v117
	s_cbranch_execz .LBB182_145
; %bb.144:                              ;   in Loop: Header=BB182_106 Depth=1
	flat_load_b64 v[79:80], v[83:84]
.LBB182_145:                            ;   in Loop: Header=BB182_106 Depth=1
	s_or_b32 exec_lo, exec_lo, s1
	s_delay_alu instid0(SALU_CYCLE_1)
	s_mov_b32 s1, exec_lo
	v_cmpx_gt_i32_e64 s16, v118
	s_cbranch_execz .LBB182_147
; %bb.146:                              ;   in Loop: Header=BB182_106 Depth=1
	v_add_co_u32 v77, vcc_lo, v148, v95
	v_add_co_ci_u32_e32 v78, vcc_lo, 0, v149, vcc_lo
	flat_load_b64 v[77:78], v[77:78]
.LBB182_147:                            ;   in Loop: Header=BB182_106 Depth=1
	s_or_b32 exec_lo, exec_lo, s1
	v_mov_b32_e32 v81, 0
	v_mov_b32_e32 v82, 0
	s_mov_b32 s1, exec_lo
	v_cmpx_gt_i32_e64 s16, v119
	s_cbranch_execz .LBB182_149
; %bb.148:                              ;   in Loop: Header=BB182_106 Depth=1
	v_add_co_u32 v81, vcc_lo, v146, v95
	v_add_co_ci_u32_e32 v82, vcc_lo, 0, v147, vcc_lo
	flat_load_b64 v[81:82], v[81:82]
.LBB182_149:                            ;   in Loop: Header=BB182_106 Depth=1
	s_or_b32 exec_lo, exec_lo, s1
	v_cmp_gt_i32_e64 s1, s16, v120
	s_mov_b64 s[6:7], 0
	s_branch .LBB182_152
.LBB182_150:                            ;   in Loop: Header=BB182_106 Depth=1
	s_mov_b32 s1, 0
                                        ; implicit-def: $sgpr6_sgpr7
                                        ; implicit-def: $vgpr81_vgpr82
                                        ; implicit-def: $vgpr77_vgpr78
                                        ; implicit-def: $vgpr79_vgpr80
	s_cbranch_execz .LBB182_152
; %bb.151:                              ;   in Loop: Header=BB182_106 Depth=1
	s_waitcnt vmcnt(0) lgkmcnt(0)
	v_add_co_u32 v77, vcc_lo, v148, v95
	v_add_co_ci_u32_e32 v78, vcc_lo, 0, v149, vcc_lo
	v_add_co_u32 v81, vcc_lo, v146, v95
	v_add_co_ci_u32_e32 v82, vcc_lo, 0, v147, vcc_lo
	flat_load_b64 v[79:80], v[83:84]
	flat_load_b64 v[77:78], v[77:78]
	;; [unrolled: 1-line block ×3, first 2 shown]
	s_or_b32 s1, s1, exec_lo
                                        ; implicit-def: $sgpr6_sgpr7
.LBB182_152:                            ;   in Loop: Header=BB182_106 Depth=1
	v_dual_mov_b32 v84, s7 :: v_dual_mov_b32 v83, s6
	s_delay_alu instid0(VALU_DEP_2)
	s_and_saveexec_b32 s6, s1
	s_cbranch_execz .LBB182_154
; %bb.153:                              ;   in Loop: Header=BB182_106 Depth=1
	v_add_co_u32 v83, vcc_lo, v152, v95
	v_add_co_ci_u32_e32 v84, vcc_lo, 0, v153, vcc_lo
	flat_load_b64 v[83:84], v[83:84]
.LBB182_154:                            ;   in Loop: Header=BB182_106 Depth=1
	s_or_b32 exec_lo, exec_lo, s6
	ds_load_b64 v[87:88], v100
	ds_load_b64 v[85:86], v107 offset:384
	v_cmp_gt_i32_e32 vcc_lo, s16, v93
	v_add_f32_e32 v13, 0, v13
	v_add_f32_e32 v21, 0, v21
	;; [unrolled: 1-line block ×3, first 2 shown]
	s_or_b32 s1, s17, vcc_lo
	s_delay_alu instid0(VALU_DEP_3) | instskip(SKIP_1) | instid1(VALU_DEP_2)
	v_add_f32_e32 v13, v13, v15
	s_and_b32 s6, s0, s1
	v_dual_add_f32 v5, v5, v7 :: v_dual_add_f32 v4, 0, v4
	s_delay_alu instid0(VALU_DEP_2) | instskip(NEXT) | instid1(VALU_DEP_2)
	v_add_f32_e32 v9, v13, v9
	v_dual_add_f32 v15, v5, v1 :: v_dual_add_f32 v4, v4, v6
	s_waitcnt vmcnt(0) lgkmcnt(1)
	v_mul_f32_e32 v90, v88, v79
	v_mul_f32_e32 v92, v88, v82
	;; [unrolled: 1-line block ×4, first 2 shown]
	v_dual_mul_f32 v91, v88, v78 :: v_dual_mul_f32 v160, v87, v84
	v_fmac_f32_e32 v90, v87, v80
	v_mul_f32_e32 v158, v88, v81
	v_dual_mul_f32 v159, v88, v84 :: v_dual_fmac_f32 v156, v87, v78
	v_fma_f32 v89, v87, v79, -v89
	v_fma_f32 v155, v87, v77, -v91
	s_delay_alu instid0(VALU_DEP_4)
	v_fmac_f32_e32 v158, v87, v82
	v_fma_f32 v157, v87, v81, -v92
	v_fma_f32 v159, v87, v83, -v159
	v_fmac_f32_e32 v160, v88, v83
	ds_store_b64 v108, v[89:90]
	ds_load_b64 v[91:92], v107 offset:392
	ds_store_b64 v108, v[155:156] offset:536
	ds_load_b64 v[89:90], v107 offset:400
	ds_store_b64 v108, v[157:158] offset:1072
	;; [unrolled: 2-line block ×3, first 2 shown]
	s_waitcnt lgkmcnt(0)
	s_barrier
	buffer_gl0_inv
	ds_load_2addr_b64 v[155:158], v103 offset1:1
	v_dual_add_f32 v160, v21, v23 :: v_dual_add_f32 v13, v4, v0
	v_dual_add_f32 v20, 0, v20 :: v_dual_add_f32 v3, v15, v3
	s_delay_alu instid0(VALU_DEP_2) | instskip(NEXT) | instid1(VALU_DEP_2)
	v_dual_add_f32 v7, v160, v17 :: v_dual_add_f32 v12, 0, v12
	v_add_f32_e32 v159, v20, v22
	ds_load_2addr_b64 v[20:23], v103 offset0:2 offset1:3
	v_dual_add_f32 v2, v13, v2 :: v_dual_add_f32 v1, v7, v19
	v_add_f32_e32 v12, v12, v14
	s_waitcnt lgkmcnt(0)
	s_barrier
	buffer_gl0_inv
	v_add_f32_e32 v8, v12, v8
	v_add_f32_e32 v12, 0, v155
	;; [unrolled: 1-line block ×4, first 2 shown]
	s_delay_alu instid0(VALU_DEP_4) | instskip(NEXT) | instid1(VALU_DEP_3)
	v_add_f32_e32 v4, v8, v10
	v_dual_add_f32 v5, v12, v157 :: v_dual_add_f32 v12, v14, v158
	s_delay_alu instid0(VALU_DEP_3) | instskip(NEXT) | instid1(VALU_DEP_2)
	v_add_f32_e32 v0, v6, v18
	v_dual_add_f32 v6, v5, v20 :: v_dual_add_f32 v7, v12, v21
	s_delay_alu instid0(VALU_DEP_1) | instskip(NEXT) | instid1(VALU_DEP_2)
	v_dual_add_f32 v5, v9, v11 :: v_dual_add_f32 v6, v6, v22
	v_add_f32_e32 v7, v7, v23
	ds_store_2addr_b64 v154, v[2:3], v[4:5] offset1:16
	ds_store_2addr_b64 v154, v[0:1], v[6:7] offset0:32 offset1:48
	s_waitcnt lgkmcnt(0)
	s_barrier
	buffer_gl0_inv
	s_and_saveexec_b32 s1, s6
	s_cbranch_execz .LBB182_156
; %bb.155:                              ;   in Loop: Header=BB182_106 Depth=1
	ds_load_b64 v[11:12], v101
	ds_load_2addr_b64 v[0:3], v101 offset0:1 offset1:2
	ds_load_2addr_b64 v[4:7], v101 offset0:3 offset1:4
	s_waitcnt lgkmcnt(1)
	v_dual_add_f32 v0, v0, v11 :: v_dual_add_f32 v1, v1, v12
	ds_load_2addr_b64 v[8:11], v101 offset0:5 offset1:6
	v_add_f32_e32 v0, v0, v2
	v_add_f32_e32 v12, v1, v3
	s_waitcnt lgkmcnt(1)
	s_delay_alu instid0(VALU_DEP_2) | instskip(SKIP_3) | instid1(VALU_DEP_2)
	v_add_f32_e32 v4, v0, v4
	ds_load_2addr_b64 v[0:3], v101 offset0:7 offset1:8
	v_add_f32_e32 v5, v12, v5
	v_add_f32_e32 v4, v4, v6
	;; [unrolled: 1-line block ×3, first 2 shown]
	s_waitcnt lgkmcnt(1)
	s_delay_alu instid0(VALU_DEP_2) | instskip(SKIP_3) | instid1(VALU_DEP_2)
	v_add_f32_e32 v8, v4, v8
	ds_load_2addr_b64 v[4:7], v101 offset0:9 offset1:10
	v_add_f32_e32 v9, v12, v9
	v_add_f32_e32 v8, v8, v10
	;; [unrolled: 1-line block ×3, first 2 shown]
	s_waitcnt lgkmcnt(1)
	s_delay_alu instid0(VALU_DEP_2) | instskip(SKIP_4) | instid1(VALU_DEP_1)
	v_add_f32_e32 v0, v8, v0
	ds_load_2addr_b64 v[8:11], v101 offset0:11 offset1:12
	v_add_f32_e32 v1, v12, v1
	v_add_f32_e32 v12, v0, v2
	s_waitcnt lgkmcnt(1)
	v_add_f32_e32 v4, v12, v4
	s_delay_alu instid0(VALU_DEP_1) | instskip(SKIP_1) | instid1(VALU_DEP_1)
	v_add_f32_e32 v6, v4, v6
	s_waitcnt lgkmcnt(0)
	v_add_f32_e32 v6, v6, v8
	s_delay_alu instid0(VALU_DEP_1) | instskip(SKIP_3) | instid1(VALU_DEP_1)
	v_dual_add_f32 v8, v6, v10 :: v_dual_add_f32 v13, v1, v3
	ds_load_2addr_b64 v[0:3], v101 offset0:13 offset1:14
	v_add_nc_u32_e32 v6, s18, v121
	v_add_f32_e32 v5, v13, v5
	v_add_f32_e32 v7, v5, v7
	ds_load_b64 v[4:5], v102
	v_add_f32_e32 v7, v7, v9
	s_waitcnt lgkmcnt(1)
	s_delay_alu instid0(VALU_DEP_1) | instskip(NEXT) | instid1(VALU_DEP_1)
	v_dual_add_f32 v7, v7, v11 :: v_dual_add_f32 v0, v8, v0
	v_add_f32_e32 v1, v7, v1
	v_ashrrev_i32_e32 v7, 31, v6
	s_delay_alu instid0(VALU_DEP_2) | instskip(NEXT) | instid1(VALU_DEP_2)
	v_dual_add_f32 v2, v0, v2 :: v_dual_add_f32 v3, v1, v3
	v_lshlrev_b64 v[0:1], 3, v[6:7]
	s_waitcnt lgkmcnt(0)
	s_delay_alu instid0(VALU_DEP_2) | instskip(NEXT) | instid1(VALU_DEP_2)
	v_dual_add_f32 v2, v2, v4 :: v_dual_add_f32 v3, v3, v5
	v_add_co_u32 v0, vcc_lo, s3, v0
	s_delay_alu instid0(VALU_DEP_3)
	v_add_co_ci_u32_e32 v1, vcc_lo, s8, v1, vcc_lo
	global_store_b64 v[0:1], v[2:3], off
.LBB182_156:                            ;   in Loop: Header=BB182_106 Depth=1
	s_or_b32 exec_lo, exec_lo, s1
	v_dual_mul_f32 v0, v38, v32 :: v_dual_mul_f32 v3, v44, v29
	v_dual_mul_f32 v1, v38, v31 :: v_dual_mul_f32 v2, v44, v30
	;; [unrolled: 1-line block ×3, first 2 shown]
	s_delay_alu instid0(VALU_DEP_3) | instskip(SKIP_1) | instid1(VALU_DEP_4)
	v_fma_f32 v0, v37, v31, -v0
	v_dual_mul_f32 v5, v42, v33 :: v_dual_mul_f32 v6, v40, v36
	v_fma_f32 v2, v43, v29, -v2
	v_fmac_f32_e32 v1, v37, v32
	s_delay_alu instid0(VALU_DEP_4) | instskip(SKIP_3) | instid1(VALU_DEP_4)
	v_dual_add_f32 v0, v26, v0 :: v_dual_fmac_f32 v3, v43, v30
	v_mul_f32_e32 v9, v54, v47
	v_fma_f32 v4, v41, v33, -v4
	v_fma_f32 v6, v39, v35, -v6
	v_add_f32_e32 v0, v0, v2
	v_mul_f32_e32 v2, v60, v46
	v_dual_mul_f32 v8, v54, v48 :: v_dual_add_f32 v1, v27, v1
	s_delay_alu instid0(VALU_DEP_3) | instskip(SKIP_1) | instid1(VALU_DEP_4)
	v_dual_fmac_f32 v5, v41, v34 :: v_dual_add_f32 v0, v0, v4
	v_mul_f32_e32 v4, v60, v45
	v_fma_f32 v2, v59, v45, -v2
	s_delay_alu instid0(VALU_DEP_4) | instskip(SKIP_2) | instid1(VALU_DEP_3)
	v_add_f32_e32 v1, v1, v3
	v_fma_f32 v3, v53, v47, -v8
	v_dual_add_f32 v0, v0, v6 :: v_dual_fmac_f32 v7, v39, v36
	v_dual_mul_f32 v6, v58, v50 :: v_dual_add_f32 v1, v1, v5
	s_delay_alu instid0(VALU_DEP_2) | instskip(SKIP_1) | instid1(VALU_DEP_3)
	v_dual_fmac_f32 v9, v53, v48 :: v_dual_add_f32 v0, v0, v3
	v_mul_f32_e32 v3, v56, v52
	v_fma_f32 v5, v57, v49, -v6
	s_delay_alu instid0(VALU_DEP_4) | instskip(SKIP_3) | instid1(VALU_DEP_4)
	v_add_f32_e32 v1, v1, v7
	v_add_co_u32 v122, vcc_lo, v122, s4
	v_add_f32_e32 v0, v0, v2
	v_mul_f32_e32 v2, v58, v49
	v_dual_fmac_f32 v4, v59, v46 :: v_dual_add_f32 v1, v1, v9
	v_fma_f32 v3, v55, v51, -v3
	s_delay_alu instid0(VALU_DEP_4) | instskip(NEXT) | instid1(VALU_DEP_4)
	v_dual_add_f32 v0, v0, v5 :: v_dual_mul_f32 v5, v70, v64
	v_fmac_f32_e32 v2, v57, v50
	s_delay_alu instid0(VALU_DEP_4) | instskip(NEXT) | instid1(VALU_DEP_3)
	v_dual_add_f32 v1, v1, v4 :: v_dual_mul_f32 v4, v56, v51
	v_add_f32_e32 v0, v0, v3
	s_delay_alu instid0(VALU_DEP_4) | instskip(SKIP_3) | instid1(VALU_DEP_4)
	v_fma_f32 v3, v69, v63, -v5
	v_mul_f32_e32 v5, v76, v62
	v_add_co_ci_u32_e32 v123, vcc_lo, s5, v123, vcc_lo
	v_fmac_f32_e32 v4, v55, v52
	v_add_f32_e32 v0, v0, v3
	s_delay_alu instid0(VALU_DEP_4) | instskip(SKIP_3) | instid1(VALU_DEP_4)
	v_fma_f32 v3, v75, v61, -v5
	v_mul_f32_e32 v5, v74, v66
	v_add_co_u32 v124, vcc_lo, v124, s4
	v_add_co_ci_u32_e32 v125, vcc_lo, s5, v125, vcc_lo
	v_add_f32_e32 v0, v0, v3
	s_delay_alu instid0(VALU_DEP_4) | instskip(SKIP_3) | instid1(VALU_DEP_2)
	v_fma_f32 v3, v73, v65, -v5
	v_mul_f32_e32 v5, v72, v68
	v_dual_add_f32 v1, v1, v2 :: v_dual_mul_f32 v2, v70, v63
	v_add_co_u32 v126, vcc_lo, v126, s4
	v_dual_add_f32 v0, v0, v3 :: v_dual_add_f32 v1, v1, v4
	s_delay_alu instid0(VALU_DEP_3)
	v_fmac_f32_e32 v2, v69, v64
	v_fma_f32 v3, v71, v67, -v5
	v_mul_f32_e32 v5, v72, v67
	v_mul_f32_e32 v4, v76, v61
	v_add_co_ci_u32_e32 v127, vcc_lo, s5, v127, vcc_lo
	v_dual_add_f32 v1, v1, v2 :: v_dual_mul_f32 v2, v74, v65
	v_add_f32_e32 v0, v0, v3
	v_mul_f32_e32 v3, v92, v78
	v_fmac_f32_e32 v5, v71, v68
	v_fmac_f32_e32 v4, v75, v62
	v_fmac_f32_e32 v2, v73, v66
	v_add_co_u32 v128, vcc_lo, v128, s4
	v_add_co_ci_u32_e32 v129, vcc_lo, s5, v129, vcc_lo
	s_delay_alu instid0(VALU_DEP_4)
	v_add_f32_e32 v1, v1, v4
	v_mul_f32_e32 v4, v86, v80
	v_add_co_u32 v130, vcc_lo, v130, s4
	v_add_co_ci_u32_e32 v131, vcc_lo, s5, v131, vcc_lo
	v_add_co_u32 v132, vcc_lo, v132, s4
	v_add_f32_e32 v1, v1, v2
	v_fma_f32 v2, v85, v79, -v4
	v_add_co_ci_u32_e32 v133, vcc_lo, s5, v133, vcc_lo
	v_add_co_u32 v134, vcc_lo, v134, s4
	v_add_co_ci_u32_e32 v135, vcc_lo, s5, v135, vcc_lo
	v_add_co_u32 v136, vcc_lo, v136, s4
	v_add_f32_e32 v1, v1, v5
	v_mul_f32_e32 v5, v90, v82
	v_add_f32_e32 v0, v0, v2
	v_fma_f32 v2, v91, v77, -v3
	v_dual_mul_f32 v3, v92, v77 :: v_dual_mul_f32 v4, v86, v79
	v_add_co_ci_u32_e32 v137, vcc_lo, s5, v137, vcc_lo
	v_add_co_u32 v138, vcc_lo, v138, s4
	s_delay_alu instid0(VALU_DEP_3)
	v_fmac_f32_e32 v3, v91, v78
	v_add_co_ci_u32_e32 v139, vcc_lo, s5, v139, vcc_lo
	v_fmac_f32_e32 v4, v85, v80
	v_add_co_u32 v140, vcc_lo, v140, s4
	v_add_co_ci_u32_e32 v141, vcc_lo, s5, v141, vcc_lo
	v_add_co_u32 v142, vcc_lo, v142, s4
	s_delay_alu instid0(VALU_DEP_4)
	v_dual_add_f32 v1, v1, v4 :: v_dual_add_f32 v0, v0, v2
	v_mul_f32_e32 v2, v90, v81
	v_add_co_ci_u32_e32 v143, vcc_lo, s5, v143, vcc_lo
	v_add_co_u32 v144, vcc_lo, v144, s4
	v_add_co_ci_u32_e32 v145, vcc_lo, s5, v145, vcc_lo
	v_add_co_u32 v146, vcc_lo, v146, s4
	v_fma_f32 v4, v89, v81, -v5
	v_dual_mul_f32 v5, v88, v84 :: v_dual_fmac_f32 v2, v89, v82
	v_add_f32_e32 v1, v1, v3
	v_mul_f32_e32 v6, v88, v83
	v_add_co_ci_u32_e32 v147, vcc_lo, s5, v147, vcc_lo
	v_add_co_u32 v148, vcc_lo, v148, s4
	s_delay_alu instid0(VALU_DEP_4)
	v_add_f32_e32 v1, v1, v2
	v_add_co_ci_u32_e32 v149, vcc_lo, s5, v149, vcc_lo
	v_fma_f32 v3, v87, v83, -v5
	v_fmac_f32_e32 v6, v87, v84
	v_add_f32_e32 v0, v0, v4
	v_add_co_u32 v150, vcc_lo, v150, s4
	v_add_co_ci_u32_e32 v151, vcc_lo, s5, v151, vcc_lo
	s_delay_alu instid0(VALU_DEP_4)
	v_add_f32_e32 v27, v1, v6
	v_add_co_u32 v152, vcc_lo, v152, s4
	v_add_f32_e32 v26, v0, v3
	v_add_co_ci_u32_e32 v153, vcc_lo, s5, v153, vcc_lo
	s_add_i32 s6, s14, 2
	s_add_i32 s1, s14, 1
	s_add_i32 s18, s18, 64
	s_cmp_ge_u32 s6, s15
	s_waitcnt_vscnt null, 0x0
	s_barrier
	buffer_gl0_inv
	s_cbranch_scc1 .LBB182_158
; %bb.157:                              ;   in Loop: Header=BB182_106 Depth=1
	s_mov_b32 s14, s1
	s_delay_alu instid0(SALU_CYCLE_1)
	s_cmp_eq_u32 s13, s14
	s_cselect_b32 s16, s21, 0
	s_and_saveexec_b32 s1, s2
	s_cbranch_execnz .LBB182_102
	s_branch .LBB182_106
.LBB182_158:
	v_cmp_gt_i32_e32 vcc_lo, s12, v93
	v_mad_u32_u24 v0, 0x218, v94, v95
	s_or_b32 s0, s9, vcc_lo
	ds_store_b64 v0, v[26:27]
	s_and_b32 s0, s2, s0
	s_waitcnt lgkmcnt(0)
	s_barrier
	buffer_gl0_inv
	s_and_saveexec_b32 s1, s0
	s_cbranch_execz .LBB182_160
; %bb.159:
	ds_load_2addr_b64 v[0:3], v95 offset1:67
	ds_load_2addr_b64 v[4:7], v95 offset0:134 offset1:201
	s_waitcnt lgkmcnt(1)
	v_dual_add_f32 v0, v2, v0 :: v_dual_add_f32 v1, v3, v1
	s_waitcnt lgkmcnt(0)
	s_delay_alu instid0(VALU_DEP_1) | instskip(SKIP_1) | instid1(VALU_DEP_2)
	v_dual_add_f32 v2, v0, v4 :: v_dual_add_f32 v3, v1, v5
	v_lshlrev_b64 v[0:1], 3, v[24:25]
	v_dual_add_f32 v2, v2, v6 :: v_dual_add_f32 v3, v3, v7
	s_delay_alu instid0(VALU_DEP_2) | instskip(NEXT) | instid1(VALU_DEP_3)
	v_add_co_u32 v0, vcc_lo, s3, v0
	v_add_co_ci_u32_e32 v1, vcc_lo, s8, v1, vcc_lo
	global_store_b64 v[0:1], v[2:3], off
.LBB182_160:
	s_nop 0
	s_sendmsg sendmsg(MSG_DEALLOC_VGPRS)
	s_endpgm
	.section	.rodata,"a",@progbits
	.p2align	6, 0x0
	.amdhsa_kernel _ZL26rocblas_hemvn_kernel_upperILb0ELi64ELi4ELi33ELi32ELi16El19rocblas_complex_numIfEPKPKS1_PS1_EviT6_lT7_lT5_lS8_lS9_lS7_lT8_i
		.amdhsa_group_segment_fixed_size 9600
		.amdhsa_private_segment_fixed_size 0
		.amdhsa_kernarg_size 376
		.amdhsa_user_sgpr_count 14
		.amdhsa_user_sgpr_dispatch_ptr 0
		.amdhsa_user_sgpr_queue_ptr 0
		.amdhsa_user_sgpr_kernarg_segment_ptr 1
		.amdhsa_user_sgpr_dispatch_id 0
		.amdhsa_user_sgpr_private_segment_size 0
		.amdhsa_wavefront_size32 1
		.amdhsa_uses_dynamic_stack 0
		.amdhsa_enable_private_segment 0
		.amdhsa_system_sgpr_workgroup_id_x 1
		.amdhsa_system_sgpr_workgroup_id_y 0
		.amdhsa_system_sgpr_workgroup_id_z 1
		.amdhsa_system_sgpr_workgroup_info 0
		.amdhsa_system_vgpr_workitem_id 1
		.amdhsa_next_free_vgpr 161
		.amdhsa_next_free_sgpr 30
		.amdhsa_reserve_vcc 1
		.amdhsa_float_round_mode_32 0
		.amdhsa_float_round_mode_16_64 0
		.amdhsa_float_denorm_mode_32 3
		.amdhsa_float_denorm_mode_16_64 3
		.amdhsa_dx10_clamp 1
		.amdhsa_ieee_mode 1
		.amdhsa_fp16_overflow 0
		.amdhsa_workgroup_processor_mode 1
		.amdhsa_memory_ordered 1
		.amdhsa_forward_progress 0
		.amdhsa_shared_vgpr_count 0
		.amdhsa_exception_fp_ieee_invalid_op 0
		.amdhsa_exception_fp_denorm_src 0
		.amdhsa_exception_fp_ieee_div_zero 0
		.amdhsa_exception_fp_ieee_overflow 0
		.amdhsa_exception_fp_ieee_underflow 0
		.amdhsa_exception_fp_ieee_inexact 0
		.amdhsa_exception_int_div_zero 0
	.end_amdhsa_kernel
	.section	.text._ZL26rocblas_hemvn_kernel_upperILb0ELi64ELi4ELi33ELi32ELi16El19rocblas_complex_numIfEPKPKS1_PS1_EviT6_lT7_lT5_lS8_lS9_lS7_lT8_i,"axG",@progbits,_ZL26rocblas_hemvn_kernel_upperILb0ELi64ELi4ELi33ELi32ELi16El19rocblas_complex_numIfEPKPKS1_PS1_EviT6_lT7_lT5_lS8_lS9_lS7_lT8_i,comdat
.Lfunc_end182:
	.size	_ZL26rocblas_hemvn_kernel_upperILb0ELi64ELi4ELi33ELi32ELi16El19rocblas_complex_numIfEPKPKS1_PS1_EviT6_lT7_lT5_lS8_lS9_lS7_lT8_i, .Lfunc_end182-_ZL26rocblas_hemvn_kernel_upperILb0ELi64ELi4ELi33ELi32ELi16El19rocblas_complex_numIfEPKPKS1_PS1_EviT6_lT7_lT5_lS8_lS9_lS7_lT8_i
                                        ; -- End function
	.section	.AMDGPU.csdata,"",@progbits
; Kernel info:
; codeLenInByte = 10040
; NumSgprs: 32
; NumVgprs: 161
; ScratchSize: 0
; MemoryBound: 1
; FloatMode: 240
; IeeeMode: 1
; LDSByteSize: 9600 bytes/workgroup (compile time only)
; SGPRBlocks: 3
; VGPRBlocks: 20
; NumSGPRsForWavesPerEU: 32
; NumVGPRsForWavesPerEU: 161
; Occupancy: 9
; WaveLimiterHint : 0
; COMPUTE_PGM_RSRC2:SCRATCH_EN: 0
; COMPUTE_PGM_RSRC2:USER_SGPR: 14
; COMPUTE_PGM_RSRC2:TRAP_HANDLER: 0
; COMPUTE_PGM_RSRC2:TGID_X_EN: 1
; COMPUTE_PGM_RSRC2:TGID_Y_EN: 0
; COMPUTE_PGM_RSRC2:TGID_Z_EN: 1
; COMPUTE_PGM_RSRC2:TIDIG_COMP_CNT: 1
	.section	.text._ZL26rocblas_hemvn_kernel_upperILb0ELi64ELi4ELi33ELi32ELi16Ei19rocblas_complex_numIfEPKPKS1_PS1_EviT6_lT7_lT5_lS8_lS9_lS7_lT8_i,"axG",@progbits,_ZL26rocblas_hemvn_kernel_upperILb0ELi64ELi4ELi33ELi32ELi16Ei19rocblas_complex_numIfEPKPKS1_PS1_EviT6_lT7_lT5_lS8_lS9_lS7_lT8_i,comdat
	.globl	_ZL26rocblas_hemvn_kernel_upperILb0ELi64ELi4ELi33ELi32ELi16Ei19rocblas_complex_numIfEPKPKS1_PS1_EviT6_lT7_lT5_lS8_lS9_lS7_lT8_i ; -- Begin function _ZL26rocblas_hemvn_kernel_upperILb0ELi64ELi4ELi33ELi32ELi16Ei19rocblas_complex_numIfEPKPKS1_PS1_EviT6_lT7_lT5_lS8_lS9_lS7_lT8_i
	.p2align	8
	.type	_ZL26rocblas_hemvn_kernel_upperILb0ELi64ELi4ELi33ELi32ELi16Ei19rocblas_complex_numIfEPKPKS1_PS1_EviT6_lT7_lT5_lS8_lS9_lS7_lT8_i,@function
_ZL26rocblas_hemvn_kernel_upperILb0ELi64ELi4ELi33ELi32ELi16Ei19rocblas_complex_numIfEPKPKS1_PS1_EviT6_lT7_lT5_lS8_lS9_lS7_lT8_i: ; @_ZL26rocblas_hemvn_kernel_upperILb0ELi64ELi4ELi33ELi32ELi16Ei19rocblas_complex_numIfEPKPKS1_PS1_EviT6_lT7_lT5_lS8_lS9_lS7_lT8_i
; %bb.0:
	s_load_b64 s[4:5], s[0:1], 0x84
	s_add_u32 s2, s0, 0x78
	s_addc_u32 s3, s1, 0
	s_waitcnt lgkmcnt(0)
	s_lshr_b32 s6, s4, 16
	s_and_b32 s4, s4, 0xffff
	s_and_b32 s5, s5, 0xffff
	s_mul_i32 s4, s6, s4
	s_delay_alu instid0(SALU_CYCLE_1) | instskip(NEXT) | instid1(SALU_CYCLE_1)
	s_mul_i32 s4, s4, s5
	s_cmpk_lg_i32 s4, 0x100
	s_cbranch_scc1 .LBB183_160
; %bb.1:
	s_load_b64 s[4:5], s[0:1], 0x4
	s_mov_b32 s16, s15
	s_mov_b32 s7, 0
	s_waitcnt lgkmcnt(0)
	s_or_b32 s4, s4, s5
	s_delay_alu instid0(SALU_CYCLE_1) | instskip(NEXT) | instid1(SALU_CYCLE_1)
	s_bitset0_b32 s4, 31
	s_cmp_lg_u32 s4, 0
	s_cselect_b32 s6, -1, 0
	s_delay_alu instid0(SALU_CYCLE_1)
	s_and_b32 vcc_lo, exec_lo, s6
	s_cbranch_vccnz .LBB183_4
; %bb.2:
	s_load_b64 s[4:5], s[0:1], 0x58
	s_mov_b32 s8, 0
	s_waitcnt lgkmcnt(0)
	v_cmp_eq_f32_e64 s4, s4, 1.0
	v_cmp_eq_f32_e64 s5, s5, 0
	s_delay_alu instid0(VALU_DEP_1) | instskip(NEXT) | instid1(SALU_CYCLE_1)
	s_and_b32 s4, s4, s5
	s_and_not1_b32 vcc_lo, exec_lo, s4
                                        ; implicit-def: $sgpr4_sgpr5
	s_cbranch_vccz .LBB183_5
; %bb.3:
	s_mov_b32 s7, -1
	s_mov_b64 s[4:5], 0
	s_branch .LBB183_5
.LBB183_4:
	s_mov_b32 s8, -1
                                        ; implicit-def: $sgpr4_sgpr5
.LBB183_5:
	s_delay_alu instid0(SALU_CYCLE_1)
	s_and_b32 vcc_lo, exec_lo, s8
	s_cbranch_vccz .LBB183_7
; %bb.6:
	s_load_b128 s[8:11], s[0:1], 0x18
	s_mov_b32 s17, 0
	s_mov_b32 s7, -1
	s_lshl_b64 s[4:5], s[16:17], 3
	s_waitcnt lgkmcnt(0)
	s_add_u32 s4, s8, s4
	s_addc_u32 s5, s9, s5
	s_lshl_b64 s[8:9], s[10:11], 3
	s_load_b64 s[4:5], s[4:5], 0x0
	s_waitcnt lgkmcnt(0)
	s_add_u32 s4, s4, s8
	s_addc_u32 s5, s5, s9
.LBB183_7:
	s_and_not1_b32 vcc_lo, exec_lo, s7
	s_cbranch_vccnz .LBB183_160
; %bb.8:
	v_cndmask_b32_e64 v1, 0, 1, s6
	s_and_not1_b32 vcc_lo, exec_lo, s6
	s_mov_b64 s[6:7], 0
	s_cbranch_vccnz .LBB183_10
; %bb.9:
	s_load_b128 s[8:11], s[0:1], 0x38
	s_mov_b32 s17, 0
	s_delay_alu instid0(SALU_CYCLE_1)
	s_lshl_b64 s[6:7], s[16:17], 3
	s_waitcnt lgkmcnt(0)
	s_add_u32 s6, s8, s6
	s_addc_u32 s7, s9, s7
	s_lshl_b64 s[8:9], s[10:11], 3
	s_load_b64 s[6:7], s[6:7], 0x0
	s_waitcnt lgkmcnt(0)
	s_add_u32 s6, s6, s8
	s_addc_u32 s7, s7, s9
.LBB183_10:
	s_delay_alu instid0(VALU_DEP_1)
	v_cmp_ne_u32_e32 vcc_lo, 1, v1
	s_cbranch_vccnz .LBB183_160
; %bb.11:
	s_clause 0x1
	s_load_b32 s17, s[0:1], 0x48
	s_load_b32 s9, s[0:1], 0x0
	v_and_b32_e32 v25, 0x3ff, v0
	s_lshl_b32 s18, s14, 6
	s_load_b32 s15, s[2:3], 0x0
	v_bfe_u32 v95, v0, 10, 10
	s_delay_alu instid0(VALU_DEP_2) | instskip(SKIP_1) | instid1(VALU_DEP_1)
	v_add_nc_u32_e32 v24, s18, v25
	s_waitcnt lgkmcnt(0)
	v_mul_lo_u32 v1, v24, s17
	s_ashr_i32 s26, s9, 31
	s_delay_alu instid0(SALU_CYCLE_1) | instskip(SKIP_2) | instid1(SALU_CYCLE_1)
	s_lshr_b32 s2, s26, 26
	s_add_i32 s3, s15, -1
	s_add_i32 s2, s9, s2
	s_and_not1_b32 s2, s2, 63
	s_delay_alu instid0(VALU_DEP_1)
	v_ashrrev_i32_e32 v2, 31, v1
	s_sub_i32 s28, s9, s2
	v_cmp_eq_u32_e64 s2, 0, v95
	s_cmp_eq_u32 s14, s3
	s_cselect_b32 s10, s28, 0
	v_lshlrev_b64 v[1:2], 3, v[1:2]
	s_delay_alu instid0(VALU_DEP_1) | instskip(NEXT) | instid1(VALU_DEP_2)
	v_add_co_u32 v12, vcc_lo, s6, v1
	v_add_co_ci_u32_e32 v13, vcc_lo, s7, v2, vcc_lo
	s_mov_b32 s6, -1
	s_and_saveexec_b32 s3, s2
	s_cbranch_execz .LBB183_16
; %bb.12:
	v_cmp_le_i32_e32 vcc_lo, s10, v25
	s_cmp_lg_u32 s10, 0
	v_lshl_add_u32 v0, v25, 3, 0x2380
	s_cselect_b32 s7, -1, 0
	s_delay_alu instid0(SALU_CYCLE_1) | instskip(NEXT) | instid1(SALU_CYCLE_1)
	s_and_b32 s7, s7, vcc_lo
	s_and_saveexec_b32 s8, s7
	s_delay_alu instid0(SALU_CYCLE_1)
	s_xor_b32 s7, exec_lo, s8
	s_cbranch_execz .LBB183_14
; %bb.13:
	v_mov_b32_e32 v1, 0
	s_delay_alu instid0(VALU_DEP_1)
	v_mov_b32_e32 v2, v1
	ds_store_b64 v0, v[1:2]
                                        ; implicit-def: $vgpr0
.LBB183_14:
	s_and_not1_saveexec_b32 s7, s7
	s_cbranch_execz .LBB183_16
; %bb.15:
	flat_load_b64 v[1:2], v[12:13]
	s_waitcnt vmcnt(0) lgkmcnt(0)
	ds_store_b64 v0, v[1:2]
.LBB183_16:
	s_or_b32 exec_lo, exec_lo, s3
	s_load_b32 s12, s[0:1], 0x28
	v_lshl_add_u32 v22, v95, 6, v25
	v_and_b32_e32 v0, 31, v25
	s_ashr_i32 s19, s18, 31
	s_delay_alu instid0(SALU_CYCLE_1) | instskip(NEXT) | instid1(VALU_DEP_2)
	s_lshl_b64 s[20:21], s[18:19], 3
	v_lshrrev_b32_e32 v7, 5, v22
	s_add_u32 s3, s4, s20
	s_addc_u32 s7, s5, s21
	v_lshlrev_b32_e32 v9, 3, v0
	s_delay_alu instid0(VALU_DEP_2) | instskip(SKIP_3) | instid1(SALU_CYCLE_1)
	v_mul_u32_u24_e32 v8, 33, v7
	s_waitcnt lgkmcnt(0)
	v_mad_u64_u32 v[1:2], null, v7, s12, v[0:1]
	s_mul_i32 s4, s18, s12
	s_ashr_i32 s5, s4, 31
	s_delay_alu instid0(SALU_CYCLE_1) | instskip(NEXT) | instid1(SALU_CYCLE_1)
	s_lshl_b64 s[4:5], s[4:5], 3
	s_add_u32 s4, s4, s3
	s_delay_alu instid0(VALU_DEP_1)
	v_ashrrev_i32_e32 v2, 31, v1
	s_addc_u32 s5, s5, s7
	s_cmp_eq_u32 s10, 0
	v_cmp_gt_i32_e64 s3, s10, v0
	s_cselect_b32 s29, -1, 0
	v_lshlrev_b64 v[14:15], 3, v[1:2]
	s_cmp_lg_u32 s10, 0
	s_cselect_b32 s19, -1, 0
	s_delay_alu instid0(SALU_CYCLE_1) | instskip(NEXT) | instid1(VALU_DEP_1)
	s_and_b32 vcc_lo, exec_lo, s19
	v_add_co_u32 v3, s4, s4, v14
	s_delay_alu instid0(VALU_DEP_1)
	v_add_co_ci_u32_e64 v4, s4, s5, v15, s4
	s_cbranch_vccz .LBB183_34
; %bb.17:
	s_delay_alu instid0(VALU_DEP_2) | instskip(SKIP_1) | instid1(VALU_DEP_2)
	v_sub_co_u32 v1, vcc_lo, v3, v9
	s_ashr_i32 s11, s10, 31
	v_subrev_co_ci_u32_e32 v2, vcc_lo, 0, v4, vcc_lo
	s_lshl_b64 s[4:5], s[10:11], 3
	v_add_lshl_u32 v5, v8, v0, 3
	v_add_co_u32 v1, vcc_lo, v1, s4
	s_delay_alu instid0(VALU_DEP_3) | instskip(SKIP_1) | instid1(VALU_DEP_2)
	v_add_co_ci_u32_e32 v2, vcc_lo, s5, v2, vcc_lo
	s_mov_b32 s6, exec_lo
	v_add_co_u32 v1, vcc_lo, v1, -8
	s_delay_alu instid0(VALU_DEP_2) | instskip(NEXT) | instid1(VALU_DEP_2)
	v_add_co_ci_u32_e32 v2, vcc_lo, -1, v2, vcc_lo
	v_cndmask_b32_e64 v1, v1, v3, s3
	s_delay_alu instid0(VALU_DEP_2)
	v_cndmask_b32_e64 v2, v2, v4, s3
	v_cmpx_le_i32_e64 s10, v7
	s_xor_b32 s6, exec_lo, s6
	s_cbranch_execz .LBB183_19
; %bb.18:
	v_mov_b32_e32 v10, 0
	s_delay_alu instid0(VALU_DEP_1)
	v_mov_b32_e32 v11, v10
	ds_store_b64 v5, v[10:11]
.LBB183_19:
	s_and_not1_saveexec_b32 s6, s6
	s_cbranch_execz .LBB183_21
; %bb.20:
	flat_load_b64 v[10:11], v[1:2]
	s_waitcnt vmcnt(0) lgkmcnt(0)
	ds_store_b64 v5, v[10:11]
.LBB183_21:
	s_or_b32 exec_lo, exec_lo, s6
	v_add_nc_u32_e32 v6, 8, v7
	s_mov_b32 s6, exec_lo
	s_delay_alu instid0(VALU_DEP_1)
	v_cmpx_le_i32_e64 s10, v6
	s_xor_b32 s6, exec_lo, s6
	s_cbranch_execz .LBB183_23
; %bb.22:
	v_mul_u32_u24_e32 v6, 33, v6
	v_mov_b32_e32 v10, 0
	s_delay_alu instid0(VALU_DEP_2) | instskip(NEXT) | instid1(VALU_DEP_2)
	v_add_lshl_u32 v6, v6, v0, 3
	v_mov_b32_e32 v11, v10
	ds_store_b64 v6, v[10:11]
.LBB183_23:
	s_and_not1_saveexec_b32 s6, s6
	s_cbranch_execz .LBB183_25
; %bb.24:
	s_lshl_b32 s20, s12, 3
	s_delay_alu instid0(SALU_CYCLE_1) | instskip(NEXT) | instid1(SALU_CYCLE_1)
	s_ashr_i32 s21, s20, 31
	s_lshl_b64 s[20:21], s[20:21], 3
	s_delay_alu instid0(SALU_CYCLE_1)
	v_add_co_u32 v10, vcc_lo, v1, s20
	v_add_co_ci_u32_e32 v11, vcc_lo, s21, v2, vcc_lo
	flat_load_b64 v[10:11], v[10:11]
	s_waitcnt vmcnt(0) lgkmcnt(0)
	ds_store_b64 v5, v[10:11] offset:2112
.LBB183_25:
	s_or_b32 exec_lo, exec_lo, s6
	v_add_nc_u32_e32 v6, 16, v7
	s_mov_b32 s6, exec_lo
	s_delay_alu instid0(VALU_DEP_1)
	v_cmpx_le_i32_e64 s10, v6
	s_xor_b32 s6, exec_lo, s6
	s_cbranch_execz .LBB183_27
; %bb.26:
	v_mul_u32_u24_e32 v6, 33, v6
	v_mov_b32_e32 v10, 0
	s_delay_alu instid0(VALU_DEP_2) | instskip(NEXT) | instid1(VALU_DEP_2)
	v_add_lshl_u32 v6, v6, v0, 3
	v_mov_b32_e32 v11, v10
	ds_store_b64 v6, v[10:11]
.LBB183_27:
	s_and_not1_saveexec_b32 s6, s6
	s_cbranch_execz .LBB183_29
; %bb.28:
	s_lshl_b32 s20, s12, 4
	s_delay_alu instid0(SALU_CYCLE_1) | instskip(NEXT) | instid1(SALU_CYCLE_1)
	s_ashr_i32 s21, s20, 31
	s_lshl_b64 s[20:21], s[20:21], 3
	s_delay_alu instid0(SALU_CYCLE_1)
	v_add_co_u32 v10, vcc_lo, v1, s20
	v_add_co_ci_u32_e32 v11, vcc_lo, s21, v2, vcc_lo
	flat_load_b64 v[10:11], v[10:11]
	s_waitcnt vmcnt(0) lgkmcnt(0)
	ds_store_b64 v5, v[10:11] offset:4224
.LBB183_29:
	s_or_b32 exec_lo, exec_lo, s6
	v_add_nc_u32_e32 v6, 24, v7
	s_mov_b32 s6, exec_lo
	s_delay_alu instid0(VALU_DEP_1)
	v_cmpx_le_i32_e64 s10, v6
	s_xor_b32 s6, exec_lo, s6
	s_cbranch_execz .LBB183_31
; %bb.30:
	v_mov_b32_e32 v10, 0
	s_delay_alu instid0(VALU_DEP_1)
	v_mov_b32_e32 v11, v10
	ds_store_b64 v5, v[10:11] offset:6336
                                        ; implicit-def: $vgpr5
.LBB183_31:
	s_and_not1_saveexec_b32 s6, s6
	s_cbranch_execz .LBB183_33
; %bb.32:
	s_mul_i32 s20, s12, 24
	s_delay_alu instid0(SALU_CYCLE_1) | instskip(NEXT) | instid1(SALU_CYCLE_1)
	s_ashr_i32 s21, s20, 31
	s_lshl_b64 s[20:21], s[20:21], 3
	s_delay_alu instid0(SALU_CYCLE_1)
	v_add_co_u32 v10, vcc_lo, v1, s20
	v_add_co_ci_u32_e32 v11, vcc_lo, s21, v2, vcc_lo
	flat_load_b64 v[10:11], v[10:11]
	s_waitcnt vmcnt(0) lgkmcnt(0)
	ds_store_b64 v5, v[10:11] offset:6336
.LBB183_33:
	s_or_b32 exec_lo, exec_lo, s6
	v_add_co_u32 v1, vcc_lo, v1, v9
	v_add_co_ci_u32_e32 v2, vcc_lo, 0, v2, vcc_lo
	s_delay_alu instid0(VALU_DEP_2) | instskip(NEXT) | instid1(VALU_DEP_2)
	v_sub_co_u32 v1, vcc_lo, v1, s4
	v_subrev_co_ci_u32_e32 v2, vcc_lo, s5, v2, vcc_lo
	s_delay_alu instid0(VALU_DEP_2) | instskip(NEXT) | instid1(VALU_DEP_2)
	v_add_co_u32 v1, vcc_lo, v1, 8
	v_add_co_ci_u32_e32 v2, vcc_lo, 0, v2, vcc_lo
	s_delay_alu instid0(VALU_DEP_2) | instskip(NEXT) | instid1(VALU_DEP_2)
	v_cndmask_b32_e64 v1, v1, v3, s3
	v_cndmask_b32_e64 v2, v2, v4, s3
	s_branch .LBB183_36
.LBB183_34:
                                        ; implicit-def: $vgpr1_vgpr2
	s_and_b32 vcc_lo, exec_lo, s6
	s_cbranch_vccz .LBB183_36
; %bb.35:
	flat_load_b64 v[1:2], v[3:4]
	s_lshl_b32 s4, s12, 3
	v_add_lshl_u32 v10, v8, v0, 3
	s_ashr_i32 s5, s4, 31
	s_ashr_i32 s13, s12, 31
	s_lshl_b64 s[4:5], s[4:5], 3
	s_delay_alu instid0(SALU_CYCLE_1)
	v_add_co_u32 v5, vcc_lo, v3, s4
	v_add_co_ci_u32_e32 v6, vcc_lo, s5, v4, vcc_lo
	s_lshl_b64 s[4:5], s[12:13], 6
	s_waitcnt vmcnt(0) lgkmcnt(0)
	ds_store_b64 v10, v[1:2]
	flat_load_b64 v[1:2], v[5:6]
	v_add_co_u32 v5, vcc_lo, v5, s4
	v_add_co_ci_u32_e32 v6, vcc_lo, s5, v6, vcc_lo
	s_waitcnt vmcnt(0) lgkmcnt(0)
	ds_store_b64 v10, v[1:2] offset:2112
	flat_load_b64 v[1:2], v[5:6]
	v_add_co_u32 v5, vcc_lo, v5, s4
	v_add_co_ci_u32_e32 v6, vcc_lo, s5, v6, vcc_lo
	s_waitcnt vmcnt(0) lgkmcnt(0)
	ds_store_b64 v10, v[1:2] offset:4224
	flat_load_b64 v[5:6], v[5:6]
	v_dual_mov_b32 v1, v3 :: v_dual_mov_b32 v2, v4
	s_waitcnt vmcnt(0) lgkmcnt(0)
	ds_store_b64 v10, v[5:6] offset:6336
.LBB183_36:
	v_lshlrev_b32_e32 v3, 2, v7
	v_mul_u32_u24_e32 v10, 33, v0
	v_mul_u32_u24_e32 v4, 0x84, v7
	s_waitcnt lgkmcnt(0)
	s_barrier
	v_cmp_gt_u32_e64 s4, v3, v0
	v_add_lshl_u32 v16, v3, v10, 3
	buffer_gl0_inv
	s_and_saveexec_b32 s3, s4
	s_cbranch_execz .LBB183_38
; %bb.37:
	v_add_lshl_u32 v5, v4, v0, 3
	ds_load_b64 v[5:6], v5
	s_waitcnt lgkmcnt(0)
	ds_store_b64 v16, v[5:6]
.LBB183_38:
	s_or_b32 exec_lo, exec_lo, s3
	v_cmp_ge_u32_e64 s5, v3, v0
	s_delay_alu instid0(VALU_DEP_1)
	s_and_saveexec_b32 s3, s5
	s_cbranch_execz .LBB183_40
; %bb.39:
	v_or_b32_e32 v5, 1, v3
	s_delay_alu instid0(VALU_DEP_1) | instskip(NEXT) | instid1(VALU_DEP_1)
	v_mul_u32_u24_e32 v5, 33, v5
	v_add_lshl_u32 v5, v5, v0, 3
	ds_load_b64 v[5:6], v5
	s_waitcnt lgkmcnt(0)
	ds_store_b64 v16, v[5:6] offset:8
.LBB183_40:
	s_or_b32 exec_lo, exec_lo, s3
	v_or_b32_e32 v5, 2, v3
	s_delay_alu instid0(VALU_DEP_1) | instskip(NEXT) | instid1(VALU_DEP_1)
	v_cmp_gt_u32_e64 s6, v5, v0
	s_and_saveexec_b32 s3, s6
	s_cbranch_execz .LBB183_42
; %bb.41:
	v_mul_u32_u24_e32 v5, 33, v5
	s_delay_alu instid0(VALU_DEP_1)
	v_add_lshl_u32 v5, v5, v0, 3
	ds_load_b64 v[5:6], v5
	s_waitcnt lgkmcnt(0)
	ds_store_b64 v16, v[5:6] offset:16
.LBB183_42:
	s_or_b32 exec_lo, exec_lo, s3
	v_or_b32_e32 v5, 3, v3
	s_delay_alu instid0(VALU_DEP_1) | instskip(SKIP_1) | instid1(VALU_DEP_2)
	v_mad_u32_u24 v6, v5, 33, v0
	v_cmp_gt_u32_e64 s7, v5, v0
	v_lshlrev_b32_e32 v18, 3, v6
	s_delay_alu instid0(VALU_DEP_2)
	s_and_saveexec_b32 s3, s7
	s_cbranch_execz .LBB183_44
; %bb.43:
	ds_load_b64 v[5:6], v18
	s_waitcnt lgkmcnt(0)
	ds_store_b64 v16, v[5:6] offset:24
.LBB183_44:
	s_or_b32 exec_lo, exec_lo, s3
	v_add_lshl_u32 v11, v4, v0, 3
	v_lshlrev_b32_e32 v17, 3, v3
	v_add_nc_u32_e32 v19, 0xfffffdf0, v18
	s_waitcnt lgkmcnt(0)
	s_barrier
	buffer_gl0_inv
	ds_load_b64 v[20:21], v11
	ds_load_b128 v[3:6], v17 offset:9088
	ds_load_2addr_b64 v[26:29], v19 offset1:33
	ds_load_b128 v[30:33], v17 offset:9104
	ds_load_b64 v[34:35], v18
	v_cmp_gt_u32_e64 s3, 32, v22
	s_waitcnt lgkmcnt(0)
	s_barrier
	buffer_gl0_inv
	v_mul_f32_e32 v23, v4, v21
	v_dual_mul_f32 v21, v3, v21 :: v_dual_mul_f32 v36, v6, v27
	v_mul_f32_e32 v27, v5, v27
	s_delay_alu instid0(VALU_DEP_2) | instskip(NEXT) | instid1(VALU_DEP_4)
	v_dual_fmac_f32 v21, v4, v20 :: v_dual_mul_f32 v4, v33, v35
	v_fma_f32 v3, v3, v20, -v23
	v_dual_mul_f32 v20, v32, v35 :: v_dual_mul_f32 v37, v31, v29
	v_fma_f32 v5, v5, v26, -v36
	v_fmac_f32_e32 v27, v6, v26
	s_delay_alu instid0(VALU_DEP_3) | instskip(SKIP_3) | instid1(VALU_DEP_4)
	v_dual_add_f32 v3, 0, v3 :: v_dual_fmac_f32 v20, v33, v34
	v_mul_f32_e32 v29, v30, v29
	v_add_f32_e32 v6, 0, v21
	v_fma_f32 v21, v30, v28, -v37
	v_add_f32_e32 v3, v3, v5
	v_fma_f32 v4, v32, v34, -v4
	v_fmac_f32_e32 v29, v31, v28
	v_add_f32_e32 v5, v6, v27
	v_add_lshl_u32 v28, v7, v10, 3
	v_dual_add_f32 v3, v3, v21 :: v_dual_mov_b32 v26, 0
	v_lshlrev_b32_e32 v23, 3, v10
	s_delay_alu instid0(VALU_DEP_4) | instskip(SKIP_1) | instid1(VALU_DEP_4)
	v_add_f32_e32 v5, v5, v29
	v_mov_b32_e32 v27, 0
	v_add_f32_e32 v3, v3, v4
	s_delay_alu instid0(VALU_DEP_3)
	v_add_f32_e32 v4, v5, v20
	ds_store_b64 v28, v[3:4]
	s_waitcnt lgkmcnt(0)
	s_barrier
	buffer_gl0_inv
	s_and_saveexec_b32 s8, s3
	s_cbranch_execz .LBB183_46
; %bb.45:
	ds_load_2addr_b64 v[3:6], v23 offset1:7
	ds_load_2addr_b64 v[29:32], v23 offset0:1 offset1:2
	ds_load_2addr_b64 v[33:36], v23 offset0:3 offset1:4
	ds_load_2addr_b64 v[37:40], v23 offset0:5 offset1:6
	s_waitcnt lgkmcnt(2)
	v_dual_add_f32 v3, v29, v3 :: v_dual_add_f32 v4, v30, v4
	s_delay_alu instid0(VALU_DEP_1) | instskip(SKIP_1) | instid1(VALU_DEP_1)
	v_dual_add_f32 v3, v3, v31 :: v_dual_add_f32 v4, v4, v32
	s_waitcnt lgkmcnt(1)
	v_dual_add_f32 v3, v3, v33 :: v_dual_add_f32 v4, v4, v34
	s_delay_alu instid0(VALU_DEP_1) | instskip(SKIP_1) | instid1(VALU_DEP_1)
	v_dual_add_f32 v3, v3, v35 :: v_dual_add_f32 v4, v4, v36
	s_waitcnt lgkmcnt(0)
	v_dual_add_f32 v3, v3, v37 :: v_dual_add_f32 v4, v4, v38
	s_delay_alu instid0(VALU_DEP_1) | instskip(NEXT) | instid1(VALU_DEP_1)
	v_dual_add_f32 v3, v3, v39 :: v_dual_add_f32 v4, v4, v40
	v_dual_add_f32 v26, v3, v5 :: v_dual_add_f32 v27, v4, v6
.LBB183_46:
	s_or_b32 exec_lo, exec_lo, s8
	s_lshl_b32 s20, s12, 5
	s_delay_alu instid0(SALU_CYCLE_1)
	s_ashr_i32 s21, s20, 31
	s_barrier
	s_lshl_b64 s[22:23], s[20:21], 3
	buffer_gl0_inv
	v_add_co_u32 v3, vcc_lo, v1, s22
	v_add_co_ci_u32_e32 v4, vcc_lo, s23, v2, vcc_lo
	s_delay_alu instid0(VALU_DEP_2) | instskip(NEXT) | instid1(VALU_DEP_2)
	v_add_co_u32 v1, vcc_lo, 0x100, v3
	v_add_co_ci_u32_e32 v2, vcc_lo, 0, v4, vcc_lo
	s_and_b32 vcc_lo, exec_lo, s19
	s_cbranch_vccz .LBB183_64
; %bb.47:
	v_or_b32_e32 v5, 32, v0
	s_ashr_i32 s11, s10, 31
	s_delay_alu instid0(SALU_CYCLE_1) | instskip(SKIP_1) | instid1(VALU_DEP_1)
	s_lshl_b64 s[24:25], s[10:11], 3
	s_sub_i32 s11, s10, 32
	v_lshlrev_b32_e32 v6, 3, v5
	v_cmp_le_i32_e64 s8, s11, v7
	s_delay_alu instid0(VALU_DEP_2) | instskip(SKIP_1) | instid1(VALU_DEP_2)
	v_sub_co_u32 v6, vcc_lo, v1, v6
	v_subrev_co_ci_u32_e32 v20, vcc_lo, 0, v2, vcc_lo
	v_add_co_u32 v6, vcc_lo, v6, s24
	s_delay_alu instid0(VALU_DEP_2) | instskip(NEXT) | instid1(VALU_DEP_2)
	v_add_co_ci_u32_e32 v20, vcc_lo, s25, v20, vcc_lo
	v_add_co_u32 v21, vcc_lo, v6, -8
	s_delay_alu instid0(VALU_DEP_2) | instskip(SKIP_2) | instid1(VALU_DEP_3)
	v_add_co_ci_u32_e32 v6, vcc_lo, -1, v20, vcc_lo
	v_cmp_gt_i32_e32 vcc_lo, s10, v5
	v_add_lshl_u32 v20, v8, v0, 3
	v_dual_cndmask_b32 v6, v6, v2 :: v_dual_cndmask_b32 v5, v21, v1
	s_and_saveexec_b32 s13, s8
	s_delay_alu instid0(SALU_CYCLE_1)
	s_xor_b32 s8, exec_lo, s13
	s_cbranch_execz .LBB183_49
; %bb.48:
	v_mov_b32_e32 v29, 0
	s_delay_alu instid0(VALU_DEP_1)
	v_mov_b32_e32 v30, v29
	ds_store_b64 v20, v[29:30]
.LBB183_49:
	s_and_not1_saveexec_b32 s8, s8
	s_cbranch_execz .LBB183_51
; %bb.50:
	flat_load_b64 v[29:30], v[5:6]
	s_waitcnt vmcnt(0) lgkmcnt(0)
	ds_store_b64 v20, v[29:30]
.LBB183_51:
	s_or_b32 exec_lo, exec_lo, s8
	v_add_nc_u32_e32 v21, 8, v7
	s_delay_alu instid0(VALU_DEP_1) | instskip(NEXT) | instid1(VALU_DEP_1)
	v_cmp_le_i32_e64 s8, s11, v21
	s_and_saveexec_b32 s13, s8
	s_delay_alu instid0(SALU_CYCLE_1)
	s_xor_b32 s8, exec_lo, s13
	s_cbranch_execz .LBB183_53
; %bb.52:
	v_mul_u32_u24_e32 v21, 33, v21
	v_mov_b32_e32 v29, 0
	s_delay_alu instid0(VALU_DEP_2) | instskip(NEXT) | instid1(VALU_DEP_2)
	v_add_lshl_u32 v21, v21, v0, 3
	v_mov_b32_e32 v30, v29
	ds_store_b64 v21, v[29:30]
.LBB183_53:
	s_and_not1_saveexec_b32 s13, s8
	s_cbranch_execz .LBB183_55
; %bb.54:
	s_lshl_b32 s30, s12, 3
	s_delay_alu instid0(SALU_CYCLE_1) | instskip(NEXT) | instid1(SALU_CYCLE_1)
	s_ashr_i32 s31, s30, 31
	s_lshl_b64 s[30:31], s[30:31], 3
	s_delay_alu instid0(SALU_CYCLE_1) | instskip(NEXT) | instid1(VALU_DEP_1)
	v_add_co_u32 v29, s8, v5, s30
	v_add_co_ci_u32_e64 v30, s8, s31, v6, s8
	flat_load_b64 v[29:30], v[29:30]
	s_waitcnt vmcnt(0) lgkmcnt(0)
	ds_store_b64 v20, v[29:30] offset:2112
.LBB183_55:
	s_or_b32 exec_lo, exec_lo, s13
	v_add_nc_u32_e32 v21, 16, v7
	s_delay_alu instid0(VALU_DEP_1) | instskip(NEXT) | instid1(VALU_DEP_1)
	v_cmp_le_i32_e64 s8, s11, v21
	s_and_saveexec_b32 s13, s8
	s_delay_alu instid0(SALU_CYCLE_1)
	s_xor_b32 s8, exec_lo, s13
	s_cbranch_execz .LBB183_57
; %bb.56:
	v_mul_u32_u24_e32 v21, 33, v21
	v_mov_b32_e32 v29, 0
	s_delay_alu instid0(VALU_DEP_2) | instskip(NEXT) | instid1(VALU_DEP_2)
	v_add_lshl_u32 v21, v21, v0, 3
	v_mov_b32_e32 v30, v29
	ds_store_b64 v21, v[29:30]
.LBB183_57:
	s_and_not1_saveexec_b32 s13, s8
	s_cbranch_execz .LBB183_59
; %bb.58:
	s_lshl_b32 s30, s12, 4
	s_delay_alu instid0(SALU_CYCLE_1) | instskip(NEXT) | instid1(SALU_CYCLE_1)
	s_ashr_i32 s31, s30, 31
	s_lshl_b64 s[30:31], s[30:31], 3
	s_delay_alu instid0(SALU_CYCLE_1) | instskip(NEXT) | instid1(VALU_DEP_1)
	v_add_co_u32 v29, s8, v5, s30
	v_add_co_ci_u32_e64 v30, s8, s31, v6, s8
	flat_load_b64 v[29:30], v[29:30]
	s_waitcnt vmcnt(0) lgkmcnt(0)
	ds_store_b64 v20, v[29:30] offset:4224
.LBB183_59:
	s_or_b32 exec_lo, exec_lo, s13
	v_add_nc_u32_e32 v21, 24, v7
	s_delay_alu instid0(VALU_DEP_1) | instskip(NEXT) | instid1(VALU_DEP_1)
	v_cmp_le_i32_e64 s8, s11, v21
	s_and_saveexec_b32 s11, s8
	s_delay_alu instid0(SALU_CYCLE_1)
	s_xor_b32 s8, exec_lo, s11
	s_cbranch_execz .LBB183_61
; %bb.60:
	v_mov_b32_e32 v29, 0
	s_delay_alu instid0(VALU_DEP_1)
	v_mov_b32_e32 v30, v29
	ds_store_b64 v20, v[29:30] offset:6336
                                        ; implicit-def: $vgpr20
.LBB183_61:
	s_and_not1_saveexec_b32 s11, s8
	s_cbranch_execz .LBB183_63
; %bb.62:
	s_mul_i32 s30, s12, 24
	s_delay_alu instid0(SALU_CYCLE_1) | instskip(NEXT) | instid1(SALU_CYCLE_1)
	s_ashr_i32 s31, s30, 31
	s_lshl_b64 s[30:31], s[30:31], 3
	s_delay_alu instid0(SALU_CYCLE_1) | instskip(NEXT) | instid1(VALU_DEP_1)
	v_add_co_u32 v29, s8, v5, s30
	v_add_co_ci_u32_e64 v30, s8, s31, v6, s8
	flat_load_b64 v[29:30], v[29:30]
	s_waitcnt vmcnt(0) lgkmcnt(0)
	ds_store_b64 v20, v[29:30] offset:6336
.LBB183_63:
	s_or_b32 exec_lo, exec_lo, s11
	v_add_co_u32 v5, s8, v5, v9
	s_delay_alu instid0(VALU_DEP_1) | instskip(NEXT) | instid1(VALU_DEP_2)
	v_add_co_ci_u32_e64 v6, s8, 0, v6, s8
	v_sub_co_u32 v5, s8, v5, s24
	s_delay_alu instid0(VALU_DEP_1) | instskip(NEXT) | instid1(VALU_DEP_2)
	v_subrev_co_ci_u32_e64 v6, s8, s25, v6, s8
	v_add_co_u32 v5, s8, 0x108, v5
	s_delay_alu instid0(VALU_DEP_1) | instskip(NEXT) | instid1(VALU_DEP_1)
	v_add_co_ci_u32_e64 v6, s8, 0, v6, s8
	v_dual_cndmask_b32 v5, v5, v1 :: v_dual_cndmask_b32 v6, v6, v2
	s_branch .LBB183_66
.LBB183_64:
                                        ; implicit-def: $vgpr5_vgpr6
	s_cbranch_execz .LBB183_66
; %bb.65:
	flat_load_b64 v[5:6], v[3:4] offset:256
	s_lshl_b32 s24, s12, 3
	v_add_lshl_u32 v20, v8, v0, 3
	s_ashr_i32 s25, s24, 31
	s_ashr_i32 s13, s12, 31
	s_lshl_b64 s[24:25], s[24:25], 3
	s_delay_alu instid0(SALU_CYCLE_1)
	v_add_co_u32 v3, vcc_lo, v3, s24
	v_add_co_ci_u32_e32 v4, vcc_lo, s25, v4, vcc_lo
	s_lshl_b64 s[24:25], s[12:13], 6
	s_waitcnt vmcnt(0) lgkmcnt(0)
	ds_store_b64 v20, v[5:6]
	flat_load_b64 v[5:6], v[3:4] offset:256
	v_add_co_u32 v3, vcc_lo, v3, s24
	v_add_co_ci_u32_e32 v4, vcc_lo, s25, v4, vcc_lo
	s_waitcnt vmcnt(0) lgkmcnt(0)
	ds_store_b64 v20, v[5:6] offset:2112
	flat_load_b64 v[5:6], v[3:4] offset:256
	v_add_co_u32 v3, vcc_lo, v3, s24
	v_add_co_ci_u32_e32 v4, vcc_lo, s25, v4, vcc_lo
	s_waitcnt vmcnt(0) lgkmcnt(0)
	ds_store_b64 v20, v[5:6] offset:4224
	flat_load_b64 v[3:4], v[3:4] offset:256
	v_dual_mov_b32 v6, v2 :: v_dual_mov_b32 v5, v1
	s_waitcnt vmcnt(0) lgkmcnt(0)
	ds_store_b64 v20, v[3:4] offset:6336
.LBB183_66:
	s_waitcnt lgkmcnt(0)
	s_barrier
	buffer_gl0_inv
	s_and_saveexec_b32 s8, s4
	s_cbranch_execnz .LBB183_91
; %bb.67:
	s_or_b32 exec_lo, exec_lo, s8
	s_and_saveexec_b32 s4, s5
	s_cbranch_execnz .LBB183_92
.LBB183_68:
	s_or_b32 exec_lo, exec_lo, s4
	s_and_saveexec_b32 s4, s6
	s_cbranch_execnz .LBB183_93
.LBB183_69:
	s_or_b32 exec_lo, exec_lo, s4
	v_add_nc_u32_e32 v29, 0x2380, v17
	s_and_saveexec_b32 s4, s7
	s_cbranch_execz .LBB183_71
.LBB183_70:
	ds_load_b64 v[1:2], v18
	s_waitcnt lgkmcnt(0)
	ds_store_b64 v16, v[1:2] offset:24
.LBB183_71:
	s_or_b32 exec_lo, exec_lo, s4
	s_waitcnt lgkmcnt(0)
	s_barrier
	buffer_gl0_inv
	ds_load_b64 v[16:17], v11
	ds_load_b128 v[1:4], v29 offset:256
	ds_load_2addr_b64 v[30:33], v19 offset1:33
	ds_load_b128 v[34:37], v29 offset:272
	ds_load_b64 v[20:21], v18
	v_cmp_eq_u32_e64 s4, 1, v7
	s_waitcnt lgkmcnt(0)
	s_barrier
	buffer_gl0_inv
	v_dual_mul_f32 v38, v2, v17 :: v_dual_mul_f32 v39, v4, v31
	v_mul_f32_e32 v17, v1, v17
	v_mul_f32_e32 v31, v3, v31
	;; [unrolled: 1-line block ×3, first 2 shown]
	s_delay_alu instid0(VALU_DEP_4) | instskip(SKIP_3) | instid1(VALU_DEP_4)
	v_fma_f32 v1, v1, v16, -v38
	v_fma_f32 v3, v3, v30, -v39
	v_dual_fmac_f32 v17, v2, v16 :: v_dual_mul_f32 v2, v37, v21
	v_fmac_f32_e32 v31, v4, v30
	v_add_f32_e32 v1, 0, v1
	v_mul_f32_e32 v16, v36, v21
	v_mul_f32_e32 v33, v34, v33
	v_add_f32_e32 v4, 0, v17
	v_fma_f32 v17, v34, v32, -v40
	v_add_f32_e32 v1, v1, v3
	v_fmac_f32_e32 v16, v37, v20
	v_fmac_f32_e32 v33, v35, v32
	v_add_f32_e32 v3, v4, v31
	v_fma_f32 v2, v36, v20, -v2
	v_add_f32_e32 v1, v1, v17
	s_delay_alu instid0(VALU_DEP_3) | instskip(NEXT) | instid1(VALU_DEP_1)
	v_add_f32_e32 v3, v3, v33
	v_dual_add_f32 v1, v1, v2 :: v_dual_add_f32 v2, v3, v16
	ds_store_b64 v28, v[1:2]
	s_waitcnt lgkmcnt(0)
	s_barrier
	buffer_gl0_inv
	s_and_saveexec_b32 s5, s4
	s_cbranch_execz .LBB183_73
; %bb.72:
	ds_load_2addr_b64 v[1:4], v23 offset1:7
	ds_load_2addr_b64 v[30:33], v23 offset0:1 offset1:2
	ds_load_2addr_b64 v[34:37], v23 offset0:3 offset1:4
	;; [unrolled: 1-line block ×3, first 2 shown]
	s_waitcnt lgkmcnt(2)
	v_dual_add_f32 v1, v30, v1 :: v_dual_add_f32 v2, v31, v2
	s_delay_alu instid0(VALU_DEP_1) | instskip(SKIP_1) | instid1(VALU_DEP_1)
	v_dual_add_f32 v1, v1, v32 :: v_dual_add_f32 v2, v2, v33
	s_waitcnt lgkmcnt(1)
	v_dual_add_f32 v1, v1, v34 :: v_dual_add_f32 v2, v2, v35
	s_delay_alu instid0(VALU_DEP_1) | instskip(SKIP_1) | instid1(VALU_DEP_1)
	v_dual_add_f32 v1, v1, v36 :: v_dual_add_f32 v2, v2, v37
	s_waitcnt lgkmcnt(0)
	v_dual_add_f32 v1, v1, v38 :: v_dual_add_f32 v2, v2, v39
	s_delay_alu instid0(VALU_DEP_1) | instskip(NEXT) | instid1(VALU_DEP_1)
	v_dual_add_f32 v1, v1, v40 :: v_dual_add_f32 v2, v2, v41
	v_dual_add_f32 v26, v1, v3 :: v_dual_add_f32 v27, v2, v4
.LBB183_73:
	s_or_b32 exec_lo, exec_lo, s5
	v_add_co_u32 v1, vcc_lo, 0xffffff00, v5
	v_add_co_ci_u32_e32 v2, vcc_lo, -1, v6, vcc_lo
	s_and_b32 vcc_lo, exec_lo, s19
	s_barrier
	buffer_gl0_inv
	s_cbranch_vccz .LBB183_94
; %bb.74:
	v_sub_co_u32 v3, vcc_lo, v1, v9
	s_ashr_i32 s11, s10, 31
	v_subrev_co_ci_u32_e32 v4, vcc_lo, 0, v2, vcc_lo
	s_lshl_b64 s[6:7], s[10:11], 3
	s_sub_i32 s8, s10, 32
	v_add_co_u32 v3, vcc_lo, v3, s6
	s_delay_alu instid0(VALU_DEP_2) | instskip(SKIP_1) | instid1(VALU_DEP_3)
	v_add_co_ci_u32_e32 v4, vcc_lo, s7, v4, vcc_lo
	v_cmp_le_i32_e64 s5, s8, v7
	v_add_co_u32 v3, vcc_lo, v3, -8
	s_delay_alu instid0(VALU_DEP_3) | instskip(SKIP_2) | instid1(VALU_DEP_3)
	v_add_co_ci_u32_e32 v4, vcc_lo, -1, v4, vcc_lo
	v_cmp_gt_i32_e32 vcc_lo, s10, v0
	v_add_lshl_u32 v16, v8, v0, 3
	v_dual_cndmask_b32 v4, v4, v2 :: v_dual_cndmask_b32 v3, v3, v1
	s_and_saveexec_b32 s11, s5
	s_delay_alu instid0(SALU_CYCLE_1)
	s_xor_b32 s5, exec_lo, s11
	s_cbranch_execz .LBB183_76
; %bb.75:
	v_mov_b32_e32 v5, 0
	s_delay_alu instid0(VALU_DEP_1)
	v_mov_b32_e32 v6, v5
	ds_store_b64 v16, v[5:6]
.LBB183_76:
	s_and_not1_saveexec_b32 s5, s5
	s_cbranch_execz .LBB183_78
; %bb.77:
	flat_load_b64 v[5:6], v[3:4]
	s_waitcnt vmcnt(0) lgkmcnt(0)
	ds_store_b64 v16, v[5:6]
.LBB183_78:
	s_or_b32 exec_lo, exec_lo, s5
	v_add_nc_u32_e32 v5, 8, v7
	s_delay_alu instid0(VALU_DEP_1) | instskip(NEXT) | instid1(VALU_DEP_1)
	v_cmp_le_i32_e64 s5, s8, v5
	s_and_saveexec_b32 s11, s5
	s_delay_alu instid0(SALU_CYCLE_1)
	s_xor_b32 s5, exec_lo, s11
	s_cbranch_execz .LBB183_80
; %bb.79:
	v_mul_u32_u24_e32 v6, 33, v5
	v_mov_b32_e32 v20, 0
	s_delay_alu instid0(VALU_DEP_2) | instskip(NEXT) | instid1(VALU_DEP_2)
	v_add_lshl_u32 v6, v6, v0, 3
	v_mov_b32_e32 v21, v20
	ds_store_b64 v6, v[20:21]
.LBB183_80:
	s_and_not1_saveexec_b32 s11, s5
	s_cbranch_execz .LBB183_82
; %bb.81:
	s_lshl_b32 s24, s12, 3
	s_delay_alu instid0(SALU_CYCLE_1) | instskip(NEXT) | instid1(SALU_CYCLE_1)
	s_ashr_i32 s25, s24, 31
	s_lshl_b64 s[24:25], s[24:25], 3
	s_delay_alu instid0(SALU_CYCLE_1) | instskip(NEXT) | instid1(VALU_DEP_1)
	v_add_co_u32 v20, s5, v3, s24
	v_add_co_ci_u32_e64 v21, s5, s25, v4, s5
	flat_load_b64 v[20:21], v[20:21]
	s_waitcnt vmcnt(0) lgkmcnt(0)
	ds_store_b64 v16, v[20:21] offset:2112
.LBB183_82:
	s_or_b32 exec_lo, exec_lo, s11
	v_add_nc_u32_e32 v6, 16, v7
	s_delay_alu instid0(VALU_DEP_1) | instskip(NEXT) | instid1(VALU_DEP_1)
	v_cmp_le_i32_e64 s5, s8, v6
	s_and_saveexec_b32 s11, s5
	s_delay_alu instid0(SALU_CYCLE_1)
	s_xor_b32 s5, exec_lo, s11
	s_cbranch_execz .LBB183_84
; %bb.83:
	v_mul_u32_u24_e32 v17, 33, v6
	v_mov_b32_e32 v20, 0
	s_delay_alu instid0(VALU_DEP_2) | instskip(NEXT) | instid1(VALU_DEP_2)
	v_add_lshl_u32 v17, v17, v0, 3
	v_mov_b32_e32 v21, v20
	ds_store_b64 v17, v[20:21]
.LBB183_84:
	s_and_not1_saveexec_b32 s11, s5
	s_cbranch_execz .LBB183_86
; %bb.85:
	s_lshl_b32 s24, s12, 4
	s_delay_alu instid0(SALU_CYCLE_1) | instskip(NEXT) | instid1(SALU_CYCLE_1)
	s_ashr_i32 s25, s24, 31
	s_lshl_b64 s[24:25], s[24:25], 3
	s_delay_alu instid0(SALU_CYCLE_1) | instskip(NEXT) | instid1(VALU_DEP_1)
	v_add_co_u32 v20, s5, v3, s24
	v_add_co_ci_u32_e64 v21, s5, s25, v4, s5
	flat_load_b64 v[20:21], v[20:21]
	s_waitcnt vmcnt(0) lgkmcnt(0)
	ds_store_b64 v16, v[20:21] offset:4224
.LBB183_86:
	s_or_b32 exec_lo, exec_lo, s11
	v_add_nc_u32_e32 v20, 24, v7
	s_delay_alu instid0(VALU_DEP_1) | instskip(NEXT) | instid1(VALU_DEP_1)
	v_cmp_le_i32_e64 s5, s8, v20
	s_and_saveexec_b32 s8, s5
	s_delay_alu instid0(SALU_CYCLE_1)
	s_xor_b32 s5, exec_lo, s8
	s_cbranch_execz .LBB183_88
; %bb.87:
	v_mov_b32_e32 v30, 0
	s_delay_alu instid0(VALU_DEP_1)
	v_mov_b32_e32 v31, v30
	ds_store_b64 v16, v[30:31] offset:6336
                                        ; implicit-def: $vgpr16
.LBB183_88:
	s_and_not1_saveexec_b32 s8, s5
	s_cbranch_execz .LBB183_90
; %bb.89:
	s_mul_i32 s24, s12, 24
	s_delay_alu instid0(SALU_CYCLE_1) | instskip(NEXT) | instid1(SALU_CYCLE_1)
	s_ashr_i32 s25, s24, 31
	s_lshl_b64 s[24:25], s[24:25], 3
	s_delay_alu instid0(SALU_CYCLE_1) | instskip(NEXT) | instid1(VALU_DEP_1)
	v_add_co_u32 v30, s5, v3, s24
	v_add_co_ci_u32_e64 v31, s5, s25, v4, s5
	flat_load_b64 v[30:31], v[30:31]
	s_waitcnt vmcnt(0) lgkmcnt(0)
	ds_store_b64 v16, v[30:31] offset:6336
.LBB183_90:
	s_or_b32 exec_lo, exec_lo, s8
	v_add_co_u32 v3, s5, v3, v9
	s_delay_alu instid0(VALU_DEP_1) | instskip(NEXT) | instid1(VALU_DEP_2)
	v_add_co_ci_u32_e64 v4, s5, 0, v4, s5
	v_sub_co_u32 v3, s5, v3, s6
	s_delay_alu instid0(VALU_DEP_1) | instskip(NEXT) | instid1(VALU_DEP_2)
	v_subrev_co_ci_u32_e64 v4, s5, s7, v4, s5
	v_add_co_u32 v3, s5, v3, 8
	s_delay_alu instid0(VALU_DEP_1) | instskip(NEXT) | instid1(VALU_DEP_1)
	v_add_co_ci_u32_e64 v4, s5, 0, v4, s5
	v_dual_cndmask_b32 v16, v3, v1 :: v_dual_cndmask_b32 v17, v4, v2
	s_branch .LBB183_96
.LBB183_91:
	ds_load_b64 v[1:2], v11
	s_waitcnt lgkmcnt(0)
	ds_store_b64 v16, v[1:2]
	s_or_b32 exec_lo, exec_lo, s8
	s_and_saveexec_b32 s4, s5
	s_cbranch_execz .LBB183_68
.LBB183_92:
	ds_load_b64 v[1:2], v19
	s_waitcnt lgkmcnt(0)
	ds_store_b64 v16, v[1:2] offset:8
	s_or_b32 exec_lo, exec_lo, s4
	s_and_saveexec_b32 s4, s6
	s_cbranch_execz .LBB183_69
.LBB183_93:
	ds_load_b64 v[1:2], v19 offset:264
	s_waitcnt lgkmcnt(0)
	ds_store_b64 v16, v[1:2] offset:16
	s_or_b32 exec_lo, exec_lo, s4
	v_add_nc_u32_e32 v29, 0x2380, v17
	s_and_saveexec_b32 s4, s7
	s_cbranch_execnz .LBB183_70
	s_branch .LBB183_71
.LBB183_94:
                                        ; implicit-def: $vgpr16_vgpr17
                                        ; implicit-def: $vgpr5
                                        ; implicit-def: $vgpr6
                                        ; implicit-def: $vgpr20
	s_cbranch_execz .LBB183_96
; %bb.95:
	flat_load_b64 v[3:4], v[1:2]
	s_lshl_b32 s6, s12, 3
	v_add_lshl_u32 v0, v8, v0, 3
	s_ashr_i32 s7, s6, 31
	s_ashr_i32 s13, s12, 31
	s_lshl_b64 s[6:7], s[6:7], 3
	v_add_nc_u32_e32 v20, 24, v7
	v_add_co_u32 v5, vcc_lo, v1, s6
	v_add_co_ci_u32_e32 v6, vcc_lo, s7, v2, vcc_lo
	s_lshl_b64 s[6:7], s[12:13], 6
	v_dual_mov_b32 v17, v2 :: v_dual_mov_b32 v16, v1
	s_waitcnt vmcnt(0) lgkmcnt(0)
	ds_store_b64 v0, v[3:4]
	flat_load_b64 v[3:4], v[5:6]
	v_add_co_u32 v5, vcc_lo, v5, s6
	v_add_co_ci_u32_e32 v6, vcc_lo, s7, v6, vcc_lo
	s_waitcnt vmcnt(0) lgkmcnt(0)
	ds_store_b64 v0, v[3:4] offset:2112
	flat_load_b64 v[3:4], v[5:6]
	v_add_co_u32 v5, vcc_lo, v5, s6
	v_add_co_ci_u32_e32 v6, vcc_lo, s7, v6, vcc_lo
	s_waitcnt vmcnt(0) lgkmcnt(0)
	ds_store_b64 v0, v[3:4] offset:4224
	flat_load_b64 v[3:4], v[5:6]
	v_add_nc_u32_e32 v6, 16, v7
	v_add_nc_u32_e32 v5, 8, v7
	s_waitcnt vmcnt(0) lgkmcnt(0)
	ds_store_b64 v0, v[3:4] offset:6336
.LBB183_96:
	s_waitcnt lgkmcnt(0)
	s_barrier
	buffer_gl0_inv
	ds_load_b64 v[30:31], v28
	v_lshlrev_b32_e32 v0, 3, v7
	v_add_lshl_u32 v1, v5, v10, 3
	v_lshlrev_b32_e32 v2, 3, v5
	v_add_lshl_u32 v3, v6, v10, 3
	;; [unrolled: 2-line block ×3, first 2 shown]
	v_lshlrev_b32_e32 v6, 3, v20
	ds_load_b64 v[32:33], v0 offset:9088
	ds_load_b64 v[34:35], v1
	ds_load_b64 v[36:37], v2 offset:9088
	ds_load_b64 v[38:39], v3
	ds_load_b64 v[40:41], v4 offset:9088
	ds_load_b64 v[42:43], v5
	ds_load_b64 v[44:45], v6 offset:9088
	ds_load_b64 v[20:21], v11
	ds_load_b128 v[8:11], v29 offset:256
	ds_load_b128 v[0:3], v29 offset:272
	ds_load_2addr_b64 v[4:7], v19 offset1:33
	ds_load_b64 v[18:19], v18
	s_waitcnt lgkmcnt(0)
	s_barrier
	buffer_gl0_inv
	v_mul_f32_e32 v29, v33, v31
	v_mul_f32_e32 v47, v41, v39
	;; [unrolled: 1-line block ×4, first 2 shown]
	s_delay_alu instid0(VALU_DEP_4) | instskip(SKIP_1) | instid1(VALU_DEP_4)
	v_fma_f32 v29, v32, v30, -v29
	v_mul_f32_e32 v46, v37, v35
	v_dual_fmac_f32 v31, v33, v30 :: v_dual_mul_f32 v30, v40, v39
	v_mul_f32_e32 v35, v36, v35
	s_delay_alu instid0(VALU_DEP_4) | instskip(NEXT) | instid1(VALU_DEP_4)
	v_add_f32_e32 v29, 0, v29
	v_fma_f32 v32, v36, v34, -v46
	s_delay_alu instid0(VALU_DEP_4) | instskip(NEXT) | instid1(VALU_DEP_4)
	v_dual_fmac_f32 v30, v41, v38 :: v_dual_mul_f32 v33, v44, v43
	v_fmac_f32_e32 v35, v37, v34
	v_fma_f32 v34, v40, v38, -v47
	s_delay_alu instid0(VALU_DEP_4) | instskip(SKIP_3) | instid1(VALU_DEP_4)
	v_add_f32_e32 v29, v29, v32
	v_fma_f32 v32, v44, v42, -v48
	v_fmac_f32_e32 v33, v45, v42
	v_add_f32_e32 v31, 0, v31
	v_add_f32_e32 v29, v29, v34
	s_delay_alu instid0(VALU_DEP_2) | instskip(NEXT) | instid1(VALU_DEP_1)
	v_add_f32_e32 v31, v31, v35
	v_dual_add_f32 v29, v29, v32 :: v_dual_add_f32 v30, v31, v30
	s_delay_alu instid0(VALU_DEP_1)
	v_add_f32_e32 v30, v30, v33
	ds_store_b64 v28, v[29:30]
	s_waitcnt lgkmcnt(0)
	s_barrier
	buffer_gl0_inv
	s_and_saveexec_b32 s5, s4
	s_cbranch_execz .LBB183_98
; %bb.97:
	ds_load_2addr_b64 v[29:32], v23 offset1:1
	ds_load_2addr_b64 v[33:36], v23 offset0:2 offset1:3
	ds_load_2addr_b64 v[37:40], v23 offset0:4 offset1:5
	s_waitcnt lgkmcnt(2)
	v_dual_add_f32 v26, v26, v29 :: v_dual_add_f32 v27, v27, v30
	s_delay_alu instid0(VALU_DEP_1) | instskip(SKIP_3) | instid1(VALU_DEP_1)
	v_dual_add_f32 v26, v26, v31 :: v_dual_add_f32 v27, v27, v32
	ds_load_2addr_b64 v[29:32], v23 offset0:6 offset1:7
	s_waitcnt lgkmcnt(2)
	v_dual_add_f32 v26, v26, v33 :: v_dual_add_f32 v27, v27, v34
	v_dual_add_f32 v26, v26, v35 :: v_dual_add_f32 v27, v27, v36
	s_waitcnt lgkmcnt(1)
	s_delay_alu instid0(VALU_DEP_1) | instskip(NEXT) | instid1(VALU_DEP_1)
	v_dual_add_f32 v26, v26, v37 :: v_dual_add_f32 v27, v27, v38
	v_dual_add_f32 v26, v26, v39 :: v_dual_add_f32 v27, v27, v40
	s_waitcnt lgkmcnt(0)
	s_delay_alu instid0(VALU_DEP_1) | instskip(NEXT) | instid1(VALU_DEP_1)
	v_dual_add_f32 v26, v26, v29 :: v_dual_add_f32 v27, v27, v30
	v_dual_add_f32 v26, v26, v31 :: v_dual_add_f32 v27, v27, v32
.LBB183_98:
	s_or_b32 exec_lo, exec_lo, s5
	v_mul_f32_e32 v29, v9, v21
	v_mul_f32_e32 v21, v8, v21
	v_dual_mul_f32 v30, v11, v5 :: v_dual_mul_f32 v31, v1, v7
	s_delay_alu instid0(VALU_DEP_3) | instskip(NEXT) | instid1(VALU_DEP_3)
	v_fma_f32 v8, v8, v20, -v29
	v_fmac_f32_e32 v21, v9, v20
	v_mul_f32_e32 v7, v0, v7
	s_delay_alu instid0(VALU_DEP_4)
	v_fma_f32 v0, v0, v6, -v31
	s_barrier
	v_dual_add_f32 v8, 0, v8 :: v_dual_mul_f32 v5, v10, v5
	v_fma_f32 v10, v10, v4, -v30
	buffer_gl0_inv
	v_dual_add_f32 v8, v8, v10 :: v_dual_mul_f32 v9, v3, v19
	v_fmac_f32_e32 v5, v11, v4
	s_delay_alu instid0(VALU_DEP_2) | instskip(NEXT) | instid1(VALU_DEP_3)
	v_dual_mul_f32 v11, v2, v19 :: v_dual_add_f32 v0, v8, v0
	v_fma_f32 v2, v2, v18, -v9
	s_delay_alu instid0(VALU_DEP_2) | instskip(NEXT) | instid1(VALU_DEP_2)
	v_fmac_f32_e32 v11, v3, v18
	v_add_f32_e32 v0, v0, v2
	v_dual_add_f32 v4, 0, v21 :: v_dual_fmac_f32 v7, v1, v6
	s_delay_alu instid0(VALU_DEP_1) | instskip(NEXT) | instid1(VALU_DEP_1)
	v_add_f32_e32 v1, v4, v5
	v_add_f32_e32 v1, v1, v7
	s_delay_alu instid0(VALU_DEP_1)
	v_add_f32_e32 v1, v1, v11
	ds_store_b64 v28, v[0:1]
	s_waitcnt lgkmcnt(0)
	s_barrier
	buffer_gl0_inv
	s_and_saveexec_b32 s4, s3
	s_cbranch_execz .LBB183_100
; %bb.99:
	ds_load_2addr_b64 v[0:3], v23 offset1:1
	ds_load_2addr_b64 v[4:7], v23 offset0:2 offset1:3
	ds_load_2addr_b64 v[8:11], v23 offset0:4 offset1:5
	s_waitcnt lgkmcnt(2)
	v_dual_add_f32 v0, v26, v0 :: v_dual_add_f32 v1, v27, v1
	s_delay_alu instid0(VALU_DEP_1) | instskip(SKIP_3) | instid1(VALU_DEP_1)
	v_dual_add_f32 v18, v0, v2 :: v_dual_add_f32 v19, v1, v3
	ds_load_2addr_b64 v[0:3], v23 offset0:6 offset1:7
	s_waitcnt lgkmcnt(2)
	v_dual_add_f32 v4, v18, v4 :: v_dual_add_f32 v5, v19, v5
	v_dual_add_f32 v4, v4, v6 :: v_dual_add_f32 v5, v5, v7
	s_waitcnt lgkmcnt(1)
	s_delay_alu instid0(VALU_DEP_1) | instskip(NEXT) | instid1(VALU_DEP_1)
	v_dual_add_f32 v4, v4, v8 :: v_dual_add_f32 v5, v5, v9
	v_dual_add_f32 v4, v4, v10 :: v_dual_add_f32 v5, v5, v11
	s_waitcnt lgkmcnt(0)
	s_delay_alu instid0(VALU_DEP_1) | instskip(NEXT) | instid1(VALU_DEP_1)
	v_dual_add_f32 v0, v4, v0 :: v_dual_add_f32 v1, v5, v1
	v_dual_add_f32 v26, v0, v2 :: v_dual_add_f32 v27, v1, v3
.LBB183_100:
	s_or_b32 exec_lo, exec_lo, s4
	s_load_b64 s[0:1], s[0:1], 0x68
	s_mul_hi_u32 s3, s9, s16
	s_mul_i32 s26, s26, s16
	s_mul_i32 s4, s9, s16
	s_add_i32 s3, s3, s26
	s_mul_hi_u32 s5, s4, s15
	s_mul_i32 s3, s3, s15
	s_mul_i32 s4, s4, s15
	s_add_i32 s5, s5, s3
	s_mul_hi_i32 s7, s9, s14
	s_lshl_b64 s[4:5], s[4:5], 3
	s_mul_i32 s6, s9, s14
	v_lshlrev_b32_e32 v96, 3, v25
	s_waitcnt lgkmcnt(0)
	s_barrier
	buffer_gl0_inv
	s_add_u32 s3, s0, s4
	s_addc_u32 s4, s1, s5
	s_lshl_b64 s[0:1], s[6:7], 3
	s_delay_alu instid0(SALU_CYCLE_1) | instskip(SKIP_2) | instid1(SALU_CYCLE_1)
	s_add_u32 s3, s3, s0
	s_addc_u32 s11, s4, s1
	s_add_i32 s1, s14, 1
	s_cmp_ge_u32 s1, s15
	s_cbranch_scc1 .LBB183_158
; %bb.101:
	v_dual_mov_b32 v30, 0 :: v_dual_lshlrev_b32 v97, 2, v95
	v_and_b32_e32 v4, 48, v25
	v_and_b32_e32 v2, 15, v25
	v_lshrrev_b32_e32 v3, 4, v22
	s_delay_alu instid0(VALU_DEP_4) | instskip(NEXT) | instid1(VALU_DEP_4)
	v_mad_u64_u32 v[0:1], null, v97, s12, v[25:26]
	v_lshlrev_b32_e32 v5, 3, v4
	s_mul_i32 s4, s18, s17
	v_or_b32_e32 v6, 0x78, v96
	v_lshlrev_b32_e32 v7, 5, v3
	s_ashr_i32 s5, s4, 31
	v_mad_u32_u24 v102, 0x218, v2, v5
	v_ashrrev_i32_e32 v1, 31, v0
	v_mul_i32_i24_e32 v5, 0xffffffe8, v3
	v_add_nc_u32_e32 v3, s18, v4
	s_lshl_b64 s[4:5], s[4:5], 3
	v_mad_u32_u24 v103, 0x218, v2, v6
	v_sub_co_u32 v98, vcc_lo, v12, s4
	v_mad_u32_u24 v104, 0x218, v2, v7
	s_ashr_i32 s13, s12, 31
	v_add3_u32 v28, v3, v2, 64
	v_lshlrev_b64 v[2:3], 3, v[0:1]
	s_lshl_b32 s8, s12, 4
	s_lshl_b32 s24, s12, 1
	s_mul_i32 s26, s12, 3
	s_mul_i32 s1, s17, s1
	v_subrev_co_ci_u32_e32 v99, vcc_lo, s5, v13, vcc_lo
	s_lshl_b64 s[18:19], s[12:13], 4
	s_add_i32 s30, s15, -2
	s_lshl_b32 s31, s17, 6
	s_ashr_i32 s9, s8, 31
	s_ashr_i32 s25, s24, 31
	;; [unrolled: 1-line block ×3, first 2 shown]
	s_lshl_b64 s[16:17], s[12:13], 3
	s_lshl_b32 s4, s1, 6
	v_sub_co_u32 v122, vcc_lo, 0, v14
	s_add_u32 s1, s18, s22
	v_sub_co_ci_u32_e32 v123, vcc_lo, 0, v15, vcc_lo
	s_addc_u32 s5, s19, s23
	v_add_co_u32 v4, vcc_lo, s1, v2
	s_lshl_b64 s[6:7], s[8:9], 5
	s_add_u32 s13, s16, s22
	v_add_co_ci_u32_e32 v6, vcc_lo, s5, v3, vcc_lo
	s_addc_u32 s33, s17, s23
	v_add_co_u32 v7, vcc_lo, s13, v2
	v_add_co_ci_u32_e32 v8, vcc_lo, s33, v3, vcc_lo
	v_add_co_u32 v124, vcc_lo, v16, v4
	v_add_co_ci_u32_e32 v125, vcc_lo, v17, v6, vcc_lo
	s_delay_alu instid0(VALU_DEP_4) | instskip(NEXT) | instid1(VALU_DEP_4)
	v_add_co_u32 v126, vcc_lo, v16, v7
	v_add_co_ci_u32_e32 v127, vcc_lo, v17, v8, vcc_lo
	v_add_co_u32 v4, vcc_lo, s22, v2
	v_add_co_ci_u32_e32 v6, vcc_lo, s23, v3, vcc_lo
	s_lshl_b64 s[24:25], s[24:25], 3
	s_delay_alu instid0(VALU_DEP_2) | instskip(SKIP_1) | instid1(VALU_DEP_2)
	v_add_co_u32 v128, vcc_lo, v16, v4
	s_add_u32 s34, s22, s24
	v_add_co_ci_u32_e32 v129, vcc_lo, v17, v6, vcc_lo
	s_addc_u32 s35, s23, s25
	v_add_co_u32 v4, vcc_lo, s34, v2
	v_add_co_ci_u32_e32 v6, vcc_lo, s35, v3, vcc_lo
	s_lshl_b64 s[26:27], s[26:27], 3
	s_delay_alu instid0(VALU_DEP_2) | instskip(SKIP_1) | instid1(VALU_DEP_2)
	v_add_co_u32 v130, vcc_lo, v16, v4
	s_add_u32 s34, s22, s26
	v_add_co_ci_u32_e32 v131, vcc_lo, v17, v6, vcc_lo
	s_addc_u32 s35, s23, s27
	;; [unrolled: 8-line block ×3, first 2 shown]
	v_add_co_u32 v4, vcc_lo, s36, v2
	s_add_u32 s13, s13, s34
	v_add_co_ci_u32_e32 v6, vcc_lo, s37, v3, vcc_lo
	s_addc_u32 s33, s33, s35
	v_add_co_u32 v7, vcc_lo, s13, v2
	v_add_co_ci_u32_e32 v8, vcc_lo, s33, v3, vcc_lo
	v_add_co_u32 v134, vcc_lo, v16, v4
	v_add_co_ci_u32_e32 v135, vcc_lo, v17, v6, vcc_lo
	s_delay_alu instid0(VALU_DEP_4)
	v_add_co_u32 v136, vcc_lo, v16, v7
	s_add_u32 s13, s22, s34
	v_add_co_ci_u32_e32 v137, vcc_lo, v17, v8, vcc_lo
	s_addc_u32 s33, s23, s35
	v_add_co_u32 v4, vcc_lo, s13, v2
	s_add_u32 s34, s13, s24
	v_add_co_ci_u32_e32 v6, vcc_lo, s33, v3, vcc_lo
	s_addc_u32 s35, s33, s25
	v_add_co_u32 v7, vcc_lo, s34, v2
	v_add_co_ci_u32_e32 v8, vcc_lo, s35, v3, vcc_lo
	v_add_co_u32 v138, vcc_lo, v16, v4
	v_add_co_ci_u32_e32 v139, vcc_lo, v17, v6, vcc_lo
	s_delay_alu instid0(VALU_DEP_4)
	v_add_co_u32 v140, vcc_lo, v16, v7
	s_add_u32 s13, s13, s26
	v_add_co_ci_u32_e32 v141, vcc_lo, v17, v8, vcc_lo
	s_addc_u32 s33, s33, s27
	v_add_co_u32 v4, vcc_lo, s13, v2
	v_add_co_ci_u32_e32 v6, vcc_lo, s33, v3, vcc_lo
	s_lshl_b64 s[34:35], s[8:9], 4
	s_delay_alu instid0(VALU_DEP_2) | instskip(SKIP_1) | instid1(VALU_DEP_2)
	v_add_co_u32 v142, vcc_lo, v16, v4
	s_add_u32 s1, s1, s34
	v_add_co_ci_u32_e32 v143, vcc_lo, v17, v6, vcc_lo
	s_addc_u32 s5, s5, s35
	v_add_co_u32 v4, vcc_lo, s1, v2
	s_add_u32 s1, s34, s22
	v_add_co_ci_u32_e32 v6, vcc_lo, s5, v3, vcc_lo
	s_addc_u32 s5, s35, s23
	s_add_u32 s9, s1, s16
	s_addc_u32 s13, s5, s17
	v_add_co_u32 v7, vcc_lo, s9, v2
	v_add_co_ci_u32_e32 v8, vcc_lo, s13, v3, vcc_lo
	v_add_co_u32 v144, vcc_lo, v16, v4
	v_add_co_ci_u32_e32 v145, vcc_lo, v17, v6, vcc_lo
	s_delay_alu instid0(VALU_DEP_4) | instskip(NEXT) | instid1(VALU_DEP_4)
	v_add_co_u32 v146, vcc_lo, v16, v7
	v_add_co_ci_u32_e32 v147, vcc_lo, v17, v8, vcc_lo
	v_add_co_u32 v4, vcc_lo, s1, v2
	s_add_u32 s9, s1, s24
	v_add_co_ci_u32_e32 v6, vcc_lo, s5, v3, vcc_lo
	s_addc_u32 s13, s5, s25
	v_add_co_u32 v7, vcc_lo, s9, v2
	v_add_co_ci_u32_e32 v8, vcc_lo, s13, v3, vcc_lo
	v_add_co_u32 v148, vcc_lo, v16, v4
	v_add_co_ci_u32_e32 v149, vcc_lo, v17, v6, vcc_lo
	s_delay_alu instid0(VALU_DEP_4) | instskip(NEXT) | instid1(VALU_DEP_4)
	v_add_co_u32 v150, vcc_lo, v16, v7
	v_add_co_ci_u32_e32 v151, vcc_lo, v17, v8, vcc_lo
	v_add_co_u32 v0, vcc_lo, s20, v0
	v_add_co_ci_u32_e32 v1, vcc_lo, s21, v1, vcc_lo
	s_add_u32 s1, s1, s26
	s_addc_u32 s5, s5, s27
	v_add_co_u32 v2, vcc_lo, s1, v2
	s_delay_alu instid0(VALU_DEP_2) | instskip(SKIP_1) | instid1(VALU_DEP_3)
	v_lshlrev_b64 v[0:1], 3, v[0:1]
	v_add_co_ci_u32_e32 v3, vcc_lo, s5, v3, vcc_lo
	v_add_co_u32 v152, vcc_lo, v16, v2
	s_mul_i32 s1, s12, 0x180
	s_delay_alu instid0(VALU_DEP_2) | instskip(NEXT) | instid1(VALU_DEP_4)
	v_add_co_ci_u32_e32 v153, vcc_lo, v17, v3, vcc_lo
	v_mad_i64_i32 v[2:3], null, s8, 24, v[0:1]
	s_mul_hi_i32 s5, s8, 24
	s_add_u32 s1, s1, s18
	s_addc_u32 s5, s5, s19
	v_add_co_u32 v0, vcc_lo, s1, v0
	v_add_co_ci_u32_e32 v1, vcc_lo, s5, v1, vcc_lo
	s_delay_alu instid0(VALU_DEP_3) | instskip(NEXT) | instid1(VALU_DEP_4)
	v_add_co_u32 v4, vcc_lo, v2, s16
	v_add_co_ci_u32_e32 v6, vcc_lo, s17, v3, vcc_lo
	s_delay_alu instid0(VALU_DEP_4) | instskip(NEXT) | instid1(VALU_DEP_4)
	v_add_co_u32 v154, vcc_lo, v16, v0
	v_add_co_ci_u32_e32 v155, vcc_lo, v17, v1, vcc_lo
	s_delay_alu instid0(VALU_DEP_4) | instskip(NEXT) | instid1(VALU_DEP_4)
	v_add_co_u32 v156, vcc_lo, v16, v4
	v_add_co_ci_u32_e32 v157, vcc_lo, v17, v6, vcc_lo
	v_add_co_u32 v158, vcc_lo, v16, v2
	v_add_co_ci_u32_e32 v159, vcc_lo, v17, v3, vcc_lo
	;; [unrolled: 2-line block ×4, first 2 shown]
	s_delay_alu instid0(VALU_DEP_4) | instskip(NEXT) | instid1(VALU_DEP_4)
	v_add_co_u32 v160, vcc_lo, v16, v0
	v_add_co_ci_u32_e32 v161, vcc_lo, v17, v1, vcc_lo
	s_delay_alu instid0(VALU_DEP_4)
	v_add_co_u32 v162, vcc_lo, v16, v2
	v_add_nc_u32_e32 v100, 0x2180, v96
	v_add_nc_u32_e32 v101, 0x2380, v96
	v_cmp_gt_u32_e64 s0, 64, v22
	v_or_b32_e32 v105, 1, v97
	v_or_b32_e32 v106, 2, v97
	v_or_b32_e32 v107, 3, v97
	v_lshl_add_u32 v108, v95, 5, 0x2180
	v_mad_u32_u24 v109, 0x860, v95, v96
	v_add_nc_u32_e32 v110, 16, v97
	v_add_nc_u32_e32 v111, 17, v97
	;; [unrolled: 1-line block ×12, first 2 shown]
	v_add_co_ci_u32_e32 v163, vcc_lo, v17, v3, vcc_lo
	v_add_nc_u32_e32 v164, v104, v5
	s_cmp_eq_u32 s30, s14
	s_cselect_b32 s12, s28, 0
	s_and_saveexec_b32 s1, s2
	s_cbranch_execz .LBB183_106
.LBB183_102:
	v_cmp_le_i32_e32 vcc_lo, s12, v25
	s_cmp_lg_u32 s12, 0
	s_cselect_b32 s5, -1, 0
	s_delay_alu instid0(SALU_CYCLE_1) | instskip(NEXT) | instid1(SALU_CYCLE_1)
	s_and_b32 s5, s5, vcc_lo
	s_and_saveexec_b32 s8, s5
	s_delay_alu instid0(SALU_CYCLE_1)
	s_xor_b32 s5, exec_lo, s8
	s_cbranch_execz .LBB183_104
; %bb.103:
	v_mov_b32_e32 v31, v30
	ds_store_b64 v100, v[30:31]
.LBB183_104:
	s_and_not1_saveexec_b32 s5, s5
	s_cbranch_execz .LBB183_106
; %bb.105:
	s_ashr_i32 s5, s4, 31
	s_delay_alu instid0(SALU_CYCLE_1) | instskip(NEXT) | instid1(SALU_CYCLE_1)
	s_lshl_b64 s[8:9], s[4:5], 3
	v_add_co_u32 v0, vcc_lo, v98, s8
	v_add_co_ci_u32_e32 v1, vcc_lo, s9, v99, vcc_lo
	flat_load_b64 v[0:1], v[0:1]
	s_waitcnt vmcnt(0) lgkmcnt(0)
	ds_store_b64 v100, v[0:1]
.LBB183_106:                            ; =>This Inner Loop Header: Depth=1
	s_or_b32 exec_lo, exec_lo, s1
	s_cmp_eq_u32 s12, 0
	v_add_co_u32 v0, vcc_lo, v128, v122
	s_cselect_b32 s5, -1, 0
	s_cmp_lg_u32 s12, 0
	v_add_co_ci_u32_e32 v1, vcc_lo, v129, v123, vcc_lo
	s_cselect_b32 s1, -1, 0
	s_waitcnt lgkmcnt(0)
	s_and_b32 vcc_lo, exec_lo, s1
	s_barrier
	buffer_gl0_inv
	s_cbranch_vccz .LBB183_114
; %bb.107:                              ;   in Loop: Header=BB183_106 Depth=1
	v_mov_b32_e32 v31, 0
	v_mov_b32_e32 v32, 0
	s_mov_b32 s8, exec_lo
	s_delay_alu instid0(VALU_DEP_1)
	v_dual_mov_b32 v34, v32 :: v_dual_mov_b32 v33, v31
	v_cmpx_gt_i32_e64 s12, v97
	s_cbranch_execz .LBB183_109
; %bb.108:                              ;   in Loop: Header=BB183_106 Depth=1
	flat_load_b64 v[33:34], v[0:1]
.LBB183_109:                            ;   in Loop: Header=BB183_106 Depth=1
	s_or_b32 exec_lo, exec_lo, s8
	s_delay_alu instid0(SALU_CYCLE_1)
	s_mov_b32 s8, exec_lo
	v_cmpx_gt_i32_e64 s12, v105
	s_cbranch_execz .LBB183_111
; %bb.110:                              ;   in Loop: Header=BB183_106 Depth=1
	v_add_co_u32 v2, vcc_lo, v126, v122
	v_add_co_ci_u32_e32 v3, vcc_lo, v127, v123, vcc_lo
	flat_load_b64 v[31:32], v[2:3]
.LBB183_111:                            ;   in Loop: Header=BB183_106 Depth=1
	s_or_b32 exec_lo, exec_lo, s8
	v_mov_b32_e32 v35, 0
	v_mov_b32_e32 v36, 0
	s_mov_b32 s8, exec_lo
	v_cmpx_gt_i32_e64 s12, v106
	s_cbranch_execz .LBB183_113
; %bb.112:                              ;   in Loop: Header=BB183_106 Depth=1
	v_add_co_u32 v2, vcc_lo, v130, v122
	v_add_co_ci_u32_e32 v3, vcc_lo, v131, v123, vcc_lo
	flat_load_b64 v[35:36], v[2:3]
.LBB183_113:                            ;   in Loop: Header=BB183_106 Depth=1
	s_or_b32 exec_lo, exec_lo, s8
	v_cmp_gt_i32_e64 s13, s12, v107
	s_mov_b64 s[8:9], 0
	s_branch .LBB183_116
.LBB183_114:                            ;   in Loop: Header=BB183_106 Depth=1
	s_mov_b32 s13, 0
                                        ; implicit-def: $sgpr8_sgpr9
                                        ; implicit-def: $vgpr35_vgpr36
                                        ; implicit-def: $vgpr31_vgpr32
                                        ; implicit-def: $vgpr33_vgpr34
	s_cbranch_execz .LBB183_116
; %bb.115:                              ;   in Loop: Header=BB183_106 Depth=1
	v_add_co_u32 v2, vcc_lo, v126, v122
	v_add_co_ci_u32_e32 v3, vcc_lo, v127, v123, vcc_lo
	v_add_co_u32 v4, vcc_lo, v124, v122
	v_add_co_ci_u32_e32 v5, vcc_lo, v125, v123, vcc_lo
	s_waitcnt vmcnt(0) lgkmcnt(0)
	flat_load_b64 v[33:34], v[0:1]
	flat_load_b64 v[31:32], v[2:3]
	;; [unrolled: 1-line block ×3, first 2 shown]
	s_or_b32 s13, s13, exec_lo
                                        ; implicit-def: $sgpr8_sgpr9
.LBB183_116:                            ;   in Loop: Header=BB183_106 Depth=1
	v_dual_mov_b32 v38, s9 :: v_dual_mov_b32 v37, s8
	s_delay_alu instid0(VALU_DEP_2)
	s_and_saveexec_b32 s8, s13
	s_cbranch_execz .LBB183_118
; %bb.117:                              ;   in Loop: Header=BB183_106 Depth=1
	v_add_co_u32 v0, vcc_lo, v132, v122
	v_add_co_ci_u32_e32 v1, vcc_lo, v133, v123, vcc_lo
	flat_load_b64 v[37:38], v[0:1]
.LBB183_118:                            ;   in Loop: Header=BB183_106 Depth=1
	s_or_b32 exec_lo, exec_lo, s8
	ds_load_b64 v[0:1], v101
	ds_load_b64 v[39:40], v108
	v_cndmask_b32_e64 v29, 0, 1, s1
	s_waitcnt vmcnt(0) lgkmcnt(1)
	v_mul_f32_e32 v3, v1, v33
	v_mul_f32_e32 v5, v1, v31
	;; [unrolled: 1-line block ×3, first 2 shown]
	v_dual_mul_f32 v4, v1, v32 :: v_dual_mul_f32 v9, v0, v38
	s_delay_alu instid0(VALU_DEP_4) | instskip(SKIP_4) | instid1(VALU_DEP_4)
	v_dual_mul_f32 v6, v1, v36 :: v_dual_fmac_f32 v3, v0, v34
	v_mul_f32_e32 v7, v1, v35
	v_dual_mul_f32 v8, v1, v38 :: v_dual_fmac_f32 v5, v0, v32
	v_fma_f32 v2, v0, v33, -v2
	v_fma_f32 v4, v0, v31, -v4
	v_fmac_f32_e32 v7, v0, v36
	v_fma_f32 v6, v0, v35, -v6
	v_fma_f32 v8, v0, v37, -v8
	v_fmac_f32_e32 v9, v1, v37
	ds_store_b64 v109, v[2:3]
	ds_load_b64 v[45:46], v108 offset:8
	ds_store_b64 v109, v[4:5] offset:536
	ds_load_b64 v[43:44], v108 offset:16
	ds_store_b64 v109, v[6:7] offset:1072
	ds_load_b64 v[41:42], v108 offset:24
	ds_store_b64 v109, v[8:9] offset:1608
	s_waitcnt lgkmcnt(0)
	s_barrier
	buffer_gl0_inv
	ds_load_2addr_b64 v[4:7], v104 offset1:1
	ds_load_2addr_b64 v[0:3], v104 offset0:2 offset1:3
	v_add_co_u32 v8, vcc_lo, v138, v122
	v_add_co_ci_u32_e32 v9, vcc_lo, v139, v123, vcc_lo
	s_and_not1_b32 vcc_lo, exec_lo, s1
	s_waitcnt lgkmcnt(0)
	s_barrier
	buffer_gl0_inv
	s_cbranch_vccnz .LBB183_126
; %bb.119:                              ;   in Loop: Header=BB183_106 Depth=1
	v_mov_b32_e32 v47, 0
	v_mov_b32_e32 v48, 0
	s_mov_b32 s1, exec_lo
	s_delay_alu instid0(VALU_DEP_1)
	v_dual_mov_b32 v50, v48 :: v_dual_mov_b32 v49, v47
	v_cmpx_gt_i32_e64 s12, v110
	s_cbranch_execz .LBB183_121
; %bb.120:                              ;   in Loop: Header=BB183_106 Depth=1
	flat_load_b64 v[49:50], v[8:9]
.LBB183_121:                            ;   in Loop: Header=BB183_106 Depth=1
	s_or_b32 exec_lo, exec_lo, s1
	s_delay_alu instid0(SALU_CYCLE_1)
	s_mov_b32 s1, exec_lo
	v_cmpx_gt_i32_e64 s12, v111
	s_cbranch_execz .LBB183_123
; %bb.122:                              ;   in Loop: Header=BB183_106 Depth=1
	v_add_co_u32 v10, vcc_lo, v136, v122
	v_add_co_ci_u32_e32 v11, vcc_lo, v137, v123, vcc_lo
	flat_load_b64 v[47:48], v[10:11]
.LBB183_123:                            ;   in Loop: Header=BB183_106 Depth=1
	s_or_b32 exec_lo, exec_lo, s1
	v_mov_b32_e32 v51, 0
	v_mov_b32_e32 v52, 0
	s_mov_b32 s1, exec_lo
	v_cmpx_gt_i32_e64 s12, v112
	s_cbranch_execz .LBB183_125
; %bb.124:                              ;   in Loop: Header=BB183_106 Depth=1
	v_add_co_u32 v10, vcc_lo, v140, v122
	v_add_co_ci_u32_e32 v11, vcc_lo, v141, v123, vcc_lo
	flat_load_b64 v[51:52], v[10:11]
.LBB183_125:                            ;   in Loop: Header=BB183_106 Depth=1
	s_or_b32 exec_lo, exec_lo, s1
	v_cmp_gt_i32_e64 s1, s12, v113
	s_mov_b64 s[8:9], 0
	s_branch .LBB183_128
.LBB183_126:                            ;   in Loop: Header=BB183_106 Depth=1
	s_mov_b32 s1, 0
                                        ; implicit-def: $sgpr8_sgpr9
                                        ; implicit-def: $vgpr51_vgpr52
                                        ; implicit-def: $vgpr47_vgpr48
                                        ; implicit-def: $vgpr49_vgpr50
	s_cbranch_execz .LBB183_128
; %bb.127:                              ;   in Loop: Header=BB183_106 Depth=1
	v_add_co_u32 v10, vcc_lo, v136, v122
	v_add_co_ci_u32_e32 v11, vcc_lo, v137, v123, vcc_lo
	v_add_co_u32 v12, vcc_lo, v134, v122
	v_add_co_ci_u32_e32 v13, vcc_lo, v135, v123, vcc_lo
	s_waitcnt vmcnt(0) lgkmcnt(0)
	flat_load_b64 v[49:50], v[8:9]
	flat_load_b64 v[47:48], v[10:11]
	;; [unrolled: 1-line block ×3, first 2 shown]
	s_or_b32 s1, s1, exec_lo
                                        ; implicit-def: $sgpr8_sgpr9
.LBB183_128:                            ;   in Loop: Header=BB183_106 Depth=1
	v_dual_mov_b32 v54, s9 :: v_dual_mov_b32 v53, s8
	s_delay_alu instid0(VALU_DEP_2)
	s_and_saveexec_b32 s8, s1
	s_cbranch_execz .LBB183_130
; %bb.129:                              ;   in Loop: Header=BB183_106 Depth=1
	v_add_co_u32 v8, vcc_lo, v142, v122
	v_add_co_ci_u32_e32 v9, vcc_lo, v143, v123, vcc_lo
	flat_load_b64 v[53:54], v[8:9]
.LBB183_130:                            ;   in Loop: Header=BB183_106 Depth=1
	s_or_b32 exec_lo, exec_lo, s8
	ds_load_b64 v[8:9], v101
	ds_load_b64 v[55:56], v108 offset:128
	v_cmp_ne_u32_e32 vcc_lo, 1, v29
	s_and_b32 vcc_lo, exec_lo, vcc_lo
	s_waitcnt vmcnt(0) lgkmcnt(1)
	v_mul_f32_e32 v11, v9, v49
	v_mul_f32_e32 v13, v9, v47
	;; [unrolled: 1-line block ×3, first 2 shown]
	v_dual_mul_f32 v12, v9, v48 :: v_dual_mul_f32 v17, v8, v54
	s_delay_alu instid0(VALU_DEP_4) | instskip(SKIP_4) | instid1(VALU_DEP_4)
	v_dual_mul_f32 v14, v9, v52 :: v_dual_fmac_f32 v11, v8, v50
	v_mul_f32_e32 v15, v9, v51
	v_dual_mul_f32 v16, v9, v54 :: v_dual_fmac_f32 v13, v8, v48
	v_fma_f32 v10, v8, v49, -v10
	v_fma_f32 v12, v8, v47, -v12
	v_fmac_f32_e32 v15, v8, v52
	v_fma_f32 v14, v8, v51, -v14
	v_fma_f32 v16, v8, v53, -v16
	v_fmac_f32_e32 v17, v9, v53
	ds_store_b64 v109, v[10:11]
	ds_load_b64 v[61:62], v108 offset:136
	ds_store_b64 v109, v[12:13] offset:536
	ds_load_b64 v[59:60], v108 offset:144
	ds_store_b64 v109, v[14:15] offset:1072
	;; [unrolled: 2-line block ×3, first 2 shown]
	s_waitcnt lgkmcnt(0)
	s_barrier
	buffer_gl0_inv
	ds_load_2addr_b64 v[12:15], v104 offset1:1
	ds_load_2addr_b64 v[8:11], v104 offset0:2 offset1:3
	v_add_co_u32 v16, s1, v148, v122
	s_delay_alu instid0(VALU_DEP_1)
	v_add_co_ci_u32_e64 v17, s1, v149, v123, s1
	s_waitcnt lgkmcnt(0)
	s_barrier
	buffer_gl0_inv
	s_cbranch_vccnz .LBB183_138
; %bb.131:                              ;   in Loop: Header=BB183_106 Depth=1
	v_mov_b32_e32 v63, 0
	v_mov_b32_e32 v64, 0
	s_mov_b32 s1, exec_lo
	s_delay_alu instid0(VALU_DEP_1)
	v_dual_mov_b32 v66, v64 :: v_dual_mov_b32 v65, v63
	v_cmpx_gt_i32_e64 s12, v114
	s_cbranch_execz .LBB183_133
; %bb.132:                              ;   in Loop: Header=BB183_106 Depth=1
	flat_load_b64 v[65:66], v[16:17]
.LBB183_133:                            ;   in Loop: Header=BB183_106 Depth=1
	s_or_b32 exec_lo, exec_lo, s1
	s_delay_alu instid0(SALU_CYCLE_1)
	s_mov_b32 s1, exec_lo
	v_cmpx_gt_i32_e64 s12, v115
	s_cbranch_execz .LBB183_135
; %bb.134:                              ;   in Loop: Header=BB183_106 Depth=1
	v_add_co_u32 v18, vcc_lo, v146, v122
	v_add_co_ci_u32_e32 v19, vcc_lo, v147, v123, vcc_lo
	flat_load_b64 v[63:64], v[18:19]
.LBB183_135:                            ;   in Loop: Header=BB183_106 Depth=1
	s_or_b32 exec_lo, exec_lo, s1
	v_mov_b32_e32 v67, 0
	v_mov_b32_e32 v68, 0
	s_mov_b32 s1, exec_lo
	v_cmpx_gt_i32_e64 s12, v116
	s_cbranch_execz .LBB183_137
; %bb.136:                              ;   in Loop: Header=BB183_106 Depth=1
	v_add_co_u32 v18, vcc_lo, v150, v122
	v_add_co_ci_u32_e32 v19, vcc_lo, v151, v123, vcc_lo
	flat_load_b64 v[67:68], v[18:19]
.LBB183_137:                            ;   in Loop: Header=BB183_106 Depth=1
	s_or_b32 exec_lo, exec_lo, s1
	v_cmp_gt_i32_e64 s1, s12, v117
	s_mov_b64 s[8:9], 0
	s_branch .LBB183_140
.LBB183_138:                            ;   in Loop: Header=BB183_106 Depth=1
	s_mov_b32 s1, 0
                                        ; implicit-def: $sgpr8_sgpr9
                                        ; implicit-def: $vgpr67_vgpr68
                                        ; implicit-def: $vgpr63_vgpr64
                                        ; implicit-def: $vgpr65_vgpr66
	s_cbranch_execz .LBB183_140
; %bb.139:                              ;   in Loop: Header=BB183_106 Depth=1
	v_add_co_u32 v18, vcc_lo, v146, v122
	v_add_co_ci_u32_e32 v19, vcc_lo, v147, v123, vcc_lo
	v_add_co_u32 v20, vcc_lo, v144, v122
	v_add_co_ci_u32_e32 v21, vcc_lo, v145, v123, vcc_lo
	s_waitcnt vmcnt(0) lgkmcnt(0)
	flat_load_b64 v[65:66], v[16:17]
	flat_load_b64 v[63:64], v[18:19]
	;; [unrolled: 1-line block ×3, first 2 shown]
	s_or_b32 s1, s1, exec_lo
                                        ; implicit-def: $sgpr8_sgpr9
.LBB183_140:                            ;   in Loop: Header=BB183_106 Depth=1
	v_dual_mov_b32 v70, s9 :: v_dual_mov_b32 v69, s8
	s_delay_alu instid0(VALU_DEP_2)
	s_and_saveexec_b32 s8, s1
	s_cbranch_execz .LBB183_142
; %bb.141:                              ;   in Loop: Header=BB183_106 Depth=1
	v_add_co_u32 v16, vcc_lo, v152, v122
	v_add_co_ci_u32_e32 v17, vcc_lo, v153, v123, vcc_lo
	flat_load_b64 v[69:70], v[16:17]
.LBB183_142:                            ;   in Loop: Header=BB183_106 Depth=1
	s_or_b32 exec_lo, exec_lo, s8
	ds_load_b64 v[16:17], v101
	ds_load_b64 v[71:72], v108 offset:256
	v_cmp_ne_u32_e32 vcc_lo, 1, v29
	v_add_co_u32 v85, s1, v158, v122
	s_delay_alu instid0(VALU_DEP_1)
	v_add_co_ci_u32_e64 v86, s1, v159, v123, s1
	s_and_b32 vcc_lo, exec_lo, vcc_lo
	s_waitcnt vmcnt(0) lgkmcnt(1)
	v_dual_mul_f32 v19, v17, v65 :: v_dual_mul_f32 v80, v16, v70
	v_mul_f32_e32 v21, v17, v63
	v_mul_f32_e32 v18, v17, v66
	s_delay_alu instid0(VALU_DEP_3)
	v_dual_mul_f32 v20, v17, v64 :: v_dual_fmac_f32 v19, v16, v66
	v_mul_f32_e32 v22, v17, v68
	v_mul_f32_e32 v23, v17, v67
	;; [unrolled: 1-line block ×3, first 2 shown]
	v_fmac_f32_e32 v21, v16, v64
	v_fma_f32 v18, v16, v65, -v18
	v_fma_f32 v20, v16, v63, -v20
	;; [unrolled: 1-line block ×3, first 2 shown]
	v_dual_fmac_f32 v23, v16, v68 :: v_dual_fmac_f32 v80, v17, v69
	v_fma_f32 v79, v16, v69, -v73
	ds_store_b64 v109, v[18:19]
	ds_load_b64 v[77:78], v108 offset:264
	ds_store_b64 v109, v[20:21] offset:536
	ds_load_b64 v[75:76], v108 offset:272
	ds_store_b64 v109, v[22:23] offset:1072
	;; [unrolled: 2-line block ×3, first 2 shown]
	s_waitcnt lgkmcnt(0)
	s_barrier
	buffer_gl0_inv
	ds_load_2addr_b64 v[20:23], v104 offset1:1
	ds_load_2addr_b64 v[16:19], v104 offset0:2 offset1:3
	s_waitcnt lgkmcnt(0)
	s_barrier
	buffer_gl0_inv
	s_cbranch_vccnz .LBB183_150
; %bb.143:                              ;   in Loop: Header=BB183_106 Depth=1
	v_mov_b32_e32 v79, 0
	v_mov_b32_e32 v80, 0
	s_mov_b32 s1, exec_lo
	s_delay_alu instid0(VALU_DEP_1)
	v_dual_mov_b32 v82, v80 :: v_dual_mov_b32 v81, v79
	v_cmpx_gt_i32_e64 s12, v118
	s_cbranch_execz .LBB183_145
; %bb.144:                              ;   in Loop: Header=BB183_106 Depth=1
	flat_load_b64 v[81:82], v[85:86]
.LBB183_145:                            ;   in Loop: Header=BB183_106 Depth=1
	s_or_b32 exec_lo, exec_lo, s1
	s_delay_alu instid0(SALU_CYCLE_1)
	s_mov_b32 s1, exec_lo
	v_cmpx_gt_i32_e64 s12, v119
	s_cbranch_execz .LBB183_147
; %bb.146:                              ;   in Loop: Header=BB183_106 Depth=1
	v_add_co_u32 v79, vcc_lo, v156, v122
	v_add_co_ci_u32_e32 v80, vcc_lo, v157, v123, vcc_lo
	flat_load_b64 v[79:80], v[79:80]
.LBB183_147:                            ;   in Loop: Header=BB183_106 Depth=1
	s_or_b32 exec_lo, exec_lo, s1
	v_mov_b32_e32 v83, 0
	v_mov_b32_e32 v84, 0
	s_mov_b32 s1, exec_lo
	v_cmpx_gt_i32_e64 s12, v120
	s_cbranch_execz .LBB183_149
; %bb.148:                              ;   in Loop: Header=BB183_106 Depth=1
	v_add_co_u32 v83, vcc_lo, v160, v122
	v_add_co_ci_u32_e32 v84, vcc_lo, v161, v123, vcc_lo
	flat_load_b64 v[83:84], v[83:84]
.LBB183_149:                            ;   in Loop: Header=BB183_106 Depth=1
	s_or_b32 exec_lo, exec_lo, s1
	v_cmp_gt_i32_e64 s1, s12, v121
	s_mov_b64 s[8:9], 0
	s_branch .LBB183_152
.LBB183_150:                            ;   in Loop: Header=BB183_106 Depth=1
	s_mov_b32 s1, 0
                                        ; implicit-def: $sgpr8_sgpr9
                                        ; implicit-def: $vgpr83_vgpr84
                                        ; implicit-def: $vgpr79_vgpr80
                                        ; implicit-def: $vgpr81_vgpr82
	s_cbranch_execz .LBB183_152
; %bb.151:                              ;   in Loop: Header=BB183_106 Depth=1
	s_waitcnt vmcnt(0) lgkmcnt(0)
	v_add_co_u32 v79, vcc_lo, v156, v122
	v_add_co_ci_u32_e32 v80, vcc_lo, v157, v123, vcc_lo
	v_add_co_u32 v83, vcc_lo, v154, v122
	v_add_co_ci_u32_e32 v84, vcc_lo, v155, v123, vcc_lo
	flat_load_b64 v[81:82], v[85:86]
	flat_load_b64 v[79:80], v[79:80]
	;; [unrolled: 1-line block ×3, first 2 shown]
	s_or_b32 s1, s1, exec_lo
                                        ; implicit-def: $sgpr8_sgpr9
.LBB183_152:                            ;   in Loop: Header=BB183_106 Depth=1
	v_dual_mov_b32 v86, s9 :: v_dual_mov_b32 v85, s8
	s_delay_alu instid0(VALU_DEP_2)
	s_and_saveexec_b32 s8, s1
	s_cbranch_execz .LBB183_154
; %bb.153:                              ;   in Loop: Header=BB183_106 Depth=1
	v_add_co_u32 v85, vcc_lo, v162, v122
	v_add_co_ci_u32_e32 v86, vcc_lo, v163, v123, vcc_lo
	flat_load_b64 v[85:86], v[85:86]
.LBB183_154:                            ;   in Loop: Header=BB183_106 Depth=1
	s_or_b32 exec_lo, exec_lo, s8
	ds_load_b64 v[89:90], v101
	ds_load_b64 v[87:88], v108 offset:384
	v_add_f32_e32 v4, 0, v4
	v_cmp_gt_i32_e32 vcc_lo, s12, v25
	v_add_f32_e32 v13, 0, v13
	v_dual_add_f32 v5, 0, v5 :: v_dual_add_f32 v20, 0, v20
	v_dual_add_f32 v21, 0, v21 :: v_dual_add_f32 v12, 0, v12
	s_or_b32 s1, s5, vcc_lo
	s_delay_alu instid0(VALU_DEP_2) | instskip(SKIP_1) | instid1(VALU_DEP_3)
	v_add_f32_e32 v5, v5, v7
	v_dual_add_f32 v13, v13, v15 :: v_dual_add_f32 v4, v4, v6
	v_add_f32_e32 v12, v12, v14
	s_and_b32 s5, s0, s1
	s_delay_alu instid0(VALU_DEP_3) | instskip(NEXT) | instid1(VALU_DEP_3)
	v_add_f32_e32 v15, v5, v1
	v_add_f32_e32 v9, v13, v9
	v_add_f32_e32 v13, v4, v0
	s_waitcnt vmcnt(0) lgkmcnt(1)
	v_mul_f32_e32 v94, v90, v84
	v_mul_f32_e32 v168, v90, v83
	;; [unrolled: 1-line block ×5, first 2 shown]
	v_dual_mul_f32 v93, v90, v80 :: v_dual_mul_f32 v170, v89, v86
	v_dual_mul_f32 v169, v90, v86 :: v_dual_fmac_f32 v168, v89, v84
	s_delay_alu instid0(VALU_DEP_4) | instskip(NEXT) | instid1(VALU_DEP_4)
	v_fmac_f32_e32 v166, v89, v80
	v_fma_f32 v91, v89, v81, -v29
	v_add_f32_e32 v29, v20, v22
	v_fmac_f32_e32 v92, v89, v82
	v_fma_f32 v165, v89, v79, -v93
	v_fma_f32 v167, v89, v83, -v94
	v_fma_f32 v169, v89, v85, -v169
	v_fmac_f32_e32 v170, v90, v85
	ds_store_b64 v109, v[91:92]
	ds_load_b64 v[93:94], v108 offset:392
	ds_store_b64 v109, v[165:166] offset:536
	ds_load_b64 v[91:92], v108 offset:400
	ds_store_b64 v109, v[167:168] offset:1072
	;; [unrolled: 2-line block ×3, first 2 shown]
	v_add_f32_e32 v169, v21, v23
	s_waitcnt lgkmcnt(0)
	s_barrier
	buffer_gl0_inv
	ds_load_2addr_b64 v[165:168], v104 offset1:1
	ds_load_2addr_b64 v[20:23], v104 offset0:2 offset1:3
	v_dual_add_f32 v7, v169, v17 :: v_dual_add_f32 v8, v12, v8
	v_add_f32_e32 v2, v13, v2
	s_waitcnt lgkmcnt(0)
	s_barrier
	s_delay_alu instid0(VALU_DEP_2) | instskip(SKIP_3) | instid1(VALU_DEP_2)
	v_dual_add_f32 v1, v7, v19 :: v_dual_add_f32 v4, v8, v10
	buffer_gl0_inv
	v_dual_add_f32 v3, v15, v3 :: v_dual_add_f32 v12, 0, v165
	v_add_f32_e32 v14, 0, v166
	v_dual_add_f32 v6, v29, v16 :: v_dual_add_f32 v5, v12, v167
	s_delay_alu instid0(VALU_DEP_2) | instskip(NEXT) | instid1(VALU_DEP_1)
	v_add_f32_e32 v12, v14, v168
	v_dual_add_f32 v7, v12, v21 :: v_dual_add_f32 v0, v6, v18
	s_delay_alu instid0(VALU_DEP_3) | instskip(SKIP_1) | instid1(VALU_DEP_2)
	v_add_f32_e32 v6, v5, v20
	v_add_f32_e32 v5, v9, v11
	v_dual_add_f32 v7, v7, v23 :: v_dual_add_f32 v6, v6, v22
	ds_store_2addr_b64 v164, v[2:3], v[4:5] offset1:16
	ds_store_2addr_b64 v164, v[0:1], v[6:7] offset0:32 offset1:48
	s_waitcnt lgkmcnt(0)
	s_barrier
	buffer_gl0_inv
	s_and_saveexec_b32 s1, s5
	s_cbranch_execz .LBB183_156
; %bb.155:                              ;   in Loop: Header=BB183_106 Depth=1
	ds_load_b64 v[11:12], v102
	ds_load_2addr_b64 v[0:3], v102 offset0:1 offset1:2
	ds_load_2addr_b64 v[4:7], v102 offset0:3 offset1:4
	v_ashrrev_i32_e32 v29, 31, v28
	s_waitcnt lgkmcnt(1)
	v_dual_add_f32 v0, v0, v11 :: v_dual_add_f32 v1, v1, v12
	ds_load_2addr_b64 v[8:11], v102 offset0:5 offset1:6
	v_add_f32_e32 v0, v0, v2
	v_add_f32_e32 v12, v1, v3
	s_waitcnt lgkmcnt(1)
	s_delay_alu instid0(VALU_DEP_2) | instskip(SKIP_3) | instid1(VALU_DEP_2)
	v_add_f32_e32 v4, v0, v4
	ds_load_2addr_b64 v[0:3], v102 offset0:7 offset1:8
	v_add_f32_e32 v5, v12, v5
	v_add_f32_e32 v4, v4, v6
	;; [unrolled: 1-line block ×3, first 2 shown]
	s_waitcnt lgkmcnt(1)
	s_delay_alu instid0(VALU_DEP_2) | instskip(SKIP_3) | instid1(VALU_DEP_2)
	v_add_f32_e32 v8, v4, v8
	ds_load_2addr_b64 v[4:7], v102 offset0:9 offset1:10
	v_add_f32_e32 v9, v12, v9
	v_add_f32_e32 v8, v8, v10
	;; [unrolled: 1-line block ×3, first 2 shown]
	s_waitcnt lgkmcnt(1)
	s_delay_alu instid0(VALU_DEP_2) | instskip(SKIP_4) | instid1(VALU_DEP_1)
	v_add_f32_e32 v0, v8, v0
	ds_load_2addr_b64 v[8:11], v102 offset0:11 offset1:12
	v_add_f32_e32 v1, v12, v1
	v_add_f32_e32 v12, v0, v2
	s_waitcnt lgkmcnt(1)
	v_add_f32_e32 v4, v12, v4
	s_delay_alu instid0(VALU_DEP_1) | instskip(SKIP_1) | instid1(VALU_DEP_1)
	v_add_f32_e32 v6, v4, v6
	s_waitcnt lgkmcnt(0)
	v_add_f32_e32 v6, v6, v8
	s_delay_alu instid0(VALU_DEP_1) | instskip(SKIP_2) | instid1(VALU_DEP_1)
	v_dual_add_f32 v6, v6, v10 :: v_dual_add_f32 v13, v1, v3
	ds_load_2addr_b64 v[0:3], v102 offset0:13 offset1:14
	v_add_f32_e32 v5, v13, v5
	v_add_f32_e32 v7, v5, v7
	ds_load_b64 v[4:5], v103
	v_add_f32_e32 v7, v7, v9
	s_waitcnt lgkmcnt(1)
	s_delay_alu instid0(VALU_DEP_1) | instskip(NEXT) | instid1(VALU_DEP_1)
	v_dual_add_f32 v7, v7, v11 :: v_dual_add_f32 v0, v6, v0
	v_dual_add_f32 v1, v7, v1 :: v_dual_add_f32 v2, v0, v2
	s_delay_alu instid0(VALU_DEP_1) | instskip(SKIP_2) | instid1(VALU_DEP_2)
	v_add_f32_e32 v3, v1, v3
	v_lshlrev_b64 v[0:1], 3, v[28:29]
	s_waitcnt lgkmcnt(0)
	v_dual_add_f32 v2, v2, v4 :: v_dual_add_f32 v3, v3, v5
	s_delay_alu instid0(VALU_DEP_2) | instskip(NEXT) | instid1(VALU_DEP_3)
	v_add_co_u32 v0, vcc_lo, s3, v0
	v_add_co_ci_u32_e32 v1, vcc_lo, s11, v1, vcc_lo
	global_store_b64 v[0:1], v[2:3], off
.LBB183_156:                            ;   in Loop: Header=BB183_106 Depth=1
	s_or_b32 exec_lo, exec_lo, s1
	v_dual_mul_f32 v0, v40, v34 :: v_dual_mul_f32 v3, v46, v31
	v_dual_mul_f32 v1, v40, v33 :: v_dual_mul_f32 v2, v46, v32
	;; [unrolled: 1-line block ×3, first 2 shown]
	s_delay_alu instid0(VALU_DEP_3) | instskip(NEXT) | instid1(VALU_DEP_3)
	v_fma_f32 v0, v39, v33, -v0
	v_fmac_f32_e32 v1, v39, v34
	s_delay_alu instid0(VALU_DEP_4) | instskip(SKIP_1) | instid1(VALU_DEP_4)
	v_fma_f32 v2, v45, v31, -v2
	v_dual_mul_f32 v5, v44, v35 :: v_dual_mul_f32 v6, v42, v38
	v_dual_add_f32 v0, v26, v0 :: v_dual_mul_f32 v9, v56, v49
	v_dual_mul_f32 v8, v56, v50 :: v_dual_fmac_f32 v3, v45, v32
	v_fma_f32 v4, v43, v35, -v4
	s_delay_alu instid0(VALU_DEP_3) | instskip(SKIP_3) | instid1(VALU_DEP_4)
	v_add_f32_e32 v0, v0, v2
	v_dual_mul_f32 v2, v62, v48 :: v_dual_add_f32 v1, v27, v1
	v_fma_f32 v6, v41, v37, -v6
	v_fmac_f32_e32 v5, v43, v36
	v_add_f32_e32 v0, v0, v4
	v_mul_f32_e32 v4, v62, v47
	v_add_f32_e32 v1, v1, v3
	v_fma_f32 v3, v55, v49, -v8
	v_fmac_f32_e32 v7, v41, v38
	v_add_f32_e32 v0, v0, v6
	s_delay_alu instid0(VALU_DEP_4) | instskip(SKIP_1) | instid1(VALU_DEP_3)
	v_dual_mul_f32 v6, v60, v52 :: v_dual_add_f32 v1, v1, v5
	v_fma_f32 v2, v61, v47, -v2
	v_dual_fmac_f32 v9, v55, v50 :: v_dual_add_f32 v0, v0, v3
	v_mul_f32_e32 v3, v58, v54
	s_delay_alu instid0(VALU_DEP_4) | instskip(SKIP_3) | instid1(VALU_DEP_4)
	v_add_f32_e32 v1, v1, v7
	v_fma_f32 v5, v59, v51, -v6
	v_fmac_f32_e32 v4, v61, v48
	v_add_f32_e32 v0, v0, v2
	v_dual_mul_f32 v2, v60, v51 :: v_dual_add_f32 v1, v1, v9
	v_fma_f32 v3, v57, v53, -v3
	v_add_co_u32 v124, vcc_lo, v124, s6
	s_delay_alu instid0(VALU_DEP_3) | instskip(SKIP_4) | instid1(VALU_DEP_4)
	v_fmac_f32_e32 v2, v59, v52
	v_add_f32_e32 v0, v0, v5
	v_mul_f32_e32 v5, v72, v66
	v_dual_add_f32 v1, v1, v4 :: v_dual_mul_f32 v4, v58, v53
	v_add_co_ci_u32_e32 v125, vcc_lo, s7, v125, vcc_lo
	v_add_f32_e32 v0, v0, v3
	s_delay_alu instid0(VALU_DEP_4)
	v_fma_f32 v3, v71, v65, -v5
	v_mul_f32_e32 v5, v78, v64
	v_add_f32_e32 v1, v1, v2
	v_fmac_f32_e32 v4, v57, v54
	v_add_co_u32 v126, vcc_lo, v126, s6
	v_add_f32_e32 v0, v0, v3
	v_fma_f32 v3, v77, v63, -v5
	v_mul_f32_e32 v5, v76, v68
	v_dual_mul_f32 v2, v72, v65 :: v_dual_add_f32 v1, v1, v4
	v_mul_f32_e32 v4, v78, v63
	s_delay_alu instid0(VALU_DEP_4) | instskip(NEXT) | instid1(VALU_DEP_4)
	v_add_f32_e32 v0, v0, v3
	v_fma_f32 v3, v75, v67, -v5
	v_mul_f32_e32 v5, v74, v70
	v_add_co_ci_u32_e32 v127, vcc_lo, s7, v127, vcc_lo
	v_fmac_f32_e32 v4, v77, v64
	v_fmac_f32_e32 v2, v71, v66
	v_add_co_u32 v128, vcc_lo, v128, s6
	v_add_co_ci_u32_e32 v129, vcc_lo, s7, v129, vcc_lo
	s_delay_alu instid0(VALU_DEP_3) | instskip(SKIP_2) | instid1(VALU_DEP_3)
	v_dual_add_f32 v1, v1, v2 :: v_dual_mul_f32 v2, v76, v67
	v_add_co_u32 v130, vcc_lo, v130, s6
	v_add_co_ci_u32_e32 v131, vcc_lo, s7, v131, vcc_lo
	v_dual_add_f32 v1, v1, v4 :: v_dual_add_f32 v0, v0, v3
	v_fma_f32 v3, v73, v69, -v5
	v_add_co_u32 v132, vcc_lo, v132, s6
	v_mul_f32_e32 v5, v74, v69
	v_add_co_ci_u32_e32 v133, vcc_lo, s7, v133, vcc_lo
	s_delay_alu instid0(VALU_DEP_4) | instskip(NEXT) | instid1(VALU_DEP_3)
	v_dual_add_f32 v0, v0, v3 :: v_dual_mul_f32 v3, v94, v80
	v_dual_fmac_f32 v2, v75, v68 :: v_dual_fmac_f32 v5, v73, v70
	v_add_co_u32 v134, vcc_lo, v134, s6
	v_add_co_ci_u32_e32 v135, vcc_lo, s7, v135, vcc_lo
	v_add_co_u32 v136, vcc_lo, v136, s6
	s_delay_alu instid0(VALU_DEP_4) | instskip(SKIP_3) | instid1(VALU_DEP_4)
	v_add_f32_e32 v1, v1, v2
	v_mul_f32_e32 v4, v88, v82
	v_add_co_ci_u32_e32 v137, vcc_lo, s7, v137, vcc_lo
	v_add_co_u32 v138, vcc_lo, v138, s6
	v_add_f32_e32 v1, v1, v5
	v_add_co_ci_u32_e32 v139, vcc_lo, s7, v139, vcc_lo
	v_fma_f32 v2, v87, v81, -v4
	v_mul_f32_e32 v4, v88, v81
	v_add_co_u32 v140, vcc_lo, v140, s6
	v_add_co_ci_u32_e32 v141, vcc_lo, s7, v141, vcc_lo
	v_add_co_u32 v142, vcc_lo, v142, s6
	s_delay_alu instid0(VALU_DEP_4) | instskip(SKIP_3) | instid1(VALU_DEP_4)
	v_dual_fmac_f32 v4, v87, v82 :: v_dual_mul_f32 v5, v92, v84
	v_add_f32_e32 v0, v0, v2
	v_fma_f32 v2, v93, v79, -v3
	v_mul_f32_e32 v3, v94, v79
	v_add_f32_e32 v1, v1, v4
	v_add_co_ci_u32_e32 v143, vcc_lo, s7, v143, vcc_lo
	v_add_co_u32 v144, vcc_lo, v144, s6
	v_add_co_ci_u32_e32 v145, vcc_lo, s7, v145, vcc_lo
	v_add_co_u32 v146, vcc_lo, v146, s6
	v_fmac_f32_e32 v3, v93, v80
	v_add_co_ci_u32_e32 v147, vcc_lo, s7, v147, vcc_lo
	v_add_co_u32 v148, vcc_lo, v148, s6
	v_add_co_ci_u32_e32 v149, vcc_lo, s7, v149, vcc_lo
	s_delay_alu instid0(VALU_DEP_4) | instskip(SKIP_4) | instid1(VALU_DEP_4)
	v_dual_add_f32 v0, v0, v2 :: v_dual_add_f32 v1, v1, v3
	v_mul_f32_e32 v6, v90, v85
	v_add_co_u32 v150, vcc_lo, v150, s6
	v_add_co_ci_u32_e32 v151, vcc_lo, s7, v151, vcc_lo
	v_add_co_u32 v152, vcc_lo, v152, s6
	v_fmac_f32_e32 v6, v89, v86
	v_mul_f32_e32 v2, v92, v83
	v_add_co_ci_u32_e32 v153, vcc_lo, s7, v153, vcc_lo
	v_add_co_u32 v154, vcc_lo, v154, s6
	v_add_co_ci_u32_e32 v155, vcc_lo, s7, v155, vcc_lo
	v_add_co_u32 v156, vcc_lo, v156, s6
	v_fma_f32 v4, v91, v83, -v5
	v_dual_mul_f32 v5, v90, v86 :: v_dual_fmac_f32 v2, v91, v84
	v_add_co_ci_u32_e32 v157, vcc_lo, s7, v157, vcc_lo
	v_add_co_u32 v158, vcc_lo, v158, s6
	v_add_co_ci_u32_e32 v159, vcc_lo, s7, v159, vcc_lo
	v_add_f32_e32 v0, v0, v4
	v_fma_f32 v3, v89, v85, -v5
	v_add_f32_e32 v1, v1, v2
	v_add_co_u32 v160, vcc_lo, v160, s6
	v_add_co_ci_u32_e32 v161, vcc_lo, s7, v161, vcc_lo
	s_delay_alu instid0(VALU_DEP_3)
	v_add_f32_e32 v27, v1, v6
	v_add_co_u32 v162, vcc_lo, v162, s6
	v_add_f32_e32 v26, v0, v3
	v_add_nc_u32_e32 v28, 64, v28
	v_add_co_ci_u32_e32 v163, vcc_lo, s7, v163, vcc_lo
	s_add_i32 s5, s14, 2
	s_add_i32 s1, s14, 1
	;; [unrolled: 1-line block ×3, first 2 shown]
	s_cmp_ge_u32 s5, s15
	s_waitcnt_vscnt null, 0x0
	s_barrier
	buffer_gl0_inv
	s_cbranch_scc1 .LBB183_158
; %bb.157:                              ;   in Loop: Header=BB183_106 Depth=1
	s_mov_b32 s14, s1
	s_delay_alu instid0(SALU_CYCLE_1)
	s_cmp_eq_u32 s30, s14
	s_cselect_b32 s12, s28, 0
	s_and_saveexec_b32 s1, s2
	s_cbranch_execnz .LBB183_102
	s_branch .LBB183_106
.LBB183_158:
	v_cmp_gt_i32_e32 vcc_lo, s10, v25
	v_mad_u32_u24 v0, 0x218, v95, v96
	s_or_b32 s0, s29, vcc_lo
	ds_store_b64 v0, v[26:27]
	s_and_b32 s0, s2, s0
	s_waitcnt lgkmcnt(0)
	s_barrier
	buffer_gl0_inv
	s_and_saveexec_b32 s1, s0
	s_cbranch_execz .LBB183_160
; %bb.159:
	ds_load_2addr_b64 v[0:3], v96 offset1:67
	ds_load_2addr_b64 v[4:7], v96 offset0:134 offset1:201
	v_ashrrev_i32_e32 v25, 31, v24
	s_waitcnt lgkmcnt(1)
	v_dual_add_f32 v0, v2, v0 :: v_dual_add_f32 v1, v3, v1
	s_waitcnt lgkmcnt(0)
	s_delay_alu instid0(VALU_DEP_1) | instskip(SKIP_1) | instid1(VALU_DEP_2)
	v_dual_add_f32 v2, v0, v4 :: v_dual_add_f32 v3, v1, v5
	v_lshlrev_b64 v[0:1], 3, v[24:25]
	v_dual_add_f32 v2, v2, v6 :: v_dual_add_f32 v3, v3, v7
	s_delay_alu instid0(VALU_DEP_2) | instskip(NEXT) | instid1(VALU_DEP_3)
	v_add_co_u32 v0, vcc_lo, s3, v0
	v_add_co_ci_u32_e32 v1, vcc_lo, s11, v1, vcc_lo
	global_store_b64 v[0:1], v[2:3], off
.LBB183_160:
	s_nop 0
	s_sendmsg sendmsg(MSG_DEALLOC_VGPRS)
	s_endpgm
	.section	.rodata,"a",@progbits
	.p2align	6, 0x0
	.amdhsa_kernel _ZL26rocblas_hemvn_kernel_upperILb0ELi64ELi4ELi33ELi32ELi16Ei19rocblas_complex_numIfEPKPKS1_PS1_EviT6_lT7_lT5_lS8_lS9_lS7_lT8_i
		.amdhsa_group_segment_fixed_size 9600
		.amdhsa_private_segment_fixed_size 0
		.amdhsa_kernarg_size 376
		.amdhsa_user_sgpr_count 14
		.amdhsa_user_sgpr_dispatch_ptr 0
		.amdhsa_user_sgpr_queue_ptr 0
		.amdhsa_user_sgpr_kernarg_segment_ptr 1
		.amdhsa_user_sgpr_dispatch_id 0
		.amdhsa_user_sgpr_private_segment_size 0
		.amdhsa_wavefront_size32 1
		.amdhsa_uses_dynamic_stack 0
		.amdhsa_enable_private_segment 0
		.amdhsa_system_sgpr_workgroup_id_x 1
		.amdhsa_system_sgpr_workgroup_id_y 0
		.amdhsa_system_sgpr_workgroup_id_z 1
		.amdhsa_system_sgpr_workgroup_info 0
		.amdhsa_system_vgpr_workitem_id 1
		.amdhsa_next_free_vgpr 171
		.amdhsa_next_free_sgpr 38
		.amdhsa_reserve_vcc 1
		.amdhsa_float_round_mode_32 0
		.amdhsa_float_round_mode_16_64 0
		.amdhsa_float_denorm_mode_32 3
		.amdhsa_float_denorm_mode_16_64 3
		.amdhsa_dx10_clamp 1
		.amdhsa_ieee_mode 1
		.amdhsa_fp16_overflow 0
		.amdhsa_workgroup_processor_mode 1
		.amdhsa_memory_ordered 1
		.amdhsa_forward_progress 0
		.amdhsa_shared_vgpr_count 0
		.amdhsa_exception_fp_ieee_invalid_op 0
		.amdhsa_exception_fp_denorm_src 0
		.amdhsa_exception_fp_ieee_div_zero 0
		.amdhsa_exception_fp_ieee_overflow 0
		.amdhsa_exception_fp_ieee_underflow 0
		.amdhsa_exception_fp_ieee_inexact 0
		.amdhsa_exception_int_div_zero 0
	.end_amdhsa_kernel
	.section	.text._ZL26rocblas_hemvn_kernel_upperILb0ELi64ELi4ELi33ELi32ELi16Ei19rocblas_complex_numIfEPKPKS1_PS1_EviT6_lT7_lT5_lS8_lS9_lS7_lT8_i,"axG",@progbits,_ZL26rocblas_hemvn_kernel_upperILb0ELi64ELi4ELi33ELi32ELi16Ei19rocblas_complex_numIfEPKPKS1_PS1_EviT6_lT7_lT5_lS8_lS9_lS7_lT8_i,comdat
.Lfunc_end183:
	.size	_ZL26rocblas_hemvn_kernel_upperILb0ELi64ELi4ELi33ELi32ELi16Ei19rocblas_complex_numIfEPKPKS1_PS1_EviT6_lT7_lT5_lS8_lS9_lS7_lT8_i, .Lfunc_end183-_ZL26rocblas_hemvn_kernel_upperILb0ELi64ELi4ELi33ELi32ELi16Ei19rocblas_complex_numIfEPKPKS1_PS1_EviT6_lT7_lT5_lS8_lS9_lS7_lT8_i
                                        ; -- End function
	.section	.AMDGPU.csdata,"",@progbits
; Kernel info:
; codeLenInByte = 9932
; NumSgprs: 40
; NumVgprs: 171
; ScratchSize: 0
; MemoryBound: 1
; FloatMode: 240
; IeeeMode: 1
; LDSByteSize: 9600 bytes/workgroup (compile time only)
; SGPRBlocks: 4
; VGPRBlocks: 21
; NumSGPRsForWavesPerEU: 40
; NumVGPRsForWavesPerEU: 171
; Occupancy: 8
; WaveLimiterHint : 1
; COMPUTE_PGM_RSRC2:SCRATCH_EN: 0
; COMPUTE_PGM_RSRC2:USER_SGPR: 14
; COMPUTE_PGM_RSRC2:TRAP_HANDLER: 0
; COMPUTE_PGM_RSRC2:TGID_X_EN: 1
; COMPUTE_PGM_RSRC2:TGID_Y_EN: 0
; COMPUTE_PGM_RSRC2:TGID_Z_EN: 1
; COMPUTE_PGM_RSRC2:TIDIG_COMP_CNT: 1
	.section	.text._ZL26rocblas_hemvn_kernel_lowerILb0ELi64ELi4ELi33ELi32ELi16ElPK19rocblas_complex_numIfEPKS3_PS1_EviT6_lT7_lT5_lS8_lS9_lS7_lT8_i,"axG",@progbits,_ZL26rocblas_hemvn_kernel_lowerILb0ELi64ELi4ELi33ELi32ELi16ElPK19rocblas_complex_numIfEPKS3_PS1_EviT6_lT7_lT5_lS8_lS9_lS7_lT8_i,comdat
	.globl	_ZL26rocblas_hemvn_kernel_lowerILb0ELi64ELi4ELi33ELi32ELi16ElPK19rocblas_complex_numIfEPKS3_PS1_EviT6_lT7_lT5_lS8_lS9_lS7_lT8_i ; -- Begin function _ZL26rocblas_hemvn_kernel_lowerILb0ELi64ELi4ELi33ELi32ELi16ElPK19rocblas_complex_numIfEPKS3_PS1_EviT6_lT7_lT5_lS8_lS9_lS7_lT8_i
	.p2align	8
	.type	_ZL26rocblas_hemvn_kernel_lowerILb0ELi64ELi4ELi33ELi32ELi16ElPK19rocblas_complex_numIfEPKS3_PS1_EviT6_lT7_lT5_lS8_lS9_lS7_lT8_i,@function
_ZL26rocblas_hemvn_kernel_lowerILb0ELi64ELi4ELi33ELi32ELi16ElPK19rocblas_complex_numIfEPKS3_PS1_EviT6_lT7_lT5_lS8_lS9_lS7_lT8_i: ; @_ZL26rocblas_hemvn_kernel_lowerILb0ELi64ELi4ELi33ELi32ELi16ElPK19rocblas_complex_numIfEPKS3_PS1_EviT6_lT7_lT5_lS8_lS9_lS7_lT8_i
; %bb.0:
	s_load_b64 s[2:3], s[0:1], 0x84
	s_add_u32 s22, s0, 0x78
	s_addc_u32 s23, s1, 0
	s_waitcnt lgkmcnt(0)
	s_lshr_b32 s4, s2, 16
	s_and_b32 s2, s2, 0xffff
	s_and_b32 s3, s3, 0xffff
	s_mul_i32 s2, s4, s2
	s_delay_alu instid0(SALU_CYCLE_1) | instskip(NEXT) | instid1(SALU_CYCLE_1)
	s_mul_i32 s2, s2, s3
	s_cmpk_lg_i32 s2, 0x100
	s_cbranch_scc1 .LBB184_109
; %bb.1:
	s_load_b256 s[4:11], s[0:1], 0x8
	s_mov_b32 s16, s15
	s_mov_b32 s17, 0
	s_waitcnt lgkmcnt(0)
	s_mul_i32 s2, s15, s7
	s_mul_hi_u32 s3, s15, s6
	s_delay_alu instid0(SALU_CYCLE_1) | instskip(SKIP_1) | instid1(SALU_CYCLE_1)
	s_add_i32 s3, s3, s2
	s_mul_i32 s2, s15, s6
	s_lshl_b64 s[2:3], s[2:3], 3
	s_delay_alu instid0(SALU_CYCLE_1)
	s_add_u32 s2, s4, s2
	s_addc_u32 s3, s5, s3
	s_load_b64 s[2:3], s[2:3], 0x0
	s_clause 0x2
	s_load_b64 s[18:19], s[0:1], 0x68
	s_load_b64 s[12:13], s[0:1], 0x28
	s_load_b128 s[4:7], s[0:1], 0x58
	s_waitcnt lgkmcnt(0)
	s_or_b32 s2, s2, s3
	s_delay_alu instid0(SALU_CYCLE_1) | instskip(NEXT) | instid1(SALU_CYCLE_1)
	s_bitset0_b32 s2, 31
	s_cmp_lg_u32 s2, 0
	s_cselect_b32 s15, -1, 0
	s_delay_alu instid0(SALU_CYCLE_1)
	s_and_b32 vcc_lo, exec_lo, s15
	s_cbranch_vccnz .LBB184_4
; %bb.2:
	s_mul_i32 s3, s16, s7
	s_mul_hi_u32 s7, s16, s6
	s_mul_i32 s2, s16, s6
	s_add_i32 s3, s7, s3
	s_delay_alu instid0(SALU_CYCLE_1) | instskip(NEXT) | instid1(SALU_CYCLE_1)
	s_lshl_b64 s[2:3], s[2:3], 3
	s_add_u32 s2, s4, s2
	s_addc_u32 s3, s5, s3
	s_mov_b32 s5, 0
	s_load_b64 s[2:3], s[2:3], 0x0
	s_mov_b32 s4, 0
	s_waitcnt lgkmcnt(0)
	v_cmp_eq_f32_e64 s2, s2, 1.0
	v_cmp_eq_f32_e64 s3, s3, 0
	s_delay_alu instid0(VALU_DEP_1) | instskip(NEXT) | instid1(SALU_CYCLE_1)
	s_and_b32 s2, s2, s3
	s_and_not1_b32 vcc_lo, exec_lo, s2
                                        ; implicit-def: $sgpr2_sgpr3
	s_cbranch_vccz .LBB184_5
; %bb.3:
	s_mov_b32 s4, -1
	s_mov_b64 s[2:3], 0
	s_branch .LBB184_5
.LBB184_4:
	s_mov_b32 s5, -1
	s_mov_b32 s4, s17
                                        ; implicit-def: $sgpr2_sgpr3
.LBB184_5:
	s_and_b32 vcc_lo, exec_lo, s5
	s_cbranch_vccz .LBB184_7
; %bb.6:
	s_lshl_b64 s[2:3], s[16:17], 3
	s_delay_alu instid0(SALU_CYCLE_1)
	s_add_u32 s2, s8, s2
	s_addc_u32 s3, s9, s3
	s_lshl_b64 s[4:5], s[10:11], 3
	s_load_b64 s[2:3], s[2:3], 0x0
	s_waitcnt lgkmcnt(0)
	s_add_u32 s2, s2, s4
	s_addc_u32 s3, s3, s5
	s_mov_b32 s4, -1
.LBB184_7:
	s_delay_alu instid0(SALU_CYCLE_1)
	s_and_not1_b32 vcc_lo, exec_lo, s4
	s_cbranch_vccnz .LBB184_109
; %bb.8:
	s_clause 0x1
	s_load_b128 s[4:7], s[0:1], 0x38
	s_load_b64 s[8:9], s[0:1], 0x48
	v_cndmask_b32_e64 v1, 0, 1, s15
	s_and_not1_b32 vcc_lo, exec_lo, s15
	s_mov_b64 s[10:11], 0
	s_cbranch_vccnz .LBB184_10
; %bb.9:
	s_lshl_b64 s[10:11], s[16:17], 3
	s_waitcnt lgkmcnt(0)
	s_add_u32 s4, s4, s10
	s_addc_u32 s5, s5, s11
	s_lshl_b64 s[6:7], s[6:7], 3
	s_load_b64 s[4:5], s[4:5], 0x0
	s_waitcnt lgkmcnt(0)
	s_add_u32 s10, s4, s6
	s_addc_u32 s11, s5, s7
.LBB184_10:
	s_delay_alu instid0(VALU_DEP_1)
	v_cmp_ne_u32_e32 vcc_lo, 1, v1
	s_cbranch_vccnz .LBB184_109
; %bb.11:
	v_and_b32_e32 v26, 0x3ff, v0
	s_lshl_b32 s20, s14, 6
	s_load_b32 s15, s[0:1], 0x0
	s_load_b32 s17, s[22:23], 0x0
	v_bfe_u32 v72, v0, 10, 10
	v_add_nc_u32_e32 v16, s20, v26
	s_delay_alu instid0(VALU_DEP_1) | instskip(SKIP_3) | instid1(VALU_DEP_3)
	v_ashrrev_i32_e32 v17, 31, v16
	s_waitcnt lgkmcnt(0)
	v_mul_lo_u32 v3, v16, s9
	v_mad_u64_u32 v[1:2], null, v16, s8, 0
	v_mul_lo_u32 v4, v17, s8
	s_ashr_i32 s28, s15, 31
	s_delay_alu instid0(VALU_DEP_1)
	v_add3_u32 v2, v2, v3, v4
	s_lshr_b32 s0, s28, 26
	s_add_i32 s4, s17, -1
	s_add_i32 s1, s15, s0
	v_cmp_ne_u32_e64 s0, 0, v72
	v_lshlrev_b64 v[0:1], 3, v[1:2]
	s_and_not1_b32 s1, s1, 63
	s_delay_alu instid0(SALU_CYCLE_1) | instskip(SKIP_2) | instid1(VALU_DEP_2)
	s_sub_i32 s5, s15, s1
	v_cmp_eq_u32_e64 s1, 0, v72
	s_cmp_eq_u32 s14, s4
	v_add_co_u32 v20, vcc_lo, s10, v0
	v_add_co_ci_u32_e32 v21, vcc_lo, s11, v1, vcc_lo
	s_mov_b32 s4, -1
	s_cselect_b32 s22, s5, 0
	s_and_saveexec_b32 s5, s1
	s_cbranch_execz .LBB184_16
; %bb.12:
	v_cmp_le_i32_e32 vcc_lo, s22, v26
	s_cmp_lg_u32 s22, 0
	v_lshl_add_u32 v0, v26, 3, 0x2380
	s_cselect_b32 s6, -1, 0
	s_delay_alu instid0(SALU_CYCLE_1) | instskip(NEXT) | instid1(SALU_CYCLE_1)
	s_and_b32 s6, s6, vcc_lo
	s_and_saveexec_b32 s7, s6
	s_delay_alu instid0(SALU_CYCLE_1)
	s_xor_b32 s6, exec_lo, s7
	s_cbranch_execz .LBB184_14
; %bb.13:
	v_mov_b32_e32 v1, 0
	s_delay_alu instid0(VALU_DEP_1)
	v_mov_b32_e32 v2, v1
	ds_store_b64 v0, v[1:2]
                                        ; implicit-def: $vgpr0
.LBB184_14:
	s_and_not1_saveexec_b32 s6, s6
	s_cbranch_execz .LBB184_16
; %bb.15:
	flat_load_b64 v[1:2], v[20:21]
	s_waitcnt vmcnt(0) lgkmcnt(0)
	ds_store_b64 v0, v[1:2]
.LBB184_16:
	s_or_b32 exec_lo, exec_lo, s5
	v_lshl_add_u32 v27, v72, 6, v26
	v_dual_mov_b32 v1, 0 :: v_dual_and_b32 v0, 31, v26
	s_ashr_i32 s21, s20, 31
	s_mul_i32 s5, s20, s13
	s_delay_alu instid0(VALU_DEP_2)
	v_lshrrev_b32_e32 v5, 5, v27
	s_lshl_b64 s[6:7], s[20:21], 3
	s_mul_hi_u32 s10, s20, s12
	s_add_u32 s6, s2, s6
	s_mul_i32 s11, s21, s12
	v_mad_u64_u32 v[2:3], null, v5, s12, v[0:1]
	s_addc_u32 s7, s3, s7
	s_add_i32 s3, s10, s5
	s_mul_i32 s2, s20, s12
	s_add_i32 s3, s3, s11
	s_delay_alu instid0(SALU_CYCLE_1) | instskip(NEXT) | instid1(VALU_DEP_1)
	s_lshl_b64 s[24:25], s[2:3], 3
	v_mov_b32_e32 v1, v3
	s_add_u32 s2, s24, s6
	s_addc_u32 s3, s25, s7
	s_cmp_lg_u32 s22, 0
	s_cselect_b32 s29, -1, 0
	v_mad_u64_u32 v[3:4], null, v5, s13, v[1:2]
	s_cmp_eq_u32 s22, 0
	s_cselect_b32 s7, -1, 0
	s_delay_alu instid0(VALU_DEP_1) | instskip(NEXT) | instid1(VALU_DEP_1)
	v_lshlrev_b64 v[22:23], 3, v[2:3]
	v_add_co_u32 v1, vcc_lo, s2, v22
	s_delay_alu instid0(VALU_DEP_2)
	v_add_co_ci_u32_e32 v2, vcc_lo, s3, v23, vcc_lo
	s_and_b32 vcc_lo, exec_lo, s29
	s_cbranch_vccnz .LBB184_18
; %bb.17:
	flat_load_b64 v[3:4], v[1:2]
	v_mul_u32_u24_e32 v6, 33, v5
	s_lshl_b64 s[2:3], s[12:13], 6
	s_mov_b32 s4, 0
	s_delay_alu instid0(VALU_DEP_1)
	v_add_lshl_u32 v10, v6, v0, 3
	v_add_co_u32 v6, vcc_lo, v1, s2
	v_add_co_ci_u32_e32 v7, vcc_lo, s3, v2, vcc_lo
	s_waitcnt vmcnt(0) lgkmcnt(0)
	ds_store_b64 v10, v[3:4]
	flat_load_b64 v[3:4], v[6:7]
	v_add_co_u32 v6, vcc_lo, v6, s2
	v_add_co_ci_u32_e32 v7, vcc_lo, s3, v7, vcc_lo
	s_waitcnt vmcnt(0) lgkmcnt(0)
	ds_store_b64 v10, v[3:4] offset:2112
	flat_load_b64 v[3:4], v[6:7]
	v_mad_u64_u32 v[6:7], null, 0xc0, s12, v[1:2]
	s_delay_alu instid0(VALU_DEP_1) | instskip(NEXT) | instid1(VALU_DEP_1)
	v_mad_u64_u32 v[8:9], null, 0xc0, s13, v[7:8]
	v_mov_b32_e32 v7, v8
	s_waitcnt vmcnt(0) lgkmcnt(0)
	ds_store_b64 v10, v[3:4] offset:4224
	flat_load_b64 v[3:4], v[6:7]
	s_waitcnt vmcnt(0) lgkmcnt(0)
	ds_store_b64 v10, v[3:4] offset:6336
.LBB184_18:
	s_and_not1_b32 vcc_lo, exec_lo, s4
	s_cbranch_vccnz .LBB184_36
; %bb.19:
	v_lshlrev_b32_e32 v6, 3, v0
	s_ashr_i32 s23, s22, 31
	v_mul_u32_u24_e32 v7, 33, v5
	s_lshl_b64 s[4:5], s[22:23], 3
	v_cmp_le_i32_e64 s2, s22, v5
	v_sub_co_u32 v3, vcc_lo, v1, v6
	v_subrev_co_ci_u32_e32 v4, vcc_lo, 0, v2, vcc_lo
	v_add_lshl_u32 v7, v7, v0, 3
	s_delay_alu instid0(VALU_DEP_3) | instskip(NEXT) | instid1(VALU_DEP_3)
	v_add_co_u32 v3, vcc_lo, v3, s4
	v_add_co_ci_u32_e32 v4, vcc_lo, s5, v4, vcc_lo
	s_delay_alu instid0(VALU_DEP_2) | instskip(NEXT) | instid1(VALU_DEP_2)
	v_add_co_u32 v3, vcc_lo, v3, -8
	v_add_co_ci_u32_e32 v4, vcc_lo, -1, v4, vcc_lo
	v_cmp_gt_i32_e32 vcc_lo, s22, v0
	s_delay_alu instid0(VALU_DEP_2) | instskip(SKIP_1) | instid1(SALU_CYCLE_1)
	v_dual_cndmask_b32 v3, v3, v1 :: v_dual_cndmask_b32 v4, v4, v2
	s_and_saveexec_b32 s3, s2
	s_xor_b32 s2, exec_lo, s3
	s_cbranch_execz .LBB184_21
; %bb.20:
	v_mov_b32_e32 v8, 0
	s_delay_alu instid0(VALU_DEP_1)
	v_mov_b32_e32 v9, v8
	ds_store_b64 v7, v[8:9]
.LBB184_21:
	s_and_not1_saveexec_b32 s2, s2
	s_cbranch_execz .LBB184_23
; %bb.22:
	flat_load_b64 v[8:9], v[3:4]
	s_waitcnt vmcnt(0) lgkmcnt(0)
	ds_store_b64 v7, v[8:9]
.LBB184_23:
	s_or_b32 exec_lo, exec_lo, s2
	v_add_nc_u32_e32 v8, 8, v5
	s_delay_alu instid0(VALU_DEP_1) | instskip(NEXT) | instid1(VALU_DEP_1)
	v_cmp_le_i32_e64 s2, s22, v8
	s_and_saveexec_b32 s3, s2
	s_delay_alu instid0(SALU_CYCLE_1)
	s_xor_b32 s2, exec_lo, s3
	s_cbranch_execz .LBB184_25
; %bb.24:
	v_mul_u32_u24_e32 v9, 33, v8
	v_mov_b32_e32 v8, 0
	s_delay_alu instid0(VALU_DEP_2) | instskip(NEXT) | instid1(VALU_DEP_2)
	v_add_lshl_u32 v10, v9, v0, 3
	v_mov_b32_e32 v9, v8
	ds_store_b64 v10, v[8:9]
.LBB184_25:
	s_and_not1_saveexec_b32 s3, s2
	s_cbranch_execz .LBB184_27
; %bb.26:
	s_lshl_b64 s[10:11], s[12:13], 6
	s_delay_alu instid0(SALU_CYCLE_1) | instskip(NEXT) | instid1(VALU_DEP_1)
	v_add_co_u32 v8, s2, v3, s10
	v_add_co_ci_u32_e64 v9, s2, s11, v4, s2
	flat_load_b64 v[8:9], v[8:9]
	s_waitcnt vmcnt(0) lgkmcnt(0)
	ds_store_b64 v7, v[8:9] offset:2112
.LBB184_27:
	s_or_b32 exec_lo, exec_lo, s3
	v_add_nc_u32_e32 v8, 16, v5
	s_delay_alu instid0(VALU_DEP_1) | instskip(NEXT) | instid1(VALU_DEP_1)
	v_cmp_le_i32_e64 s2, s22, v8
	s_and_saveexec_b32 s3, s2
	s_delay_alu instid0(SALU_CYCLE_1)
	s_xor_b32 s2, exec_lo, s3
	s_cbranch_execz .LBB184_29
; %bb.28:
	v_mov_b32_e32 v8, 0
	s_delay_alu instid0(VALU_DEP_1)
	v_mov_b32_e32 v9, v8
	ds_store_b64 v7, v[8:9] offset:4224
.LBB184_29:
	s_and_not1_saveexec_b32 s3, s2
	s_cbranch_execz .LBB184_31
; %bb.30:
	s_lshl_b64 s[10:11], s[12:13], 7
	s_delay_alu instid0(SALU_CYCLE_1) | instskip(NEXT) | instid1(VALU_DEP_1)
	v_add_co_u32 v8, s2, v3, s10
	v_add_co_ci_u32_e64 v9, s2, s11, v4, s2
	flat_load_b64 v[8:9], v[8:9]
	s_waitcnt vmcnt(0) lgkmcnt(0)
	ds_store_b64 v7, v[8:9] offset:4224
.LBB184_31:
	s_or_b32 exec_lo, exec_lo, s3
	v_add_nc_u32_e32 v8, 24, v5
	s_delay_alu instid0(VALU_DEP_1) | instskip(NEXT) | instid1(VALU_DEP_1)
	v_cmp_le_i32_e64 s2, s22, v8
	s_and_saveexec_b32 s3, s2
	s_delay_alu instid0(SALU_CYCLE_1)
	s_xor_b32 s2, exec_lo, s3
	s_cbranch_execz .LBB184_33
; %bb.32:
	v_mov_b32_e32 v8, 0
	s_delay_alu instid0(VALU_DEP_1)
	v_mov_b32_e32 v9, v8
	ds_store_b64 v7, v[8:9] offset:6336
                                        ; implicit-def: $vgpr7
.LBB184_33:
	s_and_not1_saveexec_b32 s2, s2
	s_cbranch_execz .LBB184_35
; %bb.34:
	v_mad_u64_u32 v[8:9], null, 0xc0, s12, v[3:4]
	s_delay_alu instid0(VALU_DEP_1) | instskip(NEXT) | instid1(VALU_DEP_1)
	v_mad_u64_u32 v[10:11], null, 0xc0, s13, v[9:10]
	v_mov_b32_e32 v9, v10
	flat_load_b64 v[8:9], v[8:9]
	s_waitcnt vmcnt(0) lgkmcnt(0)
	ds_store_b64 v7, v[8:9] offset:6336
.LBB184_35:
	s_or_b32 exec_lo, exec_lo, s2
	v_add_co_u32 v3, s2, v3, v6
	s_delay_alu instid0(VALU_DEP_1) | instskip(NEXT) | instid1(VALU_DEP_2)
	v_add_co_ci_u32_e64 v4, s2, 0, v4, s2
	v_sub_co_u32 v3, s2, v3, s4
	s_delay_alu instid0(VALU_DEP_1) | instskip(NEXT) | instid1(VALU_DEP_2)
	v_subrev_co_ci_u32_e64 v4, s2, s5, v4, s2
	v_add_co_u32 v3, s2, v3, 8
	s_delay_alu instid0(VALU_DEP_1) | instskip(NEXT) | instid1(VALU_DEP_1)
	v_add_co_ci_u32_e64 v4, s2, 0, v4, s2
	v_dual_cndmask_b32 v1, v3, v1 :: v_dual_cndmask_b32 v2, v4, v2
.LBB184_36:
	v_lshlrev_b32_e32 v3, 2, v5
	v_mul_u32_u24_e32 v28, 33, v0
	v_mul_u32_u24_e32 v7, 0x84, v5
	s_waitcnt lgkmcnt(0)
	s_barrier
	v_cmp_lt_u32_e64 s3, v3, v0
	v_add_lshl_u32 v4, v3, v28, 3
	buffer_gl0_inv
	s_and_saveexec_b32 s2, s3
	s_cbranch_execz .LBB184_38
; %bb.37:
	v_add_lshl_u32 v6, v7, v0, 3
	ds_load_b64 v[8:9], v6
	s_waitcnt lgkmcnt(0)
	ds_store_b64 v4, v[8:9]
.LBB184_38:
	s_or_b32 exec_lo, exec_lo, s2
	v_or_b32_e32 v6, 1, v3
	s_delay_alu instid0(VALU_DEP_1) | instskip(NEXT) | instid1(VALU_DEP_1)
	v_cmp_lt_u32_e64 s4, v6, v0
	s_and_saveexec_b32 s2, s4
	s_cbranch_execz .LBB184_40
; %bb.39:
	v_mul_u32_u24_e32 v6, 33, v6
	s_delay_alu instid0(VALU_DEP_1)
	v_add_lshl_u32 v6, v6, v0, 3
	ds_load_b64 v[8:9], v6
	s_waitcnt lgkmcnt(0)
	ds_store_b64 v4, v[8:9] offset:8
.LBB184_40:
	s_or_b32 exec_lo, exec_lo, s2
	v_or_b32_e32 v6, 2, v3
	s_delay_alu instid0(VALU_DEP_1) | instskip(NEXT) | instid1(VALU_DEP_1)
	v_cmp_lt_u32_e64 s5, v6, v0
	s_and_saveexec_b32 s2, s5
	s_cbranch_execz .LBB184_42
; %bb.41:
	v_mul_u32_u24_e32 v6, 33, v6
	s_delay_alu instid0(VALU_DEP_1)
	v_add_lshl_u32 v6, v6, v0, 3
	ds_load_b64 v[8:9], v6
	s_waitcnt lgkmcnt(0)
	ds_store_b64 v4, v[8:9] offset:16
.LBB184_42:
	s_or_b32 exec_lo, exec_lo, s2
	v_or_b32_e32 v6, 3, v3
	s_delay_alu instid0(VALU_DEP_1) | instskip(SKIP_1) | instid1(VALU_DEP_2)
	v_mad_u32_u24 v8, v6, 33, v0
	v_cmp_lt_u32_e64 s6, v6, v0
	v_lshlrev_b32_e32 v6, 3, v8
	s_delay_alu instid0(VALU_DEP_2)
	s_and_saveexec_b32 s2, s6
	s_cbranch_execz .LBB184_44
; %bb.43:
	ds_load_b64 v[8:9], v6
	s_waitcnt lgkmcnt(0)
	ds_store_b64 v4, v[8:9] offset:24
.LBB184_44:
	s_or_b32 exec_lo, exec_lo, s2
	v_add_lshl_u32 v7, v7, v0, 3
	v_lshlrev_b32_e32 v3, 3, v3
	v_add_nc_u32_e32 v8, 0xfffffdf0, v6
	s_waitcnt lgkmcnt(0)
	s_barrier
	buffer_gl0_inv
	ds_load_b64 v[13:14], v7
	ds_load_b128 v[9:12], v3 offset:9088
	ds_load_2addr_b64 v[29:32], v8 offset1:33
	ds_load_b128 v[33:36], v3 offset:9104
	ds_load_b64 v[18:19], v6
	v_cmp_gt_u32_e64 s2, 32, v27
	s_waitcnt lgkmcnt(0)
	s_barrier
	buffer_gl0_inv
	v_mul_f32_e32 v15, v10, v14
	v_mul_f32_e32 v14, v9, v14
	;; [unrolled: 1-line block ×3, first 2 shown]
	v_dual_mul_f32 v25, v11, v30 :: v_dual_mul_f32 v30, v34, v32
	v_mul_f32_e32 v32, v33, v32
	v_fma_f32 v9, v9, v13, -v15
	v_dual_fmac_f32 v14, v10, v13 :: v_dual_mul_f32 v13, v35, v19
	s_delay_alu instid0(VALU_DEP_4) | instskip(NEXT) | instid1(VALU_DEP_3)
	v_fmac_f32_e32 v25, v12, v29
	v_add_f32_e32 v9, 0, v9
	v_fma_f32 v11, v11, v29, -v24
	s_delay_alu instid0(VALU_DEP_4) | instskip(SKIP_2) | instid1(VALU_DEP_4)
	v_add_f32_e32 v12, 0, v14
	v_fma_f32 v14, v33, v31, -v30
	v_dual_fmac_f32 v32, v34, v31 :: v_dual_fmac_f32 v13, v36, v18
	v_add_f32_e32 v9, v9, v11
	v_mul_f32_e32 v10, v36, v19
	v_add_f32_e32 v11, v12, v25
	v_add_lshl_u32 v29, v5, v28, 3
	v_mov_b32_e32 v19, 0
	v_add_f32_e32 v9, v9, v14
	v_fma_f32 v10, v35, v18, -v10
	v_dual_add_f32 v11, v11, v32 :: v_dual_mov_b32 v18, 0
	s_delay_alu instid0(VALU_DEP_1)
	v_dual_add_f32 v9, v9, v10 :: v_dual_add_f32 v10, v11, v13
	ds_store_b64 v29, v[9:10]
	s_waitcnt lgkmcnt(0)
	s_barrier
	buffer_gl0_inv
	s_and_saveexec_b32 s10, s2
	s_cbranch_execz .LBB184_46
; %bb.45:
	v_lshlrev_b32_e32 v13, 3, v28
	ds_load_2addr_b64 v[9:12], v13 offset1:7
	ds_load_2addr_b64 v[30:33], v13 offset0:1 offset1:2
	ds_load_2addr_b64 v[34:37], v13 offset0:3 offset1:4
	;; [unrolled: 1-line block ×3, first 2 shown]
	s_waitcnt lgkmcnt(2)
	v_dual_add_f32 v10, v31, v10 :: v_dual_add_f32 v9, v30, v9
	s_delay_alu instid0(VALU_DEP_1) | instskip(SKIP_1) | instid1(VALU_DEP_1)
	v_dual_add_f32 v10, v10, v33 :: v_dual_add_f32 v9, v9, v32
	s_waitcnt lgkmcnt(1)
	v_dual_add_f32 v10, v10, v35 :: v_dual_add_f32 v9, v9, v34
	s_delay_alu instid0(VALU_DEP_1) | instskip(SKIP_1) | instid1(VALU_DEP_1)
	v_dual_add_f32 v10, v10, v37 :: v_dual_add_f32 v9, v9, v36
	s_waitcnt lgkmcnt(0)
	v_dual_add_f32 v10, v10, v39 :: v_dual_add_f32 v9, v9, v38
	s_delay_alu instid0(VALU_DEP_1) | instskip(NEXT) | instid1(VALU_DEP_1)
	v_dual_add_f32 v10, v10, v41 :: v_dual_add_f32 v9, v9, v40
	v_dual_add_f32 v19, v10, v12 :: v_dual_add_f32 v18, v9, v11
.LBB184_46:
	s_or_b32 exec_lo, exec_lo, s10
	s_lshl_b64 s[10:11], s[12:13], 8
	v_cndmask_b32_e64 v9, 0, 1, s7
	v_add_co_u32 v1, vcc_lo, v1, s10
	v_add_co_ci_u32_e32 v2, vcc_lo, s11, v2, vcc_lo
	s_delay_alu instid0(VALU_DEP_2) | instskip(NEXT) | instid1(VALU_DEP_2)
	v_add_co_u32 v10, vcc_lo, 0x100, v1
	v_add_co_ci_u32_e32 v11, vcc_lo, 0, v2, vcc_lo
	s_and_not1_b32 vcc_lo, exec_lo, s7
	s_barrier
	buffer_gl0_inv
	s_cbranch_vccnz .LBB184_48
; %bb.47:
	flat_load_b64 v[12:13], v[1:2] offset:256
	v_mul_u32_u24_e32 v14, 33, v5
	s_lshl_b64 s[26:27], s[12:13], 6
	s_delay_alu instid0(VALU_DEP_1)
	v_add_lshl_u32 v30, v14, v0, 3
	v_add_co_u32 v14, vcc_lo, v1, s26
	v_add_co_ci_u32_e32 v15, vcc_lo, s27, v2, vcc_lo
	s_waitcnt vmcnt(0) lgkmcnt(0)
	ds_store_b64 v30, v[12:13]
	flat_load_b64 v[12:13], v[14:15] offset:256
	v_add_co_u32 v14, vcc_lo, v14, s26
	v_add_co_ci_u32_e32 v15, vcc_lo, s27, v15, vcc_lo
	s_waitcnt vmcnt(0) lgkmcnt(0)
	ds_store_b64 v30, v[12:13] offset:2112
	flat_load_b64 v[12:13], v[14:15] offset:256
	v_mad_u64_u32 v[14:15], null, 0xc0, s12, v[1:2]
	s_delay_alu instid0(VALU_DEP_1) | instskip(NEXT) | instid1(VALU_DEP_1)
	v_mov_b32_e32 v1, v15
	v_mad_u64_u32 v[24:25], null, 0xc0, s13, v[1:2]
	s_delay_alu instid0(VALU_DEP_1)
	v_mov_b32_e32 v15, v24
	s_waitcnt vmcnt(0) lgkmcnt(0)
	ds_store_b64 v30, v[12:13] offset:4224
	flat_load_b64 v[1:2], v[14:15] offset:256
	s_waitcnt vmcnt(0) lgkmcnt(0)
	ds_store_b64 v30, v[1:2] offset:6336
	s_cbranch_execz .LBB184_49
	s_branch .LBB184_66
.LBB184_48:
.LBB184_49:
	v_or_b32_e32 v1, 32, v0
	s_ashr_i32 s23, s22, 31
	v_mul_u32_u24_e32 v13, 33, v5
	s_lshl_b64 s[26:27], s[22:23], 3
	s_sub_i32 s23, s22, 32
	v_lshlrev_b32_e32 v2, 3, v1
	v_cmp_le_i32_e64 s7, s23, v5
	s_delay_alu instid0(VALU_DEP_2) | instskip(SKIP_1) | instid1(VALU_DEP_2)
	v_sub_co_u32 v2, vcc_lo, v10, v2
	v_subrev_co_ci_u32_e32 v12, vcc_lo, 0, v11, vcc_lo
	v_add_co_u32 v2, vcc_lo, v2, s26
	s_delay_alu instid0(VALU_DEP_2) | instskip(NEXT) | instid1(VALU_DEP_2)
	v_add_co_ci_u32_e32 v12, vcc_lo, s27, v12, vcc_lo
	v_add_co_u32 v14, vcc_lo, v2, -8
	s_delay_alu instid0(VALU_DEP_2) | instskip(SKIP_2) | instid1(VALU_DEP_4)
	v_add_co_ci_u32_e32 v2, vcc_lo, -1, v12, vcc_lo
	v_cmp_gt_i32_e32 vcc_lo, s22, v1
	v_add_lshl_u32 v12, v13, v0, 3
	v_cndmask_b32_e32 v1, v14, v10, vcc_lo
	s_delay_alu instid0(VALU_DEP_4) | instskip(SKIP_1) | instid1(SALU_CYCLE_1)
	v_cndmask_b32_e32 v2, v2, v11, vcc_lo
	s_and_saveexec_b32 s30, s7
	s_xor_b32 s7, exec_lo, s30
	s_cbranch_execz .LBB184_51
; %bb.50:
	v_mov_b32_e32 v13, 0
	s_delay_alu instid0(VALU_DEP_1)
	v_mov_b32_e32 v14, v13
	ds_store_b64 v12, v[13:14]
.LBB184_51:
	s_and_not1_saveexec_b32 s7, s7
	s_cbranch_execz .LBB184_53
; %bb.52:
	flat_load_b64 v[13:14], v[1:2]
	s_waitcnt vmcnt(0) lgkmcnt(0)
	ds_store_b64 v12, v[13:14]
.LBB184_53:
	s_or_b32 exec_lo, exec_lo, s7
	v_add_nc_u32_e32 v13, 8, v5
	s_delay_alu instid0(VALU_DEP_1) | instskip(NEXT) | instid1(VALU_DEP_1)
	v_cmp_le_i32_e64 s7, s23, v13
	s_and_saveexec_b32 s30, s7
	s_delay_alu instid0(SALU_CYCLE_1)
	s_xor_b32 s7, exec_lo, s30
	s_cbranch_execz .LBB184_55
; %bb.54:
	v_mul_u32_u24_e32 v14, 33, v13
	v_mov_b32_e32 v13, 0
	s_delay_alu instid0(VALU_DEP_2) | instskip(NEXT) | instid1(VALU_DEP_2)
	v_add_lshl_u32 v15, v14, v0, 3
	v_mov_b32_e32 v14, v13
	ds_store_b64 v15, v[13:14]
.LBB184_55:
	s_and_not1_saveexec_b32 s30, s7
	s_cbranch_execz .LBB184_57
; %bb.56:
	s_lshl_b64 s[34:35], s[12:13], 6
	s_delay_alu instid0(SALU_CYCLE_1) | instskip(NEXT) | instid1(VALU_DEP_1)
	v_add_co_u32 v13, s7, v1, s34
	v_add_co_ci_u32_e64 v14, s7, s35, v2, s7
	flat_load_b64 v[13:14], v[13:14]
	s_waitcnt vmcnt(0) lgkmcnt(0)
	ds_store_b64 v12, v[13:14] offset:2112
.LBB184_57:
	s_or_b32 exec_lo, exec_lo, s30
	v_add_nc_u32_e32 v13, 16, v5
	s_delay_alu instid0(VALU_DEP_1) | instskip(NEXT) | instid1(VALU_DEP_1)
	v_cmp_le_i32_e64 s7, s23, v13
	s_and_saveexec_b32 s30, s7
	s_delay_alu instid0(SALU_CYCLE_1)
	s_xor_b32 s7, exec_lo, s30
	s_cbranch_execz .LBB184_59
; %bb.58:
	v_mov_b32_e32 v13, 0
	s_delay_alu instid0(VALU_DEP_1)
	v_mov_b32_e32 v14, v13
	ds_store_b64 v12, v[13:14] offset:4224
.LBB184_59:
	s_and_not1_saveexec_b32 s30, s7
	s_cbranch_execz .LBB184_61
; %bb.60:
	s_lshl_b64 s[34:35], s[12:13], 7
	s_delay_alu instid0(SALU_CYCLE_1) | instskip(NEXT) | instid1(VALU_DEP_1)
	v_add_co_u32 v13, s7, v1, s34
	v_add_co_ci_u32_e64 v14, s7, s35, v2, s7
	flat_load_b64 v[13:14], v[13:14]
	s_waitcnt vmcnt(0) lgkmcnt(0)
	ds_store_b64 v12, v[13:14] offset:4224
.LBB184_61:
	s_or_b32 exec_lo, exec_lo, s30
	v_add_nc_u32_e32 v13, 24, v5
	s_delay_alu instid0(VALU_DEP_1) | instskip(NEXT) | instid1(VALU_DEP_1)
	v_cmp_le_i32_e64 s7, s23, v13
	s_and_saveexec_b32 s23, s7
	s_delay_alu instid0(SALU_CYCLE_1)
	s_xor_b32 s7, exec_lo, s23
	s_cbranch_execz .LBB184_63
; %bb.62:
	v_mov_b32_e32 v13, 0
	s_delay_alu instid0(VALU_DEP_1)
	v_mov_b32_e32 v14, v13
	ds_store_b64 v12, v[13:14] offset:6336
                                        ; implicit-def: $vgpr12
.LBB184_63:
	s_and_not1_saveexec_b32 s7, s7
	s_cbranch_execz .LBB184_65
; %bb.64:
	v_mad_u64_u32 v[13:14], null, 0xc0, s12, v[1:2]
	s_delay_alu instid0(VALU_DEP_1) | instskip(NEXT) | instid1(VALU_DEP_1)
	v_mad_u64_u32 v[24:25], null, 0xc0, s13, v[14:15]
	v_mov_b32_e32 v14, v24
	flat_load_b64 v[13:14], v[13:14]
	s_waitcnt vmcnt(0) lgkmcnt(0)
	ds_store_b64 v12, v[13:14] offset:6336
.LBB184_65:
	s_or_b32 exec_lo, exec_lo, s7
	v_lshlrev_b32_e32 v12, 3, v0
	s_delay_alu instid0(VALU_DEP_1) | instskip(NEXT) | instid1(VALU_DEP_1)
	v_add_co_u32 v1, s7, v1, v12
	v_add_co_ci_u32_e64 v2, s7, 0, v2, s7
	s_delay_alu instid0(VALU_DEP_2) | instskip(NEXT) | instid1(VALU_DEP_1)
	v_sub_co_u32 v1, s7, v1, s26
	v_subrev_co_ci_u32_e64 v2, s7, s27, v2, s7
	s_delay_alu instid0(VALU_DEP_2) | instskip(NEXT) | instid1(VALU_DEP_1)
	v_add_co_u32 v1, s7, 0x108, v1
	v_add_co_ci_u32_e64 v2, s7, 0, v2, s7
	s_delay_alu instid0(VALU_DEP_1)
	v_dual_cndmask_b32 v10, v1, v10 :: v_dual_cndmask_b32 v11, v2, v11
.LBB184_66:
	v_add_nc_u32_e32 v3, 0x2380, v3
	s_lshl_b64 s[26:27], s[12:13], 5
	s_waitcnt lgkmcnt(0)
	s_barrier
	buffer_gl0_inv
	s_and_saveexec_b32 s7, s3
	s_cbranch_execnz .LBB184_75
; %bb.67:
	s_or_b32 exec_lo, exec_lo, s7
	s_and_saveexec_b32 s3, s4
	s_cbranch_execnz .LBB184_76
.LBB184_68:
	s_or_b32 exec_lo, exec_lo, s3
	s_and_saveexec_b32 s3, s5
	s_cbranch_execnz .LBB184_77
.LBB184_69:
	s_or_b32 exec_lo, exec_lo, s3
	s_and_saveexec_b32 s3, s6
	s_cbranch_execz .LBB184_71
.LBB184_70:
	ds_load_b64 v[1:2], v6
	s_waitcnt lgkmcnt(0)
	ds_store_b64 v4, v[1:2] offset:24
.LBB184_71:
	s_or_b32 exec_lo, exec_lo, s3
	s_waitcnt lgkmcnt(0)
	s_barrier
	buffer_gl0_inv
	ds_load_b64 v[1:2], v7
	ds_load_b128 v[12:15], v3 offset:256
	ds_load_2addr_b64 v[30:33], v8 offset1:33
	ds_load_b128 v[34:37], v3 offset:272
	ds_load_b64 v[6:7], v6
	v_cmp_eq_u32_e64 s3, 1, v5
	s_waitcnt lgkmcnt(0)
	s_barrier
	buffer_gl0_inv
	v_dual_mul_f32 v8, v13, v2 :: v_dual_mul_f32 v25, v14, v31
	v_mul_f32_e32 v2, v12, v2
	v_mul_f32_e32 v24, v15, v31
	;; [unrolled: 1-line block ×4, first 2 shown]
	v_fma_f32 v8, v12, v1, -v8
	v_dual_fmac_f32 v2, v13, v1 :: v_dual_fmac_f32 v25, v15, v30
	v_mul_f32_e32 v1, v37, v7
	v_fma_f32 v12, v14, v30, -v24
	s_delay_alu instid0(VALU_DEP_4) | instskip(NEXT) | instid1(VALU_DEP_4)
	v_add_f32_e32 v8, 0, v8
	v_dual_add_f32 v2, 0, v2 :: v_dual_mul_f32 v7, v36, v7
	v_fma_f32 v13, v34, v32, -v31
	v_fmac_f32_e32 v33, v35, v32
	s_delay_alu instid0(VALU_DEP_4) | instskip(NEXT) | instid1(VALU_DEP_4)
	v_add_f32_e32 v8, v8, v12
	v_dual_add_f32 v2, v2, v25 :: v_dual_fmac_f32 v7, v37, v6
	v_fma_f32 v1, v36, v6, -v1
	s_delay_alu instid0(VALU_DEP_3) | instskip(NEXT) | instid1(VALU_DEP_3)
	v_add_f32_e32 v6, v8, v13
	v_add_f32_e32 v2, v2, v33
	s_delay_alu instid0(VALU_DEP_2) | instskip(NEXT) | instid1(VALU_DEP_2)
	v_add_f32_e32 v1, v6, v1
	v_add_f32_e32 v2, v2, v7
	ds_store_b64 v29, v[1:2]
	s_waitcnt lgkmcnt(0)
	s_barrier
	buffer_gl0_inv
	s_and_saveexec_b32 s4, s3
	s_cbranch_execz .LBB184_73
; %bb.72:
	v_lshlrev_b32_e32 v1, 3, v28
	ds_load_2addr_b64 v[12:15], v1 offset1:7
	ds_load_2addr_b64 v[30:33], v1 offset0:1 offset1:2
	ds_load_2addr_b64 v[34:37], v1 offset0:3 offset1:4
	;; [unrolled: 1-line block ×3, first 2 shown]
	s_waitcnt lgkmcnt(2)
	v_dual_add_f32 v2, v31, v13 :: v_dual_add_f32 v1, v30, v12
	s_delay_alu instid0(VALU_DEP_1) | instskip(SKIP_1) | instid1(VALU_DEP_1)
	v_dual_add_f32 v2, v2, v33 :: v_dual_add_f32 v1, v1, v32
	s_waitcnt lgkmcnt(1)
	v_dual_add_f32 v2, v2, v35 :: v_dual_add_f32 v1, v1, v34
	s_delay_alu instid0(VALU_DEP_1) | instskip(SKIP_1) | instid1(VALU_DEP_1)
	v_dual_add_f32 v2, v2, v37 :: v_dual_add_f32 v1, v1, v36
	s_waitcnt lgkmcnt(0)
	v_dual_add_f32 v2, v2, v39 :: v_dual_add_f32 v1, v1, v38
	s_delay_alu instid0(VALU_DEP_1) | instskip(NEXT) | instid1(VALU_DEP_1)
	v_dual_add_f32 v2, v2, v41 :: v_dual_add_f32 v1, v1, v40
	v_dual_add_f32 v19, v2, v15 :: v_dual_add_f32 v18, v1, v14
.LBB184_73:
	s_or_b32 exec_lo, exec_lo, s4
	s_lshl_b64 s[4:5], s[26:27], 3
	v_cmp_ne_u32_e32 vcc_lo, 1, v9
	v_sub_co_u32 v24, s4, v10, s4
	s_delay_alu instid0(VALU_DEP_1)
	v_subrev_co_ci_u32_e64 v25, s4, s5, v11, s4
	s_barrier
	buffer_gl0_inv
	s_cbranch_vccnz .LBB184_78
; %bb.74:
	flat_load_b64 v[1:2], v[24:25]
	v_mad_u32_u24 v6, v5, 33, v0
	s_lshl_b64 s[4:5], s[12:13], 6
	s_delay_alu instid0(SALU_CYCLE_1) | instskip(NEXT) | instid1(VALU_DEP_2)
	v_add_co_u32 v7, vcc_lo, v24, s4
	v_lshlrev_b32_e32 v13, 3, v6
	v_add_co_ci_u32_e32 v8, vcc_lo, s5, v25, vcc_lo
	s_waitcnt vmcnt(0) lgkmcnt(0)
	ds_store_b64 v13, v[1:2]
	flat_load_b64 v[1:2], v[7:8]
	v_add_co_u32 v7, vcc_lo, v7, s4
	v_add_co_ci_u32_e32 v8, vcc_lo, s5, v8, vcc_lo
	s_waitcnt vmcnt(0) lgkmcnt(0)
	ds_store_b64 v13, v[1:2] offset:2112
	flat_load_b64 v[1:2], v[7:8]
	v_mad_u64_u32 v[7:8], null, 0xc0, s12, v[24:25]
	s_delay_alu instid0(VALU_DEP_1) | instskip(SKIP_1) | instid1(VALU_DEP_2)
	v_mad_u64_u32 v[9:10], null, 0xc0, s13, v[8:9]
	v_add_nc_u32_e32 v10, 0x318, v6
	v_dual_mov_b32 v8, v9 :: v_dual_add_nc_u32 v9, 24, v5
	s_waitcnt vmcnt(0) lgkmcnt(0)
	ds_store_b64 v13, v[1:2] offset:4224
	flat_load_b64 v[11:12], v[7:8]
	v_add_nc_u32_e32 v7, 8, v5
	v_add_nc_u32_e32 v1, 0x108, v6
	v_add_nc_u32_e32 v8, 16, v5
	v_add_nc_u32_e32 v2, 0x210, v6
	s_waitcnt vmcnt(0) lgkmcnt(0)
	ds_store_b64 v13, v[11:12] offset:6336
	s_cbranch_execz .LBB184_79
	s_branch .LBB184_96
.LBB184_75:
	ds_load_b64 v[1:2], v7
	s_waitcnt lgkmcnt(0)
	ds_store_b64 v4, v[1:2]
	s_or_b32 exec_lo, exec_lo, s7
	s_and_saveexec_b32 s3, s4
	s_cbranch_execz .LBB184_68
.LBB184_76:
	ds_load_b64 v[1:2], v8
	s_waitcnt lgkmcnt(0)
	ds_store_b64 v4, v[1:2] offset:8
	s_or_b32 exec_lo, exec_lo, s3
	s_and_saveexec_b32 s3, s5
	s_cbranch_execz .LBB184_69
.LBB184_77:
	ds_load_b64 v[1:2], v8 offset:264
	s_waitcnt lgkmcnt(0)
	ds_store_b64 v4, v[1:2] offset:16
	s_or_b32 exec_lo, exec_lo, s3
	s_and_saveexec_b32 s3, s6
	s_cbranch_execnz .LBB184_70
	s_branch .LBB184_71
.LBB184_78:
                                        ; implicit-def: $vgpr6
                                        ; implicit-def: $vgpr7
                                        ; implicit-def: $vgpr1
                                        ; implicit-def: $vgpr8
                                        ; implicit-def: $vgpr2
                                        ; implicit-def: $vgpr9
                                        ; implicit-def: $vgpr10
.LBB184_79:
	v_or_b32_e32 v1, 32, v0
	s_ashr_i32 s23, s22, 31
	v_cmp_le_i32_e64 s4, s22, v5
	s_lshl_b64 s[6:7], s[22:23], 3
	s_delay_alu instid0(VALU_DEP_2) | instskip(NEXT) | instid1(VALU_DEP_1)
	v_lshlrev_b32_e32 v2, 3, v1
	v_sub_co_u32 v2, vcc_lo, v24, v2
	v_subrev_co_ci_u32_e32 v6, vcc_lo, 0, v25, vcc_lo
	s_delay_alu instid0(VALU_DEP_2) | instskip(NEXT) | instid1(VALU_DEP_2)
	v_add_co_u32 v2, vcc_lo, v2, s6
	v_add_co_ci_u32_e32 v6, vcc_lo, s7, v6, vcc_lo
	s_delay_alu instid0(VALU_DEP_2) | instskip(NEXT) | instid1(VALU_DEP_2)
	v_add_co_u32 v7, vcc_lo, v2, -8
	v_add_co_ci_u32_e32 v2, vcc_lo, -1, v6, vcc_lo
	v_cmp_gt_i32_e32 vcc_lo, s22, v1
	v_mad_u32_u24 v6, v5, 33, v0
	s_delay_alu instid0(VALU_DEP_3) | instskip(NEXT) | instid1(VALU_DEP_2)
	v_dual_cndmask_b32 v1, v7, v24 :: v_dual_cndmask_b32 v2, v2, v25
	v_lshlrev_b32_e32 v11, 3, v6
	s_and_saveexec_b32 s5, s4
	s_delay_alu instid0(SALU_CYCLE_1)
	s_xor_b32 s4, exec_lo, s5
	s_cbranch_execz .LBB184_81
; %bb.80:
	v_mov_b32_e32 v7, 0
	s_delay_alu instid0(VALU_DEP_1)
	v_mov_b32_e32 v8, v7
	ds_store_b64 v11, v[7:8]
.LBB184_81:
	s_and_not1_saveexec_b32 s4, s4
	s_cbranch_execz .LBB184_83
; %bb.82:
	flat_load_b64 v[7:8], v[1:2]
	s_waitcnt vmcnt(0) lgkmcnt(0)
	ds_store_b64 v11, v[7:8]
.LBB184_83:
	s_or_b32 exec_lo, exec_lo, s4
	v_add_nc_u32_e32 v7, 8, v5
	s_delay_alu instid0(VALU_DEP_1) | instskip(NEXT) | instid1(VALU_DEP_1)
	v_cmp_le_i32_e64 s4, s22, v7
	s_and_saveexec_b32 s5, s4
	s_delay_alu instid0(SALU_CYCLE_1)
	s_xor_b32 s4, exec_lo, s5
	s_cbranch_execz .LBB184_85
; %bb.84:
	v_mul_u32_u24_e32 v9, 33, v7
	v_mov_b32_e32 v8, 0
	s_delay_alu instid0(VALU_DEP_2) | instskip(NEXT) | instid1(VALU_DEP_2)
	v_add_lshl_u32 v10, v9, v0, 3
	v_mov_b32_e32 v9, v8
	ds_store_b64 v10, v[8:9]
.LBB184_85:
	s_and_not1_saveexec_b32 s5, s4
	s_cbranch_execz .LBB184_87
; %bb.86:
	s_lshl_b64 s[26:27], s[12:13], 6
	s_delay_alu instid0(SALU_CYCLE_1) | instskip(NEXT) | instid1(VALU_DEP_1)
	v_add_co_u32 v8, s4, v1, s26
	v_add_co_ci_u32_e64 v9, s4, s27, v2, s4
	flat_load_b64 v[8:9], v[8:9]
	s_waitcnt vmcnt(0) lgkmcnt(0)
	ds_store_b64 v11, v[8:9] offset:2112
.LBB184_87:
	s_or_b32 exec_lo, exec_lo, s5
	v_add_nc_u32_e32 v8, 16, v5
	s_delay_alu instid0(VALU_DEP_1) | instskip(NEXT) | instid1(VALU_DEP_1)
	v_cmp_le_i32_e64 s4, s22, v8
	s_and_saveexec_b32 s5, s4
	s_delay_alu instid0(SALU_CYCLE_1)
	s_xor_b32 s4, exec_lo, s5
	s_cbranch_execz .LBB184_89
; %bb.88:
	v_mul_u32_u24_e32 v10, 33, v8
	v_mov_b32_e32 v9, 0
	s_delay_alu instid0(VALU_DEP_2) | instskip(NEXT) | instid1(VALU_DEP_2)
	v_add_lshl_u32 v12, v10, v0, 3
	v_mov_b32_e32 v10, v9
	ds_store_b64 v12, v[9:10]
.LBB184_89:
	s_and_not1_saveexec_b32 s5, s4
	s_cbranch_execz .LBB184_91
; %bb.90:
	s_lshl_b64 s[26:27], s[12:13], 7
	s_delay_alu instid0(SALU_CYCLE_1) | instskip(NEXT) | instid1(VALU_DEP_1)
	v_add_co_u32 v9, s4, v1, s26
	v_add_co_ci_u32_e64 v10, s4, s27, v2, s4
	flat_load_b64 v[9:10], v[9:10]
	s_waitcnt vmcnt(0) lgkmcnt(0)
	ds_store_b64 v11, v[9:10] offset:4224
.LBB184_91:
	s_or_b32 exec_lo, exec_lo, s5
	v_add_nc_u32_e32 v9, 24, v5
                                        ; implicit-def: $vgpr10
	s_delay_alu instid0(VALU_DEP_1) | instskip(NEXT) | instid1(VALU_DEP_1)
	v_cmp_le_i32_e64 s4, s22, v9
	s_and_saveexec_b32 s5, s4
	s_delay_alu instid0(SALU_CYCLE_1)
	s_xor_b32 s4, exec_lo, s5
	s_cbranch_execz .LBB184_93
; %bb.92:
	v_mov_b32_e32 v12, 0
	s_delay_alu instid0(VALU_DEP_1)
	v_dual_mov_b32 v13, v12 :: v_dual_add_nc_u32 v10, 0x318, v6
	ds_store_b64 v11, v[12:13] offset:6336
                                        ; implicit-def: $vgpr11
.LBB184_93:
	s_and_not1_saveexec_b32 s4, s4
	s_cbranch_execz .LBB184_95
; %bb.94:
	v_mad_u64_u32 v[12:13], null, 0xc0, s12, v[1:2]
	s_delay_alu instid0(VALU_DEP_1) | instskip(NEXT) | instid1(VALU_DEP_1)
	v_mov_b32_e32 v10, v13
	v_mad_u64_u32 v[13:14], null, 0xc0, s13, v[10:11]
	v_add_nc_u32_e32 v10, 0x318, v6
	flat_load_b64 v[12:13], v[12:13]
	s_waitcnt vmcnt(0) lgkmcnt(0)
	ds_store_b64 v11, v[12:13] offset:6336
.LBB184_95:
	s_or_b32 exec_lo, exec_lo, s4
	v_lshlrev_b32_e32 v0, 3, v0
	s_delay_alu instid0(VALU_DEP_1) | instskip(NEXT) | instid1(VALU_DEP_1)
	v_add_co_u32 v0, s4, v1, v0
	v_add_co_ci_u32_e64 v1, s4, 0, v2, s4
	s_delay_alu instid0(VALU_DEP_2) | instskip(NEXT) | instid1(VALU_DEP_1)
	v_sub_co_u32 v0, s4, v0, s6
	v_subrev_co_ci_u32_e64 v1, s4, s7, v1, s4
	s_delay_alu instid0(VALU_DEP_2) | instskip(NEXT) | instid1(VALU_DEP_1)
	v_add_co_u32 v0, s4, 0x108, v0
	v_add_co_ci_u32_e64 v2, s4, 0, v1, s4
	s_delay_alu instid0(VALU_DEP_2) | instskip(NEXT) | instid1(VALU_DEP_2)
	v_dual_cndmask_b32 v24, v0, v24 :: v_dual_add_nc_u32 v1, 0x108, v6
	v_dual_cndmask_b32 v25, v2, v25 :: v_dual_add_nc_u32 v2, 0x210, v6
.LBB184_96:
	v_lshlrev_b32_e32 v0, 3, v6
	v_lshlrev_b32_e32 v5, 3, v5
	s_delay_alu instid0(VALU_DEP_4)
	v_lshlrev_b32_e32 v1, 3, v1
	v_lshlrev_b32_e32 v6, 3, v7
	;; [unrolled: 1-line block ×6, first 2 shown]
	s_waitcnt lgkmcnt(0)
	s_barrier
	buffer_gl0_inv
	ds_load_b64 v[30:31], v0
	ds_load_b64 v[32:33], v5 offset:9088
	ds_load_b64 v[34:35], v1
	ds_load_b64 v[36:37], v6 offset:9088
	;; [unrolled: 2-line block ×4, first 2 shown]
	ds_load_b128 v[8:11], v3 offset:256
	ds_load_b128 v[0:3], v3 offset:272
	ds_load_2addr_b64 v[12:15], v4 offset1:1
	ds_load_2addr_b64 v[4:7], v4 offset0:2 offset1:3
	s_waitcnt lgkmcnt(0)
	s_barrier
	buffer_gl0_inv
	v_mul_f32_e32 v46, v33, v31
	v_mul_f32_e32 v31, v32, v31
	;; [unrolled: 1-line block ×4, first 2 shown]
	s_delay_alu instid0(VALU_DEP_4) | instskip(NEXT) | instid1(VALU_DEP_4)
	v_fma_f32 v32, v32, v30, -v46
	v_dual_fmac_f32 v31, v33, v30 :: v_dual_mul_f32 v30, v40, v39
	v_mul_f32_e32 v35, v36, v35
	v_fma_f32 v33, v36, v34, -v47
	s_delay_alu instid0(VALU_DEP_3) | instskip(NEXT) | instid1(VALU_DEP_4)
	v_dual_add_f32 v32, 0, v32 :: v_dual_add_f32 v31, 0, v31
	v_fmac_f32_e32 v30, v41, v38
	s_delay_alu instid0(VALU_DEP_4) | instskip(SKIP_2) | instid1(VALU_DEP_3)
	v_dual_fmac_f32 v35, v37, v34 :: v_dual_mul_f32 v34, v44, v43
	v_mul_f32_e32 v49, v45, v43
	v_fma_f32 v36, v40, v38, -v48
	v_dual_add_f32 v32, v32, v33 :: v_dual_add_f32 v31, v31, v35
	s_delay_alu instid0(VALU_DEP_4) | instskip(NEXT) | instid1(VALU_DEP_4)
	v_fmac_f32_e32 v34, v45, v42
	v_fma_f32 v33, v44, v42, -v49
	s_delay_alu instid0(VALU_DEP_3) | instskip(NEXT) | instid1(VALU_DEP_1)
	v_dual_add_f32 v32, v32, v36 :: v_dual_add_f32 v31, v31, v30
	v_dual_add_f32 v30, v32, v33 :: v_dual_add_f32 v31, v31, v34
	ds_store_b64 v29, v[30:31]
	s_waitcnt lgkmcnt(0)
	s_barrier
	buffer_gl0_inv
	s_and_saveexec_b32 s4, s3
	s_cbranch_execz .LBB184_98
; %bb.97:
	v_lshlrev_b32_e32 v42, 3, v28
	ds_load_2addr_b64 v[30:33], v42 offset1:1
	ds_load_2addr_b64 v[34:37], v42 offset0:2 offset1:3
	s_waitcnt lgkmcnt(1)
	v_dual_add_f32 v19, v19, v31 :: v_dual_add_f32 v18, v18, v30
	ds_load_2addr_b64 v[38:41], v42 offset0:4 offset1:5
	v_dual_add_f32 v19, v19, v33 :: v_dual_add_f32 v18, v18, v32
	ds_load_2addr_b64 v[30:33], v42 offset0:6 offset1:7
	s_waitcnt lgkmcnt(2)
	v_dual_add_f32 v19, v19, v35 :: v_dual_add_f32 v18, v18, v34
	s_delay_alu instid0(VALU_DEP_1) | instskip(SKIP_1) | instid1(VALU_DEP_1)
	v_dual_add_f32 v19, v19, v37 :: v_dual_add_f32 v18, v18, v36
	s_waitcnt lgkmcnt(1)
	v_dual_add_f32 v19, v19, v39 :: v_dual_add_f32 v18, v18, v38
	s_delay_alu instid0(VALU_DEP_1) | instskip(SKIP_1) | instid1(VALU_DEP_1)
	v_dual_add_f32 v19, v19, v41 :: v_dual_add_f32 v18, v18, v40
	s_waitcnt lgkmcnt(0)
	v_dual_add_f32 v19, v19, v31 :: v_dual_add_f32 v18, v18, v30
	s_delay_alu instid0(VALU_DEP_1)
	v_dual_add_f32 v19, v19, v33 :: v_dual_add_f32 v18, v18, v32
.LBB184_98:
	s_or_b32 exec_lo, exec_lo, s4
	v_dual_mul_f32 v30, v9, v13 :: v_dual_mul_f32 v31, v11, v15
	v_mul_f32_e32 v13, v8, v13
	v_dual_mul_f32 v15, v10, v15 :: v_dual_mul_f32 v32, v1, v5
	s_delay_alu instid0(VALU_DEP_3) | instskip(NEXT) | instid1(VALU_DEP_4)
	v_fma_f32 v8, v8, v12, -v30
	v_fma_f32 v10, v10, v14, -v31
	v_mul_f32_e32 v5, v0, v5
	s_delay_alu instid0(VALU_DEP_4)
	v_fmac_f32_e32 v15, v11, v14
	v_fma_f32 v0, v0, v4, -v32
	v_add_f32_e32 v8, 0, v8
	v_fmac_f32_e32 v13, v9, v12
	v_fmac_f32_e32 v5, v1, v4
	s_barrier
	s_delay_alu instid0(VALU_DEP_3)
	v_dual_add_f32 v8, v8, v10 :: v_dual_mul_f32 v9, v3, v7
	v_mul_f32_e32 v7, v2, v7
	buffer_gl0_inv
	v_add_f32_e32 v0, v8, v0
	v_fma_f32 v2, v2, v6, -v9
	v_add_f32_e32 v11, 0, v13
	v_fmac_f32_e32 v7, v3, v6
	s_delay_alu instid0(VALU_DEP_2) | instskip(NEXT) | instid1(VALU_DEP_1)
	v_dual_add_f32 v0, v0, v2 :: v_dual_add_f32 v1, v11, v15
	v_add_f32_e32 v1, v1, v5
	s_delay_alu instid0(VALU_DEP_1)
	v_add_f32_e32 v1, v1, v7
	ds_store_b64 v29, v[0:1]
	s_waitcnt lgkmcnt(0)
	s_barrier
	buffer_gl0_inv
	s_and_saveexec_b32 s3, s2
	s_cbranch_execz .LBB184_100
; %bb.99:
	v_lshlrev_b32_e32 v12, 3, v28
	ds_load_2addr_b64 v[0:3], v12 offset1:1
	ds_load_2addr_b64 v[4:7], v12 offset0:2 offset1:3
	s_waitcnt lgkmcnt(1)
	v_add_f32_e32 v1, v19, v1
	ds_load_2addr_b64 v[8:11], v12 offset0:4 offset1:5
	v_add_f32_e32 v14, v1, v3
	s_waitcnt lgkmcnt(1)
	s_delay_alu instid0(VALU_DEP_1) | instskip(NEXT) | instid1(VALU_DEP_1)
	v_add_f32_e32 v5, v14, v5
	v_dual_add_f32 v0, v18, v0 :: v_dual_add_f32 v5, v5, v7
	s_delay_alu instid0(VALU_DEP_1) | instskip(SKIP_3) | instid1(VALU_DEP_1)
	v_add_f32_e32 v13, v0, v2
	ds_load_2addr_b64 v[0:3], v12 offset0:6 offset1:7
	v_add_f32_e32 v4, v13, v4
	s_waitcnt lgkmcnt(1)
	v_dual_add_f32 v5, v5, v9 :: v_dual_add_f32 v4, v4, v6
	s_delay_alu instid0(VALU_DEP_1) | instskip(SKIP_1) | instid1(VALU_DEP_1)
	v_dual_add_f32 v5, v5, v11 :: v_dual_add_f32 v4, v4, v8
	s_waitcnt lgkmcnt(0)
	v_dual_add_f32 v4, v4, v10 :: v_dual_add_f32 v1, v5, v1
	s_delay_alu instid0(VALU_DEP_1) | instskip(NEXT) | instid1(VALU_DEP_1)
	v_dual_add_f32 v0, v4, v0 :: v_dual_add_f32 v19, v1, v3
	v_add_f32_e32 v18, v0, v2
.LBB184_100:
	s_or_b32 exec_lo, exec_lo, s3
	s_mul_hi_u32 s2, s15, s16
	s_mul_i32 s28, s28, s16
	s_mul_i32 s3, s15, s16
	s_add_i32 s2, s2, s28
	s_mul_hi_u32 s5, s3, s17
	s_mul_i32 s4, s2, s17
	s_mul_i32 s2, s3, s17
	s_add_i32 s3, s5, s4
	s_mul_i32 s4, s14, s15
	s_lshl_b64 s[2:3], s[2:3], 3
	v_cmp_le_i32_e32 vcc_lo, s22, v26
	s_add_u32 s6, s18, s2
	s_addc_u32 s7, s19, s3
	s_ashr_i32 s5, s4, 31
	v_lshlrev_b32_e32 v73, 3, v26
	s_lshl_b64 s[2:3], s[4:5], 3
	s_delay_alu instid0(SALU_CYCLE_1)
	s_add_u32 s15, s6, s2
	s_addc_u32 s26, s7, s3
	s_and_b32 vcc_lo, s29, vcc_lo
	s_cmp_lt_i32 s14, 1
	s_barrier
	buffer_gl0_inv
	s_cbranch_scc1 .LBB184_107
; %bb.101:
	v_lshlrev_b32_e32 v1, 2, v72
	s_mul_i32 s3, s20, s9
	s_mul_hi_u32 s5, s20, s8
	s_ashr_i32 s23, s22, 31
	s_mul_i32 s16, s21, s8
	v_mad_u64_u32 v[2:3], null, v1, s12, 0
	s_add_i32 s3, s5, s3
	s_lshl_b64 s[6:7], s[22:23], 3
	s_add_i32 s5, s3, s16
	s_mul_i32 s3, s13, 24
	s_mul_hi_u32 s18, s12, 24
	s_mul_i32 s4, s20, s8
	s_delay_alu instid0(VALU_DEP_1)
	v_mov_b32_e32 v0, v3
	s_add_i32 s20, s18, s3
	s_mul_i32 s3, s13, 0x90
	s_mul_hi_u32 s22, s12, 0x90
	v_and_b32_e32 v7, 48, v26
	v_mad_u64_u32 v[3:4], null, v1, s13, v[0:1]
	v_sub_co_u32 v0, s2, v24, s24
	s_delay_alu instid0(VALU_DEP_1) | instskip(SKIP_1) | instid1(VALU_DEP_2)
	v_subrev_co_ci_u32_e64 v4, s2, s25, v25, s2
	s_add_i32 s22, s22, s3
	v_sub_co_u32 v0, s2, v0, v22
	s_delay_alu instid0(VALU_DEP_4) | instskip(NEXT) | instid1(VALU_DEP_3)
	v_lshlrev_b64 v[2:3], 3, v[2:3]
	v_sub_co_ci_u32_e64 v4, s2, v4, v23, s2
	s_mul_i32 s3, s13, 0x98
	s_mul_hi_u32 s24, s12, 0x98
	s_mul_hi_u32 s27, s12, 0x110
	s_delay_alu instid0(VALU_DEP_2) | instskip(NEXT) | instid1(VALU_DEP_1)
	v_add_co_u32 v0, s2, v0, v2
	v_add_co_ci_u32_e64 v2, s2, v4, v3, s2
	s_add_i32 s24, s24, s3
	s_delay_alu instid0(VALU_DEP_2) | instskip(NEXT) | instid1(VALU_DEP_1)
	v_add_co_u32 v0, s2, 0xffffff00, v0
	v_add_co_ci_u32_e64 v2, s2, -1, v2, s2
	s_mul_i32 s3, s13, 0x110
	s_delay_alu instid0(VALU_DEP_2) | instskip(NEXT) | instid1(VALU_DEP_1)
	v_add_co_u32 v3, s2, v0, s6
	v_add_co_ci_u32_e64 v8, s2, s7, v2, s2
	v_add_co_u32 v0, s2, v0, v73
	s_delay_alu instid0(VALU_DEP_1) | instskip(NEXT) | instid1(VALU_DEP_4)
	v_add_co_ci_u32_e64 v2, s2, 0, v2, s2
	v_add_co_u32 v9, s2, v3, -8
	s_add_i32 s27, s27, s3
	s_mul_i32 s3, s13, 0x118
	s_mul_hi_u32 s29, s12, 0x118
	v_and_b32_e32 v5, 15, v26
	v_lshrrev_b32_e32 v6, 4, v27
	v_lshlrev_b32_e32 v4, 3, v7
	v_add_co_ci_u32_e64 v3, s2, -1, v8, s2
	s_add_i32 s29, s29, s3
	s_mul_i32 s3, s13, 0x180
	s_mul_hi_u32 s31, s12, 0x180
	s_mul_hi_u32 s34, s12, 0x190
	s_add_i32 s31, s31, s3
	s_mul_i32 s3, s13, 0x190
	s_lshl_b64 s[4:5], s[4:5], 3
	v_dual_cndmask_b32 v3, v2, v3 :: v_dual_lshlrev_b32 v8, 5, v6
	v_cndmask_b32_e32 v2, v0, v9, vcc_lo
	v_or_b32_e32 v0, 0x78, v73
	v_mad_u32_u24 v78, 0x218, v5, v4
	v_lshlrev_b32_e32 v4, 3, v6
	s_add_i32 s34, s34, s3
	s_mul_i32 s3, s13, 0x198
	s_mul_hi_u32 s36, s12, 0x198
	v_sub_co_u32 v76, s2, v20, s4
	s_add_i32 s36, s36, s3
	s_mul_i32 s3, s13, 0x188
	s_mul_hi_u32 s38, s12, 0x188
	v_subrev_co_ci_u32_e64 v77, s2, s5, v21, s2
	s_add_i32 s38, s38, s3
	s_mul_i32 s3, s13, 0x108
	s_mul_hi_u32 s40, s12, 0x108
	v_dual_mov_b32 v1, 0 :: v_dual_add_nc_u32 v74, 0x2180, v73
	v_add_nc_u32_e32 v75, 0x2380, v73
	v_cmp_gt_u32_e64 s2, 64, v27
	v_mad_u32_u24 v79, 0x218, v5, v0
	v_mad_u32_u24 v80, 0x218, v5, v8
	v_lshl_add_u32 v81, v72, 5, 0x2180
	v_mad_u32_u24 v82, 0x860, v72, v73
	v_mad_u32_u24 v83, 0x218, v5, v4
	v_or_b32_e32 v84, v7, v5
	s_lshl_b64 s[4:5], s[12:13], 3
	s_lshl_b64 s[6:7], s[12:13], 4
	;; [unrolled: 1-line block ×4, first 2 shown]
	s_add_i32 s40, s40, s3
	s_mul_i32 s3, s13, 0x88
	s_mul_hi_u32 s13, s12, 0x88
	s_mul_i32 s21, s12, 24
	s_mul_i32 s23, s12, 0x90
	;; [unrolled: 1-line block ×10, first 2 shown]
	s_add_i32 s13, s13, s3
	s_mulk_i32 s12, 0x88
	s_mov_b32 s42, 0
	s_branch .LBB184_103
.LBB184_102:                            ;   in Loop: Header=BB184_103 Depth=1
	s_or_b32 exec_lo, exec_lo, s43
	v_dual_mul_f32 v0, v13, v5 :: v_dual_mul_f32 v85, v31, v11
	v_mul_f32_e32 v13, v13, v4
	v_dual_mul_f32 v31, v31, v10 :: v_dual_mul_f32 v86, v29, v9
	s_delay_alu instid0(VALU_DEP_3) | instskip(SKIP_3) | instid1(VALU_DEP_4)
	v_fma_f32 v0, v12, v4, -v0
	v_dual_mul_f32 v4, v29, v8 :: v_dual_mul_f32 v29, v27, v7
	v_mul_f32_e32 v27, v27, v6
	v_fma_f32 v10, v30, v10, -v85
	v_add_f32_e32 v0, v18, v0
	v_mul_f32_e32 v18, v43, v25
	v_fmac_f32_e32 v13, v12, v5
	v_mul_f32_e32 v43, v43, v24
	v_fma_f32 v5, v28, v8, -v86
	v_add_f32_e32 v0, v0, v10
	v_mul_f32_e32 v8, v47, v23
	v_dual_fmac_f32 v31, v30, v11 :: v_dual_add_f32 v10, v19, v13
	v_fma_f32 v6, v26, v6, -v29
	s_delay_alu instid0(VALU_DEP_4) | instskip(NEXT) | instid1(VALU_DEP_3)
	v_dual_add_f32 v0, v0, v5 :: v_dual_mul_f32 v5, v47, v22
	v_dual_fmac_f32 v4, v28, v9 :: v_dual_add_f32 v9, v10, v31
	v_fma_f32 v10, v42, v24, -v18
	s_delay_alu instid0(VALU_DEP_3) | instskip(SKIP_1) | instid1(VALU_DEP_4)
	v_dual_add_f32 v0, v0, v6 :: v_dual_fmac_f32 v27, v26, v7
	v_fma_f32 v7, v46, v22, -v8
	v_dual_add_f32 v4, v9, v4 :: v_dual_fmac_f32 v43, v42, v25
	s_delay_alu instid0(VALU_DEP_3) | instskip(SKIP_1) | instid1(VALU_DEP_3)
	v_add_f32_e32 v0, v0, v10
	v_dual_mul_f32 v6, v45, v21 :: v_dual_fmac_f32 v5, v46, v23
	v_add_f32_e32 v4, v4, v27
	v_add_co_u32 v2, s3, v2, s16
	s_delay_alu instid0(VALU_DEP_4) | instskip(NEXT) | instid1(VALU_DEP_3)
	v_dual_add_f32 v0, v0, v7 :: v_dual_mul_f32 v7, v45, v20
	v_add_f32_e32 v4, v4, v43
	v_mul_f32_e32 v8, v41, v15
	v_fma_f32 v6, v44, v20, -v6
	v_add_co_ci_u32_e64 v3, s3, s17, v3, s3
	v_fmac_f32_e32 v7, v44, v21
	v_dual_add_f32 v4, v4, v5 :: v_dual_mul_f32 v5, v41, v14
	v_fma_f32 v8, v40, v14, -v8
	s_add_i32 s14, s14, -1
	s_add_i32 s42, s42, 64
	s_delay_alu instid0(VALU_DEP_2)
	v_add_f32_e32 v4, v4, v7
	v_fmac_f32_e32 v5, v40, v15
	v_mul_f32_e32 v7, v57, v38
	v_mul_f32_e32 v9, v67, v48
	s_cmp_eq_u32 s14, 0
	s_waitcnt_vscnt null, 0x0
	v_dual_add_f32 v4, v4, v5 :: v_dual_mul_f32 v5, v63, v36
	v_add_f32_e32 v0, v0, v6
	v_mul_f32_e32 v6, v57, v39
	v_fmac_f32_e32 v7, v56, v39
	s_barrier
	s_delay_alu instid0(VALU_DEP_3)
	v_dual_fmac_f32 v5, v62, v37 :: v_dual_add_f32 v0, v0, v8
	v_mul_f32_e32 v8, v63, v37
	v_fma_f32 v6, v56, v38, -v6
	v_dual_add_f32 v4, v4, v7 :: v_dual_fmac_f32 v9, v66, v49
	v_mul_f32_e32 v7, v61, v34
	buffer_gl0_inv
	v_dual_add_f32 v4, v4, v5 :: v_dual_mul_f32 v5, v65, v55
	v_add_f32_e32 v0, v0, v6
	v_fma_f32 v6, v62, v36, -v8
	v_mul_f32_e32 v8, v61, v35
	v_fmac_f32_e32 v7, v60, v35
	v_fma_f32 v5, v64, v54, -v5
	s_delay_alu instid0(VALU_DEP_4) | instskip(NEXT) | instid1(VALU_DEP_4)
	v_add_f32_e32 v0, v0, v6
	v_fma_f32 v6, v60, v34, -v8
	v_mul_f32_e32 v8, v59, v33
	s_delay_alu instid0(VALU_DEP_2) | instskip(NEXT) | instid1(VALU_DEP_2)
	v_add_f32_e32 v0, v0, v6
	v_fma_f32 v6, v58, v32, -v8
	v_mul_f32_e32 v8, v59, v32
	v_dual_add_f32 v4, v4, v7 :: v_dual_mul_f32 v7, v65, v54
	s_delay_alu instid0(VALU_DEP_3) | instskip(NEXT) | instid1(VALU_DEP_2)
	v_add_f32_e32 v0, v0, v6
	v_dual_mul_f32 v6, v71, v53 :: v_dual_fmac_f32 v7, v64, v55
	s_delay_alu instid0(VALU_DEP_2) | instskip(NEXT) | instid1(VALU_DEP_2)
	v_add_f32_e32 v0, v0, v5
	v_fma_f32 v5, v70, v52, -v6
	v_mul_f32_e32 v6, v71, v52
	s_delay_alu instid0(VALU_DEP_2) | instskip(SKIP_1) | instid1(VALU_DEP_2)
	v_dual_add_f32 v0, v0, v5 :: v_dual_mul_f32 v5, v69, v50
	v_fmac_f32_e32 v8, v58, v33
	v_dual_fmac_f32 v6, v70, v53 :: v_dual_fmac_f32 v5, v68, v51
	s_delay_alu instid0(VALU_DEP_2) | instskip(SKIP_1) | instid1(VALU_DEP_2)
	v_add_f32_e32 v4, v4, v8
	v_mul_f32_e32 v8, v69, v51
	v_add_f32_e32 v4, v4, v7
	s_delay_alu instid0(VALU_DEP_2) | instskip(SKIP_1) | instid1(VALU_DEP_3)
	v_fma_f32 v7, v68, v50, -v8
	v_mul_f32_e32 v8, v67, v49
	v_add_f32_e32 v4, v4, v6
	s_delay_alu instid0(VALU_DEP_3) | instskip(NEXT) | instid1(VALU_DEP_3)
	v_add_f32_e32 v0, v0, v7
	v_fma_f32 v6, v66, v48, -v8
	s_delay_alu instid0(VALU_DEP_3) | instskip(NEXT) | instid1(VALU_DEP_2)
	v_add_f32_e32 v4, v4, v5
	v_add_f32_e32 v18, v0, v6
	s_delay_alu instid0(VALU_DEP_2)
	v_add_f32_e32 v19, v4, v9
	s_cbranch_scc1 .LBB184_107
.LBB184_103:                            ; =>This Inner Loop Header: Depth=1
	s_and_saveexec_b32 s43, s1
	s_cbranch_execz .LBB184_105
; %bb.104:                              ;   in Loop: Header=BB184_103 Depth=1
	s_mul_i32 s3, s42, s9
	s_mul_hi_u32 s45, s42, s8
	s_mul_i32 s44, s42, s8
	s_add_i32 s45, s45, s3
	s_delay_alu instid0(SALU_CYCLE_1) | instskip(NEXT) | instid1(SALU_CYCLE_1)
	s_lshl_b64 s[44:45], s[44:45], 3
	v_add_co_u32 v4, s3, v76, s44
	s_delay_alu instid0(VALU_DEP_1)
	v_add_co_ci_u32_e64 v5, s3, s45, v77, s3
	flat_load_b64 v[4:5], v[4:5]
	s_waitcnt vmcnt(0) lgkmcnt(0)
	ds_store_b64 v74, v[4:5]
.LBB184_105:                            ;   in Loop: Header=BB184_103 Depth=1
	s_or_b32 exec_lo, exec_lo, s43
	v_add_co_u32 v6, s3, v2, s4
	s_delay_alu instid0(VALU_DEP_1) | instskip(SKIP_1) | instid1(VALU_DEP_1)
	v_add_co_ci_u32_e64 v7, s3, s5, v3, s3
	v_add_co_u32 v8, s3, v2, s6
	v_add_co_ci_u32_e64 v9, s3, s7, v3, s3
	v_add_co_u32 v12, s3, v2, s21
	s_delay_alu instid0(VALU_DEP_1)
	v_add_co_ci_u32_e64 v13, s3, s20, v3, s3
	s_waitcnt lgkmcnt(0)
	s_barrier
	buffer_gl0_inv
	s_clause 0x3
	flat_load_b64 v[4:5], v[2:3]
	flat_load_b64 v[10:11], v[6:7]
	;; [unrolled: 1-line block ×4, first 2 shown]
	ds_load_b64 v[14:15], v75
	ds_load_b64 v[12:13], v81
	v_add_co_u32 v20, s3, v2, s18
	s_delay_alu instid0(VALU_DEP_1) | instskip(SKIP_1) | instid1(VALU_DEP_1)
	v_add_co_ci_u32_e64 v21, s3, s19, v3, s3
	v_add_co_u32 v22, s3, v2, s12
	v_add_co_ci_u32_e64 v23, s3, s13, v3, s3
	v_add_co_u32 v32, s3, v2, s23
	s_delay_alu instid0(VALU_DEP_1)
	v_add_co_ci_u32_e64 v33, s3, s22, v3, s3
	s_waitcnt vmcnt(0) lgkmcnt(1)
	v_dual_mul_f32 v0, v15, v5 :: v_dual_mul_f32 v37, v14, v7
	v_mul_f32_e32 v35, v15, v8
	v_mul_f32_e32 v26, v15, v10
	v_mul_f32_e32 v27, v15, v9
	s_delay_alu instid0(VALU_DEP_4) | instskip(NEXT) | instid1(VALU_DEP_4)
	v_fma_f32 v24, v14, v4, -v0
	v_dual_mul_f32 v0, v15, v11 :: v_dual_fmac_f32 v35, v14, v9
	s_delay_alu instid0(VALU_DEP_4) | instskip(SKIP_3) | instid1(VALU_DEP_4)
	v_dual_mul_f32 v25, v15, v4 :: v_dual_fmac_f32 v26, v14, v11
	v_mul_f32_e32 v28, v15, v7
	v_fma_f32 v34, v14, v8, -v27
	v_fmac_f32_e32 v37, v15, v6
	v_fmac_f32_e32 v25, v14, v5
	s_delay_alu instid0(VALU_DEP_4) | instskip(SKIP_4) | instid1(VALU_DEP_1)
	v_fma_f32 v36, v14, v6, -v28
	ds_store_b64 v82, v[24:25]
	v_fma_f32 v25, v14, v10, -v0
	ds_load_b64 v[30:31], v81 offset:8
	v_add_co_u32 v14, s3, v2, s25
	v_add_co_ci_u32_e64 v15, s3, s24, v3, s3
	ds_store_b64 v82, v[25:26] offset:536
	ds_load_b64 v[28:29], v81 offset:16
	ds_store_b64 v82, v[34:35] offset:1072
	ds_load_b64 v[26:27], v81 offset:24
	ds_store_b64 v82, v[36:37] offset:1608
	s_waitcnt lgkmcnt(0)
	s_barrier
	buffer_gl0_inv
	ds_load_2addr_b64 v[85:88], v80 offset1:1
	ds_load_2addr_b64 v[89:92], v80 offset0:2 offset1:3
	s_waitcnt lgkmcnt(0)
	s_barrier
	buffer_gl0_inv
	s_clause 0x3
	flat_load_b64 v[24:25], v[20:21]
	flat_load_b64 v[22:23], v[22:23]
	flat_load_b64 v[20:21], v[32:33]
	flat_load_b64 v[14:15], v[14:15]
	ds_load_b64 v[32:33], v75
	ds_load_b64 v[42:43], v81 offset:128
	v_add_co_u32 v34, s3, v2, s10
	s_delay_alu instid0(VALU_DEP_1) | instskip(SKIP_1) | instid1(VALU_DEP_1)
	v_add_co_ci_u32_e64 v35, s3, s11, v3, s3
	v_add_co_u32 v36, s3, v2, s41
	v_add_co_ci_u32_e64 v37, s3, s40, v3, s3
	v_add_co_u32 v48, s3, v2, s28
	s_delay_alu instid0(VALU_DEP_1)
	v_add_co_ci_u32_e64 v49, s3, s27, v3, s3
	s_waitcnt vmcnt(2) lgkmcnt(1)
	v_mul_f32_e32 v40, v33, v23
	v_mul_f32_e32 v0, v33, v25
	;; [unrolled: 1-line block ×4, first 2 shown]
	s_waitcnt vmcnt(1)
	v_mul_f32_e32 v44, v33, v21
	v_mul_f32_e32 v51, v33, v20
	s_waitcnt vmcnt(0)
	v_mul_f32_e32 v45, v33, v15
	v_mul_f32_e32 v53, v32, v15
	v_fma_f32 v38, v32, v24, -v0
	v_fmac_f32_e32 v39, v32, v25
	v_fma_f32 v40, v32, v22, -v40
	v_fmac_f32_e32 v41, v32, v23
	;; [unrolled: 2-line block ×4, first 2 shown]
	ds_store_b64 v82, v[38:39]
	ds_load_b64 v[46:47], v81 offset:136
	ds_store_b64 v82, v[40:41] offset:536
	ds_load_b64 v[44:45], v81 offset:144
	ds_store_b64 v82, v[50:51] offset:1072
	;; [unrolled: 2-line block ×3, first 2 shown]
	s_waitcnt lgkmcnt(0)
	s_barrier
	buffer_gl0_inv
	ds_load_2addr_b64 v[93:96], v80 offset1:1
	ds_load_2addr_b64 v[97:100], v80 offset0:2 offset1:3
	s_waitcnt lgkmcnt(0)
	s_barrier
	buffer_gl0_inv
	flat_load_b64 v[38:39], v[34:35]
	v_add_co_u32 v32, s3, v2, s30
	s_delay_alu instid0(VALU_DEP_1)
	v_add_co_ci_u32_e64 v33, s3, s29, v3, s3
	s_clause 0x2
	flat_load_b64 v[36:37], v[36:37]
	flat_load_b64 v[34:35], v[48:49]
	;; [unrolled: 1-line block ×3, first 2 shown]
	ds_load_b64 v[48:49], v75
	ds_load_b64 v[56:57], v81 offset:256
	v_add_co_u32 v50, s3, v2, s33
	s_delay_alu instid0(VALU_DEP_1) | instskip(SKIP_1) | instid1(VALU_DEP_1)
	v_add_co_ci_u32_e64 v51, s3, s31, v3, s3
	v_add_co_u32 v52, s3, v2, s39
	v_add_co_ci_u32_e64 v53, s3, s38, v3, s3
	v_add_co_u32 v64, s3, v2, s35
	s_delay_alu instid0(VALU_DEP_1)
	v_add_co_ci_u32_e64 v65, s3, s34, v3, s3
	v_add_f32_e32 v94, 0, v94
	s_waitcnt vmcnt(3) lgkmcnt(1)
	v_mul_f32_e32 v0, v49, v39
	v_mul_f32_e32 v55, v49, v38
	s_waitcnt vmcnt(2)
	v_mul_f32_e32 v58, v49, v37
	s_delay_alu instid0(VALU_DEP_3)
	v_fma_f32 v54, v48, v38, -v0
	s_waitcnt vmcnt(0)
	v_mul_f32_e32 v69, v48, v33
	v_dual_add_f32 v0, 0, v85 :: v_dual_mul_f32 v59, v49, v36
	v_mul_f32_e32 v60, v49, v35
	v_mul_f32_e32 v67, v49, v34
	s_delay_alu instid0(VALU_DEP_3)
	v_dual_fmac_f32 v69, v49, v32 :: v_dual_add_f32 v0, v0, v87
	v_mul_f32_e32 v61, v49, v33
	v_fmac_f32_e32 v55, v48, v39
	v_fma_f32 v58, v48, v36, -v58
	v_fmac_f32_e32 v59, v48, v37
	v_fma_f32 v66, v48, v34, -v60
	v_fmac_f32_e32 v67, v48, v35
	v_dual_add_f32 v113, 0, v86 :: v_dual_add_f32 v0, v0, v89
	v_fma_f32 v68, v48, v32, -v61
	ds_store_b64 v82, v[54:55]
	ds_load_b64 v[62:63], v81 offset:264
	ds_store_b64 v82, v[58:59] offset:536
	v_add_co_u32 v48, s3, v2, s37
	ds_load_b64 v[60:61], v81 offset:272
	v_dual_add_f32 v89, v0, v91 :: v_dual_add_f32 v0, v94, v96
	ds_store_b64 v82, v[66:67] offset:1072
	ds_load_b64 v[58:59], v81 offset:280
	ds_store_b64 v82, v[68:69] offset:1608
	s_waitcnt lgkmcnt(0)
	s_barrier
	buffer_gl0_inv
	ds_load_2addr_b64 v[101:104], v80 offset1:1
	ds_load_2addr_b64 v[105:108], v80 offset0:2 offset1:3
	s_waitcnt lgkmcnt(0)
	s_barrier
	buffer_gl0_inv
	flat_load_b64 v[54:55], v[50:51]
	v_add_co_ci_u32_e64 v49, s3, s36, v3, s3
	s_clause 0x2
	flat_load_b64 v[52:53], v[52:53]
	flat_load_b64 v[50:51], v[64:65]
	;; [unrolled: 1-line block ×3, first 2 shown]
	ds_load_b64 v[66:67], v75
	ds_load_b64 v[64:65], v81 offset:384
	v_add_f32_e32 v0, v0, v98
	s_waitcnt vmcnt(3) lgkmcnt(1)
	v_mul_f32_e32 v68, v67, v55
	v_mul_f32_e32 v69, v67, v54
	s_waitcnt vmcnt(2)
	v_mul_f32_e32 v70, v67, v53
	v_mul_f32_e32 v86, v67, v52
	s_waitcnt vmcnt(1)
	;; [unrolled: 3-line block ×3, first 2 shown]
	v_mul_f32_e32 v111, v67, v49
	v_mul_f32_e32 v112, v66, v49
	v_fma_f32 v68, v66, v54, -v68
	v_fmac_f32_e32 v69, v66, v55
	v_fma_f32 v85, v66, v52, -v70
	v_fmac_f32_e32 v86, v66, v53
	;; [unrolled: 2-line block ×4, first 2 shown]
	ds_store_b64 v82, v[68:69]
	ds_load_b64 v[70:71], v81 offset:392
	ds_store_b64 v82, v[85:86] offset:536
	ds_load_b64 v[68:69], v81 offset:400
	ds_store_b64 v82, v[109:110] offset:1072
	;; [unrolled: 2-line block ×3, first 2 shown]
	s_waitcnt lgkmcnt(0)
	s_barrier
	buffer_gl0_inv
	ds_load_2addr_b64 v[109:112], v80 offset1:1
	v_add_f32_e32 v85, v113, v88
	s_delay_alu instid0(VALU_DEP_1)
	v_add_f32_e32 v90, v85, v90
	ds_load_2addr_b64 v[85:88], v80 offset0:2 offset1:3
	s_waitcnt lgkmcnt(0)
	s_barrier
	buffer_gl0_inv
	v_add_f32_e32 v90, v90, v92
	v_add_f32_e32 v92, 0, v101
	s_delay_alu instid0(VALU_DEP_1) | instskip(SKIP_2) | instid1(VALU_DEP_3)
	v_add_f32_e32 v92, v92, v103
	v_add_f32_e32 v94, 0, v109
	;; [unrolled: 1-line block ×5, first 2 shown]
	s_delay_alu instid0(VALU_DEP_4) | instskip(NEXT) | instid1(VALU_DEP_4)
	v_add_f32_e32 v94, v94, v111
	v_add_f32_e32 v93, v93, v95
	s_delay_alu instid0(VALU_DEP_2) | instskip(NEXT) | instid1(VALU_DEP_2)
	v_dual_add_f32 v95, 0, v110 :: v_dual_add_f32 v94, v94, v85
	v_add_f32_e32 v91, v93, v97
	s_delay_alu instid0(VALU_DEP_2) | instskip(SKIP_1) | instid1(VALU_DEP_4)
	v_add_f32_e32 v95, v95, v112
	v_add_f32_e32 v85, v96, v107
	v_add_f32_e32 v87, v94, v87
	s_delay_alu instid0(VALU_DEP_4) | instskip(NEXT) | instid1(VALU_DEP_4)
	v_add_f32_e32 v91, v91, v99
	v_add_f32_e32 v95, v95, v86
	s_delay_alu instid0(VALU_DEP_1) | instskip(NEXT) | instid1(VALU_DEP_1)
	v_dual_add_f32 v93, 0, v102 :: v_dual_add_f32 v88, v95, v88
	v_add_f32_e32 v93, v93, v104
	s_delay_alu instid0(VALU_DEP_1) | instskip(NEXT) | instid1(VALU_DEP_1)
	v_add_f32_e32 v93, v93, v106
	v_add_f32_e32 v86, v93, v108
	ds_store_2addr_b64 v83, v[89:90], v[91:92] offset1:16
	ds_store_2addr_b64 v83, v[85:86], v[87:88] offset0:32 offset1:48
	s_waitcnt lgkmcnt(0)
	s_barrier
	buffer_gl0_inv
	s_and_saveexec_b32 s43, s2
	s_cbranch_execz .LBB184_102
; %bb.106:                              ;   in Loop: Header=BB184_103 Depth=1
	ds_load_b64 v[96:97], v78
	ds_load_2addr_b64 v[85:88], v78 offset0:1 offset1:2
	ds_load_2addr_b64 v[89:92], v78 offset0:3 offset1:4
	s_waitcnt lgkmcnt(1)
	v_dual_add_f32 v0, v85, v96 :: v_dual_add_f32 v85, v86, v97
	ds_load_2addr_b64 v[93:96], v78 offset0:5 offset1:6
	v_dual_add_f32 v0, v0, v87 :: v_dual_add_f32 v97, v85, v88
	ds_load_2addr_b64 v[85:88], v78 offset0:7 offset1:8
	s_waitcnt lgkmcnt(2)
	v_dual_add_f32 v0, v0, v89 :: v_dual_add_f32 v89, v97, v90
	s_delay_alu instid0(VALU_DEP_1) | instskip(SKIP_3) | instid1(VALU_DEP_1)
	v_dual_add_f32 v0, v0, v91 :: v_dual_add_f32 v97, v89, v92
	ds_load_2addr_b64 v[89:92], v78 offset0:9 offset1:10
	s_waitcnt lgkmcnt(2)
	v_dual_add_f32 v0, v0, v93 :: v_dual_add_f32 v93, v97, v94
	v_dual_add_f32 v0, v0, v95 :: v_dual_add_f32 v97, v93, v96
	ds_load_2addr_b64 v[93:96], v78 offset0:11 offset1:12
	s_waitcnt lgkmcnt(2)
	v_dual_add_f32 v0, v0, v85 :: v_dual_add_f32 v85, v97, v86
	s_delay_alu instid0(VALU_DEP_1) | instskip(SKIP_3) | instid1(VALU_DEP_1)
	v_dual_add_f32 v0, v0, v87 :: v_dual_add_f32 v97, v85, v88
	ds_load_2addr_b64 v[85:88], v78 offset0:13 offset1:14
	s_waitcnt lgkmcnt(2)
	v_dual_add_f32 v0, v0, v89 :: v_dual_add_f32 v89, v97, v90
	v_dual_add_f32 v0, v0, v91 :: v_dual_add_f32 v91, v89, v92
	ds_load_b64 v[89:90], v79
	s_waitcnt lgkmcnt(2)
	v_dual_add_f32 v0, v0, v93 :: v_dual_add_f32 v91, v91, v94
	s_delay_alu instid0(VALU_DEP_1) | instskip(SKIP_1) | instid1(VALU_DEP_1)
	v_dual_add_f32 v0, v0, v95 :: v_dual_add_f32 v91, v91, v96
	s_waitcnt lgkmcnt(1)
	v_dual_add_f32 v85, v0, v85 :: v_dual_add_f32 v86, v91, v86
	s_delay_alu instid0(VALU_DEP_1) | instskip(NEXT) | instid1(VALU_DEP_2)
	v_dual_add_f32 v87, v85, v87 :: v_dual_add_nc_u32 v0, s42, v84
	v_add_f32_e32 v88, v86, v88
	s_delay_alu instid0(VALU_DEP_2) | instskip(SKIP_1) | instid1(VALU_DEP_2)
	v_lshlrev_b64 v[85:86], 3, v[0:1]
	s_waitcnt lgkmcnt(0)
	v_dual_add_f32 v87, v87, v89 :: v_dual_add_f32 v88, v88, v90
	s_delay_alu instid0(VALU_DEP_2) | instskip(NEXT) | instid1(VALU_DEP_1)
	v_add_co_u32 v85, s3, s15, v85
	v_add_co_ci_u32_e64 v86, s3, s26, v86, s3
	global_store_b64 v[85:86], v[87:88], off
	s_branch .LBB184_102
.LBB184_107:
	v_mad_u32_u24 v0, 0x218, v72, v73
	s_or_b32 s0, s0, vcc_lo
	s_delay_alu instid0(SALU_CYCLE_1)
	s_xor_b32 s0, s0, -1
	ds_store_b64 v0, v[18:19]
	s_waitcnt lgkmcnt(0)
	s_barrier
	buffer_gl0_inv
	s_and_saveexec_b32 s1, s0
	s_cbranch_execz .LBB184_109
; %bb.108:
	ds_load_2addr_b64 v[0:3], v73 offset1:67
	ds_load_2addr_b64 v[4:7], v73 offset0:134 offset1:201
	s_waitcnt lgkmcnt(1)
	v_dual_add_f32 v0, v2, v0 :: v_dual_add_f32 v1, v3, v1
	s_waitcnt lgkmcnt(0)
	s_delay_alu instid0(VALU_DEP_1) | instskip(SKIP_1) | instid1(VALU_DEP_2)
	v_dual_add_f32 v2, v0, v4 :: v_dual_add_f32 v3, v1, v5
	v_lshlrev_b64 v[0:1], 3, v[16:17]
	v_dual_add_f32 v2, v2, v6 :: v_dual_add_f32 v3, v3, v7
	s_delay_alu instid0(VALU_DEP_2) | instskip(NEXT) | instid1(VALU_DEP_3)
	v_add_co_u32 v0, vcc_lo, s15, v0
	v_add_co_ci_u32_e32 v1, vcc_lo, s26, v1, vcc_lo
	global_store_b64 v[0:1], v[2:3], off
.LBB184_109:
	s_nop 0
	s_sendmsg sendmsg(MSG_DEALLOC_VGPRS)
	s_endpgm
	.section	.rodata,"a",@progbits
	.p2align	6, 0x0
	.amdhsa_kernel _ZL26rocblas_hemvn_kernel_lowerILb0ELi64ELi4ELi33ELi32ELi16ElPK19rocblas_complex_numIfEPKS3_PS1_EviT6_lT7_lT5_lS8_lS9_lS7_lT8_i
		.amdhsa_group_segment_fixed_size 9600
		.amdhsa_private_segment_fixed_size 0
		.amdhsa_kernarg_size 376
		.amdhsa_user_sgpr_count 14
		.amdhsa_user_sgpr_dispatch_ptr 0
		.amdhsa_user_sgpr_queue_ptr 0
		.amdhsa_user_sgpr_kernarg_segment_ptr 1
		.amdhsa_user_sgpr_dispatch_id 0
		.amdhsa_user_sgpr_private_segment_size 0
		.amdhsa_wavefront_size32 1
		.amdhsa_uses_dynamic_stack 0
		.amdhsa_enable_private_segment 0
		.amdhsa_system_sgpr_workgroup_id_x 1
		.amdhsa_system_sgpr_workgroup_id_y 0
		.amdhsa_system_sgpr_workgroup_id_z 1
		.amdhsa_system_sgpr_workgroup_info 0
		.amdhsa_system_vgpr_workitem_id 1
		.amdhsa_next_free_vgpr 114
		.amdhsa_next_free_sgpr 46
		.amdhsa_reserve_vcc 1
		.amdhsa_float_round_mode_32 0
		.amdhsa_float_round_mode_16_64 0
		.amdhsa_float_denorm_mode_32 3
		.amdhsa_float_denorm_mode_16_64 3
		.amdhsa_dx10_clamp 1
		.amdhsa_ieee_mode 1
		.amdhsa_fp16_overflow 0
		.amdhsa_workgroup_processor_mode 1
		.amdhsa_memory_ordered 1
		.amdhsa_forward_progress 0
		.amdhsa_shared_vgpr_count 0
		.amdhsa_exception_fp_ieee_invalid_op 0
		.amdhsa_exception_fp_denorm_src 0
		.amdhsa_exception_fp_ieee_div_zero 0
		.amdhsa_exception_fp_ieee_overflow 0
		.amdhsa_exception_fp_ieee_underflow 0
		.amdhsa_exception_fp_ieee_inexact 0
		.amdhsa_exception_int_div_zero 0
	.end_amdhsa_kernel
	.section	.text._ZL26rocblas_hemvn_kernel_lowerILb0ELi64ELi4ELi33ELi32ELi16ElPK19rocblas_complex_numIfEPKS3_PS1_EviT6_lT7_lT5_lS8_lS9_lS7_lT8_i,"axG",@progbits,_ZL26rocblas_hemvn_kernel_lowerILb0ELi64ELi4ELi33ELi32ELi16ElPK19rocblas_complex_numIfEPKS3_PS1_EviT6_lT7_lT5_lS8_lS9_lS7_lT8_i,comdat
.Lfunc_end184:
	.size	_ZL26rocblas_hemvn_kernel_lowerILb0ELi64ELi4ELi33ELi32ELi16ElPK19rocblas_complex_numIfEPKS3_PS1_EviT6_lT7_lT5_lS8_lS9_lS7_lT8_i, .Lfunc_end184-_ZL26rocblas_hemvn_kernel_lowerILb0ELi64ELi4ELi33ELi32ELi16ElPK19rocblas_complex_numIfEPKS3_PS1_EviT6_lT7_lT5_lS8_lS9_lS7_lT8_i
                                        ; -- End function
	.section	.AMDGPU.csdata,"",@progbits
; Kernel info:
; codeLenInByte = 8692
; NumSgprs: 48
; NumVgprs: 114
; ScratchSize: 0
; MemoryBound: 1
; FloatMode: 240
; IeeeMode: 1
; LDSByteSize: 9600 bytes/workgroup (compile time only)
; SGPRBlocks: 5
; VGPRBlocks: 14
; NumSGPRsForWavesPerEU: 48
; NumVGPRsForWavesPerEU: 114
; Occupancy: 12
; WaveLimiterHint : 1
; COMPUTE_PGM_RSRC2:SCRATCH_EN: 0
; COMPUTE_PGM_RSRC2:USER_SGPR: 14
; COMPUTE_PGM_RSRC2:TRAP_HANDLER: 0
; COMPUTE_PGM_RSRC2:TGID_X_EN: 1
; COMPUTE_PGM_RSRC2:TGID_Y_EN: 0
; COMPUTE_PGM_RSRC2:TGID_Z_EN: 1
; COMPUTE_PGM_RSRC2:TIDIG_COMP_CNT: 1
	.section	.text._ZL26rocblas_hemvn_kernel_lowerILb0ELi64ELi4ELi33ELi32ELi16EiPK19rocblas_complex_numIfEPKS3_PS1_EviT6_lT7_lT5_lS8_lS9_lS7_lT8_i,"axG",@progbits,_ZL26rocblas_hemvn_kernel_lowerILb0ELi64ELi4ELi33ELi32ELi16EiPK19rocblas_complex_numIfEPKS3_PS1_EviT6_lT7_lT5_lS8_lS9_lS7_lT8_i,comdat
	.globl	_ZL26rocblas_hemvn_kernel_lowerILb0ELi64ELi4ELi33ELi32ELi16EiPK19rocblas_complex_numIfEPKS3_PS1_EviT6_lT7_lT5_lS8_lS9_lS7_lT8_i ; -- Begin function _ZL26rocblas_hemvn_kernel_lowerILb0ELi64ELi4ELi33ELi32ELi16EiPK19rocblas_complex_numIfEPKS3_PS1_EviT6_lT7_lT5_lS8_lS9_lS7_lT8_i
	.p2align	8
	.type	_ZL26rocblas_hemvn_kernel_lowerILb0ELi64ELi4ELi33ELi32ELi16EiPK19rocblas_complex_numIfEPKS3_PS1_EviT6_lT7_lT5_lS8_lS9_lS7_lT8_i,@function
_ZL26rocblas_hemvn_kernel_lowerILb0ELi64ELi4ELi33ELi32ELi16EiPK19rocblas_complex_numIfEPKS3_PS1_EviT6_lT7_lT5_lS8_lS9_lS7_lT8_i: ; @_ZL26rocblas_hemvn_kernel_lowerILb0ELi64ELi4ELi33ELi32ELi16EiPK19rocblas_complex_numIfEPKS3_PS1_EviT6_lT7_lT5_lS8_lS9_lS7_lT8_i
; %bb.0:
	s_load_b64 s[4:5], s[0:1], 0x84
	s_add_u32 s2, s0, 0x78
	s_addc_u32 s3, s1, 0
	s_waitcnt lgkmcnt(0)
	s_lshr_b32 s6, s4, 16
	s_and_b32 s4, s4, 0xffff
	s_and_b32 s5, s5, 0xffff
	s_mul_i32 s4, s6, s4
	s_delay_alu instid0(SALU_CYCLE_1) | instskip(NEXT) | instid1(SALU_CYCLE_1)
	s_mul_i32 s4, s4, s5
	s_cmpk_lg_i32 s4, 0x100
	s_cbranch_scc1 .LBB185_109
; %bb.1:
	s_load_b256 s[4:11], s[0:1], 0x8
	s_mov_b32 s12, s15
	s_waitcnt lgkmcnt(0)
	s_mul_i32 s7, s15, s7
	s_mul_hi_u32 s13, s15, s6
	s_mul_i32 s6, s15, s6
	s_add_i32 s7, s13, s7
	s_delay_alu instid0(SALU_CYCLE_1) | instskip(NEXT) | instid1(SALU_CYCLE_1)
	s_lshl_b64 s[6:7], s[6:7], 3
	s_add_u32 s4, s4, s6
	s_addc_u32 s5, s5, s7
	s_load_b64 s[18:19], s[4:5], 0x0
	s_clause 0x1
	s_load_b64 s[16:17], s[0:1], 0x68
	s_load_b128 s[4:7], s[0:1], 0x58
	s_waitcnt lgkmcnt(0)
	s_or_b32 s13, s18, s19
	s_delay_alu instid0(SALU_CYCLE_1) | instskip(NEXT) | instid1(SALU_CYCLE_1)
	s_bitset0_b32 s13, 31
	s_cmp_lg_u32 s13, 0
	s_mov_b32 s13, 0
	s_cselect_b32 s15, -1, 0
	s_delay_alu instid0(SALU_CYCLE_1)
	s_and_b32 vcc_lo, exec_lo, s15
	s_cbranch_vccnz .LBB185_4
; %bb.2:
	s_mul_i32 s7, s12, s7
	s_mul_hi_u32 s18, s12, s6
	s_mul_i32 s6, s12, s6
	s_add_i32 s7, s18, s7
	s_delay_alu instid0(SALU_CYCLE_1) | instskip(NEXT) | instid1(SALU_CYCLE_1)
	s_lshl_b64 s[6:7], s[6:7], 3
	s_add_u32 s4, s4, s6
	s_addc_u32 s5, s5, s7
	s_mov_b32 s7, 0
	s_load_b64 s[4:5], s[4:5], 0x0
	s_mov_b32 s6, 0
	s_waitcnt lgkmcnt(0)
	v_cmp_eq_f32_e64 s4, s4, 1.0
	v_cmp_eq_f32_e64 s5, s5, 0
	s_delay_alu instid0(VALU_DEP_1) | instskip(NEXT) | instid1(SALU_CYCLE_1)
	s_and_b32 s4, s4, s5
	s_and_not1_b32 vcc_lo, exec_lo, s4
                                        ; implicit-def: $sgpr4_sgpr5
	s_cbranch_vccz .LBB185_5
; %bb.3:
	s_mov_b32 s6, -1
	s_mov_b64 s[4:5], 0
	s_branch .LBB185_5
.LBB185_4:
	s_mov_b32 s7, -1
	s_mov_b32 s6, s13
                                        ; implicit-def: $sgpr4_sgpr5
.LBB185_5:
	s_and_b32 vcc_lo, exec_lo, s7
	s_cbranch_vccz .LBB185_7
; %bb.6:
	s_lshl_b64 s[4:5], s[12:13], 3
	s_delay_alu instid0(SALU_CYCLE_1)
	s_add_u32 s4, s8, s4
	s_addc_u32 s5, s9, s5
	s_lshl_b64 s[6:7], s[10:11], 3
	s_load_b64 s[4:5], s[4:5], 0x0
	s_waitcnt lgkmcnt(0)
	s_add_u32 s4, s4, s6
	s_addc_u32 s5, s5, s7
	s_mov_b32 s6, -1
.LBB185_7:
	s_delay_alu instid0(SALU_CYCLE_1)
	s_and_not1_b32 vcc_lo, exec_lo, s6
	s_cbranch_vccnz .LBB185_109
; %bb.8:
	v_cndmask_b32_e64 v1, 0, 1, s15
	s_and_not1_b32 vcc_lo, exec_lo, s15
	s_mov_b64 s[6:7], 0
	s_cbranch_vccnz .LBB185_10
; %bb.9:
	s_load_b128 s[8:11], s[0:1], 0x38
	s_lshl_b64 s[6:7], s[12:13], 3
	s_waitcnt lgkmcnt(0)
	s_add_u32 s6, s8, s6
	s_addc_u32 s7, s9, s7
	s_lshl_b64 s[8:9], s[10:11], 3
	s_load_b64 s[6:7], s[6:7], 0x0
	s_waitcnt lgkmcnt(0)
	s_add_u32 s6, s6, s8
	s_addc_u32 s7, s7, s9
.LBB185_10:
	s_delay_alu instid0(VALU_DEP_1)
	v_cmp_ne_u32_e32 vcc_lo, 1, v1
	s_cbranch_vccnz .LBB185_109
; %bb.11:
	s_clause 0x1
	s_load_b32 s13, s[0:1], 0x48
	s_load_b32 s15, s[0:1], 0x0
	v_and_b32_e32 v25, 0x3ff, v0
	s_lshl_b32 s18, s14, 6
	s_load_b32 s26, s[2:3], 0x0
	v_bfe_u32 v71, v0, 10, 10
	s_delay_alu instid0(VALU_DEP_2) | instskip(SKIP_1) | instid1(VALU_DEP_1)
	v_add_nc_u32_e32 v16, s18, v25
	s_waitcnt lgkmcnt(0)
	v_mul_lo_u32 v1, v16, s13
	s_ashr_i32 s27, s15, 31
	s_delay_alu instid0(SALU_CYCLE_1) | instskip(SKIP_4) | instid1(VALU_DEP_2)
	s_lshr_b32 s2, s27, 26
	s_add_i32 s8, s26, -1
	s_add_i32 s3, s15, s2
	v_cmp_ne_u32_e64 s2, 0, v71
	s_and_not1_b32 s3, s3, 63
	v_ashrrev_i32_e32 v2, 31, v1
	s_sub_i32 s9, s15, s3
	v_cmp_eq_u32_e64 s3, 0, v71
	s_cmp_eq_u32 s14, s8
	s_cselect_b32 s10, s9, 0
	v_lshlrev_b64 v[0:1], 3, v[1:2]
	s_delay_alu instid0(VALU_DEP_1) | instskip(NEXT) | instid1(VALU_DEP_2)
	v_add_co_u32 v19, vcc_lo, s6, v0
	v_add_co_ci_u32_e32 v20, vcc_lo, s7, v1, vcc_lo
	s_mov_b32 s6, -1
	s_and_saveexec_b32 s7, s3
	s_cbranch_execz .LBB185_16
; %bb.12:
	v_cmp_le_i32_e32 vcc_lo, s10, v25
	s_cmp_lg_u32 s10, 0
	v_lshl_add_u32 v0, v25, 3, 0x2380
	s_cselect_b32 s8, -1, 0
	s_delay_alu instid0(SALU_CYCLE_1) | instskip(NEXT) | instid1(SALU_CYCLE_1)
	s_and_b32 s8, s8, vcc_lo
	s_and_saveexec_b32 s9, s8
	s_delay_alu instid0(SALU_CYCLE_1)
	s_xor_b32 s8, exec_lo, s9
	s_cbranch_execz .LBB185_14
; %bb.13:
	v_mov_b32_e32 v1, 0
	s_delay_alu instid0(VALU_DEP_1)
	v_mov_b32_e32 v2, v1
	ds_store_b64 v0, v[1:2]
                                        ; implicit-def: $vgpr0
.LBB185_14:
	s_and_not1_saveexec_b32 s8, s8
	s_cbranch_execz .LBB185_16
; %bb.15:
	flat_load_b64 v[1:2], v[19:20]
	s_waitcnt vmcnt(0) lgkmcnt(0)
	ds_store_b64 v0, v[1:2]
.LBB185_16:
	s_or_b32 exec_lo, exec_lo, s7
	s_load_b32 s8, s[0:1], 0x28
	v_lshl_add_u32 v26, v71, 6, v25
	v_and_b32_e32 v0, 31, v25
	s_ashr_i32 s19, s18, 31
	s_delay_alu instid0(SALU_CYCLE_1) | instskip(NEXT) | instid1(VALU_DEP_2)
	s_lshl_b64 s[0:1], s[18:19], 3
	v_lshrrev_b32_e32 v5, 5, v26
	s_add_u32 s4, s4, s0
	s_addc_u32 s5, s5, s1
	s_waitcnt lgkmcnt(0)
	s_delay_alu instid0(VALU_DEP_1) | instskip(SKIP_1) | instid1(SALU_CYCLE_1)
	v_mad_u64_u32 v[1:2], null, v5, s8, v[0:1]
	s_mul_i32 s0, s18, s8
	s_ashr_i32 s1, s0, 31
	s_delay_alu instid0(SALU_CYCLE_1) | instskip(NEXT) | instid1(SALU_CYCLE_1)
	s_lshl_b64 s[20:21], s[0:1], 3
	s_add_u32 s0, s20, s4
	s_delay_alu instid0(VALU_DEP_1) | instskip(SKIP_3) | instid1(VALU_DEP_1)
	v_ashrrev_i32_e32 v2, 31, v1
	s_addc_u32 s1, s21, s5
	s_cmp_lg_u32 s10, 0
	s_cselect_b32 s19, -1, 0
	v_lshlrev_b64 v[21:22], 3, v[1:2]
	s_cmp_eq_u32 s10, 0
	s_cselect_b32 s7, -1, 0
	s_delay_alu instid0(VALU_DEP_1) | instskip(NEXT) | instid1(VALU_DEP_2)
	v_add_co_u32 v1, vcc_lo, s0, v21
	v_add_co_ci_u32_e32 v2, vcc_lo, s1, v22, vcc_lo
	s_and_b32 vcc_lo, exec_lo, s19
	s_cbranch_vccnz .LBB185_18
; %bb.17:
	flat_load_b64 v[3:4], v[1:2]
	s_lshl_b32 s0, s8, 3
	v_mul_u32_u24_e32 v6, 33, v5
	s_ashr_i32 s1, s0, 31
	s_ashr_i32 s9, s8, 31
	s_lshl_b64 s[0:1], s[0:1], 3
	s_mov_b32 s6, 0
	v_add_lshl_u32 v8, v6, v0, 3
	v_add_co_u32 v6, vcc_lo, v1, s0
	v_add_co_ci_u32_e32 v7, vcc_lo, s1, v2, vcc_lo
	s_lshl_b64 s[0:1], s[8:9], 6
	s_waitcnt vmcnt(0) lgkmcnt(0)
	ds_store_b64 v8, v[3:4]
	flat_load_b64 v[3:4], v[6:7]
	v_add_co_u32 v6, vcc_lo, v6, s0
	v_add_co_ci_u32_e32 v7, vcc_lo, s1, v7, vcc_lo
	s_waitcnt vmcnt(0) lgkmcnt(0)
	ds_store_b64 v8, v[3:4] offset:2112
	flat_load_b64 v[3:4], v[6:7]
	v_add_co_u32 v6, vcc_lo, v6, s0
	v_add_co_ci_u32_e32 v7, vcc_lo, s1, v7, vcc_lo
	s_waitcnt vmcnt(0) lgkmcnt(0)
	ds_store_b64 v8, v[3:4] offset:4224
	flat_load_b64 v[3:4], v[6:7]
	s_waitcnt vmcnt(0) lgkmcnt(0)
	ds_store_b64 v8, v[3:4] offset:6336
.LBB185_18:
	s_and_not1_b32 vcc_lo, exec_lo, s6
	s_cbranch_vccnz .LBB185_36
; %bb.19:
	v_lshlrev_b32_e32 v6, 3, v0
	s_ashr_i32 s11, s10, 31
	v_mul_u32_u24_e32 v7, 33, v5
	s_lshl_b64 s[4:5], s[10:11], 3
	v_cmp_le_i32_e64 s0, s10, v5
	v_sub_co_u32 v3, vcc_lo, v1, v6
	v_subrev_co_ci_u32_e32 v4, vcc_lo, 0, v2, vcc_lo
	v_add_lshl_u32 v7, v7, v0, 3
	s_delay_alu instid0(VALU_DEP_3) | instskip(NEXT) | instid1(VALU_DEP_3)
	v_add_co_u32 v3, vcc_lo, v3, s4
	v_add_co_ci_u32_e32 v4, vcc_lo, s5, v4, vcc_lo
	s_delay_alu instid0(VALU_DEP_2) | instskip(NEXT) | instid1(VALU_DEP_2)
	v_add_co_u32 v3, vcc_lo, v3, -8
	v_add_co_ci_u32_e32 v4, vcc_lo, -1, v4, vcc_lo
	v_cmp_gt_i32_e32 vcc_lo, s10, v0
	s_delay_alu instid0(VALU_DEP_2) | instskip(SKIP_1) | instid1(SALU_CYCLE_1)
	v_dual_cndmask_b32 v3, v3, v1 :: v_dual_cndmask_b32 v4, v4, v2
	s_and_saveexec_b32 s1, s0
	s_xor_b32 s0, exec_lo, s1
	s_cbranch_execz .LBB185_21
; %bb.20:
	v_mov_b32_e32 v8, 0
	s_delay_alu instid0(VALU_DEP_1)
	v_mov_b32_e32 v9, v8
	ds_store_b64 v7, v[8:9]
.LBB185_21:
	s_and_not1_saveexec_b32 s0, s0
	s_cbranch_execz .LBB185_23
; %bb.22:
	flat_load_b64 v[8:9], v[3:4]
	s_waitcnt vmcnt(0) lgkmcnt(0)
	ds_store_b64 v7, v[8:9]
.LBB185_23:
	s_or_b32 exec_lo, exec_lo, s0
	v_add_nc_u32_e32 v8, 8, v5
	s_delay_alu instid0(VALU_DEP_1) | instskip(NEXT) | instid1(VALU_DEP_1)
	v_cmp_le_i32_e64 s0, s10, v8
	s_and_saveexec_b32 s1, s0
	s_delay_alu instid0(SALU_CYCLE_1)
	s_xor_b32 s0, exec_lo, s1
	s_cbranch_execz .LBB185_25
; %bb.24:
	v_mul_u32_u24_e32 v9, 33, v8
	v_mov_b32_e32 v8, 0
	s_delay_alu instid0(VALU_DEP_2) | instskip(NEXT) | instid1(VALU_DEP_2)
	v_add_lshl_u32 v10, v9, v0, 3
	v_mov_b32_e32 v9, v8
	ds_store_b64 v10, v[8:9]
.LBB185_25:
	s_and_not1_saveexec_b32 s1, s0
	s_cbranch_execz .LBB185_27
; %bb.26:
	s_lshl_b32 s22, s8, 3
	s_delay_alu instid0(SALU_CYCLE_1) | instskip(NEXT) | instid1(SALU_CYCLE_1)
	s_ashr_i32 s23, s22, 31
	s_lshl_b64 s[22:23], s[22:23], 3
	s_delay_alu instid0(SALU_CYCLE_1) | instskip(NEXT) | instid1(VALU_DEP_1)
	v_add_co_u32 v8, s0, v3, s22
	v_add_co_ci_u32_e64 v9, s0, s23, v4, s0
	flat_load_b64 v[8:9], v[8:9]
	s_waitcnt vmcnt(0) lgkmcnt(0)
	ds_store_b64 v7, v[8:9] offset:2112
.LBB185_27:
	s_or_b32 exec_lo, exec_lo, s1
	v_add_nc_u32_e32 v8, 16, v5
	s_delay_alu instid0(VALU_DEP_1) | instskip(NEXT) | instid1(VALU_DEP_1)
	v_cmp_le_i32_e64 s0, s10, v8
	s_and_saveexec_b32 s1, s0
	s_delay_alu instid0(SALU_CYCLE_1)
	s_xor_b32 s0, exec_lo, s1
	s_cbranch_execz .LBB185_29
; %bb.28:
	v_mul_u32_u24_e32 v9, 33, v8
	v_mov_b32_e32 v8, 0
	s_delay_alu instid0(VALU_DEP_2) | instskip(NEXT) | instid1(VALU_DEP_2)
	v_add_lshl_u32 v10, v9, v0, 3
	v_mov_b32_e32 v9, v8
	ds_store_b64 v10, v[8:9]
.LBB185_29:
	s_and_not1_saveexec_b32 s1, s0
	s_cbranch_execz .LBB185_31
; %bb.30:
	s_lshl_b32 s22, s8, 4
	s_delay_alu instid0(SALU_CYCLE_1) | instskip(NEXT) | instid1(SALU_CYCLE_1)
	s_ashr_i32 s23, s22, 31
	s_lshl_b64 s[22:23], s[22:23], 3
	s_delay_alu instid0(SALU_CYCLE_1) | instskip(NEXT) | instid1(VALU_DEP_1)
	v_add_co_u32 v8, s0, v3, s22
	v_add_co_ci_u32_e64 v9, s0, s23, v4, s0
	flat_load_b64 v[8:9], v[8:9]
	s_waitcnt vmcnt(0) lgkmcnt(0)
	ds_store_b64 v7, v[8:9] offset:4224
.LBB185_31:
	s_or_b32 exec_lo, exec_lo, s1
	v_add_nc_u32_e32 v8, 24, v5
	s_delay_alu instid0(VALU_DEP_1) | instskip(NEXT) | instid1(VALU_DEP_1)
	v_cmp_le_i32_e64 s0, s10, v8
	s_and_saveexec_b32 s1, s0
	s_delay_alu instid0(SALU_CYCLE_1)
	s_xor_b32 s0, exec_lo, s1
	s_cbranch_execz .LBB185_33
; %bb.32:
	v_mov_b32_e32 v8, 0
	s_delay_alu instid0(VALU_DEP_1)
	v_mov_b32_e32 v9, v8
	ds_store_b64 v7, v[8:9] offset:6336
                                        ; implicit-def: $vgpr7
.LBB185_33:
	s_and_not1_saveexec_b32 s1, s0
	s_cbranch_execz .LBB185_35
; %bb.34:
	s_mul_i32 s22, s8, 24
	s_delay_alu instid0(SALU_CYCLE_1) | instskip(NEXT) | instid1(SALU_CYCLE_1)
	s_ashr_i32 s23, s22, 31
	s_lshl_b64 s[22:23], s[22:23], 3
	s_delay_alu instid0(SALU_CYCLE_1) | instskip(NEXT) | instid1(VALU_DEP_1)
	v_add_co_u32 v8, s0, v3, s22
	v_add_co_ci_u32_e64 v9, s0, s23, v4, s0
	flat_load_b64 v[8:9], v[8:9]
	s_waitcnt vmcnt(0) lgkmcnt(0)
	ds_store_b64 v7, v[8:9] offset:6336
.LBB185_35:
	s_or_b32 exec_lo, exec_lo, s1
	v_add_co_u32 v3, s0, v3, v6
	s_delay_alu instid0(VALU_DEP_1) | instskip(NEXT) | instid1(VALU_DEP_2)
	v_add_co_ci_u32_e64 v4, s0, 0, v4, s0
	v_sub_co_u32 v3, s0, v3, s4
	s_delay_alu instid0(VALU_DEP_1) | instskip(NEXT) | instid1(VALU_DEP_2)
	v_subrev_co_ci_u32_e64 v4, s0, s5, v4, s0
	v_add_co_u32 v3, s0, v3, 8
	s_delay_alu instid0(VALU_DEP_1) | instskip(NEXT) | instid1(VALU_DEP_1)
	v_add_co_ci_u32_e64 v4, s0, 0, v4, s0
	v_dual_cndmask_b32 v1, v3, v1 :: v_dual_cndmask_b32 v2, v4, v2
.LBB185_36:
	v_lshlrev_b32_e32 v3, 2, v5
	v_mul_u32_u24_e32 v27, 33, v0
	v_mul_u32_u24_e32 v7, 0x84, v5
	s_waitcnt lgkmcnt(0)
	s_barrier
	v_cmp_lt_u32_e64 s1, v3, v0
	v_add_lshl_u32 v4, v3, v27, 3
	buffer_gl0_inv
	s_and_saveexec_b32 s0, s1
	s_cbranch_execz .LBB185_38
; %bb.37:
	v_add_lshl_u32 v6, v7, v0, 3
	ds_load_b64 v[8:9], v6
	s_waitcnt lgkmcnt(0)
	ds_store_b64 v4, v[8:9]
.LBB185_38:
	s_or_b32 exec_lo, exec_lo, s0
	v_or_b32_e32 v6, 1, v3
	s_delay_alu instid0(VALU_DEP_1) | instskip(NEXT) | instid1(VALU_DEP_1)
	v_cmp_lt_u32_e64 s4, v6, v0
	s_and_saveexec_b32 s0, s4
	s_cbranch_execz .LBB185_40
; %bb.39:
	v_mul_u32_u24_e32 v6, 33, v6
	s_delay_alu instid0(VALU_DEP_1)
	v_add_lshl_u32 v6, v6, v0, 3
	ds_load_b64 v[8:9], v6
	s_waitcnt lgkmcnt(0)
	ds_store_b64 v4, v[8:9] offset:8
.LBB185_40:
	s_or_b32 exec_lo, exec_lo, s0
	v_or_b32_e32 v6, 2, v3
	s_delay_alu instid0(VALU_DEP_1) | instskip(NEXT) | instid1(VALU_DEP_1)
	v_cmp_lt_u32_e64 s5, v6, v0
	s_and_saveexec_b32 s0, s5
	s_cbranch_execz .LBB185_42
; %bb.41:
	v_mul_u32_u24_e32 v6, 33, v6
	s_delay_alu instid0(VALU_DEP_1)
	v_add_lshl_u32 v6, v6, v0, 3
	ds_load_b64 v[8:9], v6
	s_waitcnt lgkmcnt(0)
	ds_store_b64 v4, v[8:9] offset:16
.LBB185_42:
	s_or_b32 exec_lo, exec_lo, s0
	v_or_b32_e32 v6, 3, v3
	s_delay_alu instid0(VALU_DEP_1) | instskip(SKIP_1) | instid1(VALU_DEP_2)
	v_mad_u32_u24 v8, v6, 33, v0
	v_cmp_lt_u32_e64 s6, v6, v0
	v_lshlrev_b32_e32 v6, 3, v8
	s_delay_alu instid0(VALU_DEP_2)
	s_and_saveexec_b32 s0, s6
	s_cbranch_execz .LBB185_44
; %bb.43:
	ds_load_b64 v[8:9], v6
	s_waitcnt lgkmcnt(0)
	ds_store_b64 v4, v[8:9] offset:24
.LBB185_44:
	s_or_b32 exec_lo, exec_lo, s0
	v_add_lshl_u32 v7, v7, v0, 3
	v_lshlrev_b32_e32 v3, 3, v3
	v_add_nc_u32_e32 v8, 0xfffffdf0, v6
	s_waitcnt lgkmcnt(0)
	s_barrier
	buffer_gl0_inv
	ds_load_b64 v[13:14], v7
	ds_load_b128 v[9:12], v3 offset:9088
	ds_load_2addr_b64 v[28:31], v8 offset1:33
	ds_load_b128 v[32:35], v3 offset:9104
	ds_load_b64 v[17:18], v6
	v_cmp_gt_u32_e64 s0, 32, v26
	s_waitcnt lgkmcnt(0)
	s_barrier
	buffer_gl0_inv
	v_dual_mul_f32 v15, v10, v14 :: v_dual_mul_f32 v24, v11, v29
	v_dual_mul_f32 v14, v9, v14 :: v_dual_mul_f32 v23, v12, v29
	v_mul_f32_e32 v29, v33, v31
	s_delay_alu instid0(VALU_DEP_3) | instskip(NEXT) | instid1(VALU_DEP_3)
	v_fma_f32 v9, v9, v13, -v15
	v_dual_mul_f32 v31, v32, v31 :: v_dual_fmac_f32 v14, v10, v13
	v_mul_f32_e32 v10, v35, v18
	v_fma_f32 v11, v11, v28, -v23
	s_delay_alu instid0(VALU_DEP_4) | instskip(NEXT) | instid1(VALU_DEP_4)
	v_dual_fmac_f32 v24, v12, v28 :: v_dual_add_f32 v9, 0, v9
	v_add_f32_e32 v12, 0, v14
	v_dual_mul_f32 v13, v34, v18 :: v_dual_mov_b32 v18, 0
	v_fma_f32 v14, v32, v30, -v29
	s_delay_alu instid0(VALU_DEP_4) | instskip(NEXT) | instid1(VALU_DEP_4)
	v_add_f32_e32 v9, v9, v11
	v_add_f32_e32 v11, v12, v24
	s_delay_alu instid0(VALU_DEP_4)
	v_fmac_f32_e32 v13, v35, v17
	v_fmac_f32_e32 v31, v33, v30
	v_fma_f32 v10, v34, v17, -v10
	v_add_f32_e32 v9, v9, v14
	v_add_lshl_u32 v28, v5, v27, 3
	v_mov_b32_e32 v17, 0
	v_add_f32_e32 v11, v11, v31
	s_delay_alu instid0(VALU_DEP_1)
	v_dual_add_f32 v9, v9, v10 :: v_dual_add_f32 v10, v11, v13
	ds_store_b64 v28, v[9:10]
	s_waitcnt lgkmcnt(0)
	s_barrier
	buffer_gl0_inv
	s_and_saveexec_b32 s9, s0
	s_cbranch_execz .LBB185_46
; %bb.45:
	v_lshlrev_b32_e32 v13, 3, v27
	ds_load_2addr_b64 v[9:12], v13 offset1:7
	ds_load_2addr_b64 v[29:32], v13 offset0:1 offset1:2
	ds_load_2addr_b64 v[33:36], v13 offset0:3 offset1:4
	;; [unrolled: 1-line block ×3, first 2 shown]
	s_waitcnt lgkmcnt(2)
	v_dual_add_f32 v10, v30, v10 :: v_dual_add_f32 v9, v29, v9
	s_delay_alu instid0(VALU_DEP_1) | instskip(SKIP_1) | instid1(VALU_DEP_1)
	v_dual_add_f32 v10, v10, v32 :: v_dual_add_f32 v9, v9, v31
	s_waitcnt lgkmcnt(1)
	v_dual_add_f32 v10, v10, v34 :: v_dual_add_f32 v9, v9, v33
	s_delay_alu instid0(VALU_DEP_1) | instskip(SKIP_1) | instid1(VALU_DEP_1)
	v_dual_add_f32 v10, v10, v36 :: v_dual_add_f32 v9, v9, v35
	s_waitcnt lgkmcnt(0)
	v_dual_add_f32 v10, v10, v38 :: v_dual_add_f32 v9, v9, v37
	s_delay_alu instid0(VALU_DEP_1) | instskip(NEXT) | instid1(VALU_DEP_1)
	v_dual_add_f32 v10, v10, v40 :: v_dual_add_f32 v9, v9, v39
	v_dual_add_f32 v18, v10, v12 :: v_dual_add_f32 v17, v9, v11
.LBB185_46:
	s_or_b32 exec_lo, exec_lo, s9
	s_lshl_b32 s22, s8, 5
	v_cndmask_b32_e64 v9, 0, 1, s7
	s_ashr_i32 s23, s22, 31
	s_delay_alu instid0(SALU_CYCLE_1)
	s_lshl_b64 s[22:23], s[22:23], 3
	s_barrier
	v_add_co_u32 v1, vcc_lo, v1, s22
	v_add_co_ci_u32_e32 v2, vcc_lo, s23, v2, vcc_lo
	buffer_gl0_inv
	v_add_co_u32 v10, vcc_lo, 0x100, v1
	v_add_co_ci_u32_e32 v11, vcc_lo, 0, v2, vcc_lo
	s_and_not1_b32 vcc_lo, exec_lo, s7
	s_cbranch_vccnz .LBB185_48
; %bb.47:
	flat_load_b64 v[12:13], v[1:2] offset:256
	s_lshl_b32 s24, s8, 3
	v_mul_u32_u24_e32 v14, 33, v5
	s_ashr_i32 s25, s24, 31
	s_ashr_i32 s9, s8, 31
	s_lshl_b64 s[24:25], s[24:25], 3
	s_delay_alu instid0(SALU_CYCLE_1)
	v_add_co_u32 v1, vcc_lo, v1, s24
	v_add_lshl_u32 v14, v14, v0, 3
	v_add_co_ci_u32_e32 v2, vcc_lo, s25, v2, vcc_lo
	s_lshl_b64 s[24:25], s[8:9], 6
	s_waitcnt vmcnt(0) lgkmcnt(0)
	ds_store_b64 v14, v[12:13]
	flat_load_b64 v[12:13], v[1:2] offset:256
	v_add_co_u32 v1, vcc_lo, v1, s24
	v_add_co_ci_u32_e32 v2, vcc_lo, s25, v2, vcc_lo
	s_waitcnt vmcnt(0) lgkmcnt(0)
	ds_store_b64 v14, v[12:13] offset:2112
	flat_load_b64 v[12:13], v[1:2] offset:256
	v_add_co_u32 v1, vcc_lo, v1, s24
	v_add_co_ci_u32_e32 v2, vcc_lo, s25, v2, vcc_lo
	s_waitcnt vmcnt(0) lgkmcnt(0)
	ds_store_b64 v14, v[12:13] offset:4224
	flat_load_b64 v[1:2], v[1:2] offset:256
	s_waitcnt vmcnt(0) lgkmcnt(0)
	ds_store_b64 v14, v[1:2] offset:6336
	s_cbranch_execz .LBB185_49
	s_branch .LBB185_66
.LBB185_48:
.LBB185_49:
	v_or_b32_e32 v1, 32, v0
	s_ashr_i32 s11, s10, 31
	v_mul_u32_u24_e32 v13, 33, v5
	s_lshl_b64 s[24:25], s[10:11], 3
	s_sub_i32 s9, s10, 32
	v_lshlrev_b32_e32 v2, 3, v1
	v_cmp_le_i32_e64 s7, s9, v5
	s_delay_alu instid0(VALU_DEP_2) | instskip(SKIP_1) | instid1(VALU_DEP_2)
	v_sub_co_u32 v2, vcc_lo, v10, v2
	v_subrev_co_ci_u32_e32 v12, vcc_lo, 0, v11, vcc_lo
	v_add_co_u32 v2, vcc_lo, v2, s24
	s_delay_alu instid0(VALU_DEP_2) | instskip(NEXT) | instid1(VALU_DEP_2)
	v_add_co_ci_u32_e32 v12, vcc_lo, s25, v12, vcc_lo
	v_add_co_u32 v14, vcc_lo, v2, -8
	s_delay_alu instid0(VALU_DEP_2) | instskip(SKIP_2) | instid1(VALU_DEP_4)
	v_add_co_ci_u32_e32 v2, vcc_lo, -1, v12, vcc_lo
	v_cmp_gt_i32_e32 vcc_lo, s10, v1
	v_add_lshl_u32 v12, v13, v0, 3
	v_cndmask_b32_e32 v1, v14, v10, vcc_lo
	s_delay_alu instid0(VALU_DEP_4) | instskip(SKIP_1) | instid1(SALU_CYCLE_1)
	v_cndmask_b32_e32 v2, v2, v11, vcc_lo
	s_and_saveexec_b32 s11, s7
	s_xor_b32 s7, exec_lo, s11
	s_cbranch_execz .LBB185_51
; %bb.50:
	v_mov_b32_e32 v13, 0
	s_delay_alu instid0(VALU_DEP_1)
	v_mov_b32_e32 v14, v13
	ds_store_b64 v12, v[13:14]
.LBB185_51:
	s_and_not1_saveexec_b32 s7, s7
	s_cbranch_execz .LBB185_53
; %bb.52:
	flat_load_b64 v[13:14], v[1:2]
	s_waitcnt vmcnt(0) lgkmcnt(0)
	ds_store_b64 v12, v[13:14]
.LBB185_53:
	s_or_b32 exec_lo, exec_lo, s7
	v_add_nc_u32_e32 v13, 8, v5
	s_delay_alu instid0(VALU_DEP_1) | instskip(NEXT) | instid1(VALU_DEP_1)
	v_cmp_le_i32_e64 s7, s9, v13
	s_and_saveexec_b32 s11, s7
	s_delay_alu instid0(SALU_CYCLE_1)
	s_xor_b32 s7, exec_lo, s11
	s_cbranch_execz .LBB185_55
; %bb.54:
	v_mul_u32_u24_e32 v14, 33, v13
	v_mov_b32_e32 v13, 0
	s_delay_alu instid0(VALU_DEP_2) | instskip(NEXT) | instid1(VALU_DEP_2)
	v_add_lshl_u32 v15, v14, v0, 3
	v_mov_b32_e32 v14, v13
	ds_store_b64 v15, v[13:14]
.LBB185_55:
	s_and_not1_saveexec_b32 s11, s7
	s_cbranch_execz .LBB185_57
; %bb.56:
	s_lshl_b32 s28, s8, 3
	s_delay_alu instid0(SALU_CYCLE_1) | instskip(NEXT) | instid1(SALU_CYCLE_1)
	s_ashr_i32 s29, s28, 31
	s_lshl_b64 s[28:29], s[28:29], 3
	s_delay_alu instid0(SALU_CYCLE_1) | instskip(NEXT) | instid1(VALU_DEP_1)
	v_add_co_u32 v13, s7, v1, s28
	v_add_co_ci_u32_e64 v14, s7, s29, v2, s7
	flat_load_b64 v[13:14], v[13:14]
	s_waitcnt vmcnt(0) lgkmcnt(0)
	ds_store_b64 v12, v[13:14] offset:2112
.LBB185_57:
	s_or_b32 exec_lo, exec_lo, s11
	v_add_nc_u32_e32 v13, 16, v5
	s_delay_alu instid0(VALU_DEP_1) | instskip(NEXT) | instid1(VALU_DEP_1)
	v_cmp_le_i32_e64 s7, s9, v13
	s_and_saveexec_b32 s11, s7
	s_delay_alu instid0(SALU_CYCLE_1)
	s_xor_b32 s7, exec_lo, s11
	s_cbranch_execz .LBB185_59
; %bb.58:
	v_mul_u32_u24_e32 v14, 33, v13
	v_mov_b32_e32 v13, 0
	s_delay_alu instid0(VALU_DEP_2) | instskip(NEXT) | instid1(VALU_DEP_2)
	v_add_lshl_u32 v15, v14, v0, 3
	v_mov_b32_e32 v14, v13
	ds_store_b64 v15, v[13:14]
.LBB185_59:
	s_and_not1_saveexec_b32 s11, s7
	s_cbranch_execz .LBB185_61
; %bb.60:
	s_lshl_b32 s28, s8, 4
	s_delay_alu instid0(SALU_CYCLE_1) | instskip(NEXT) | instid1(SALU_CYCLE_1)
	s_ashr_i32 s29, s28, 31
	s_lshl_b64 s[28:29], s[28:29], 3
	s_delay_alu instid0(SALU_CYCLE_1) | instskip(NEXT) | instid1(VALU_DEP_1)
	v_add_co_u32 v13, s7, v1, s28
	v_add_co_ci_u32_e64 v14, s7, s29, v2, s7
	flat_load_b64 v[13:14], v[13:14]
	s_waitcnt vmcnt(0) lgkmcnt(0)
	ds_store_b64 v12, v[13:14] offset:4224
.LBB185_61:
	s_or_b32 exec_lo, exec_lo, s11
	v_add_nc_u32_e32 v13, 24, v5
	s_delay_alu instid0(VALU_DEP_1) | instskip(NEXT) | instid1(VALU_DEP_1)
	v_cmp_le_i32_e64 s7, s9, v13
	s_and_saveexec_b32 s9, s7
	s_delay_alu instid0(SALU_CYCLE_1)
	s_xor_b32 s7, exec_lo, s9
	s_cbranch_execz .LBB185_63
; %bb.62:
	v_mov_b32_e32 v13, 0
	s_delay_alu instid0(VALU_DEP_1)
	v_mov_b32_e32 v14, v13
	ds_store_b64 v12, v[13:14] offset:6336
                                        ; implicit-def: $vgpr12
.LBB185_63:
	s_and_not1_saveexec_b32 s9, s7
	s_cbranch_execz .LBB185_65
; %bb.64:
	s_mul_i32 s28, s8, 24
	s_delay_alu instid0(SALU_CYCLE_1) | instskip(NEXT) | instid1(SALU_CYCLE_1)
	s_ashr_i32 s29, s28, 31
	s_lshl_b64 s[28:29], s[28:29], 3
	s_delay_alu instid0(SALU_CYCLE_1) | instskip(NEXT) | instid1(VALU_DEP_1)
	v_add_co_u32 v13, s7, v1, s28
	v_add_co_ci_u32_e64 v14, s7, s29, v2, s7
	flat_load_b64 v[13:14], v[13:14]
	s_waitcnt vmcnt(0) lgkmcnt(0)
	ds_store_b64 v12, v[13:14] offset:6336
.LBB185_65:
	s_or_b32 exec_lo, exec_lo, s9
	v_lshlrev_b32_e32 v12, 3, v0
	s_delay_alu instid0(VALU_DEP_1) | instskip(NEXT) | instid1(VALU_DEP_1)
	v_add_co_u32 v1, s7, v1, v12
	v_add_co_ci_u32_e64 v2, s7, 0, v2, s7
	s_delay_alu instid0(VALU_DEP_2) | instskip(NEXT) | instid1(VALU_DEP_1)
	v_sub_co_u32 v1, s7, v1, s24
	v_subrev_co_ci_u32_e64 v2, s7, s25, v2, s7
	s_delay_alu instid0(VALU_DEP_2) | instskip(NEXT) | instid1(VALU_DEP_1)
	v_add_co_u32 v1, s7, 0x108, v1
	v_add_co_ci_u32_e64 v2, s7, 0, v2, s7
	s_delay_alu instid0(VALU_DEP_1)
	v_dual_cndmask_b32 v10, v1, v10 :: v_dual_cndmask_b32 v11, v2, v11
.LBB185_66:
	v_add_nc_u32_e32 v3, 0x2380, v3
	s_waitcnt lgkmcnt(0)
	s_barrier
	buffer_gl0_inv
	s_and_saveexec_b32 s7, s1
	s_cbranch_execnz .LBB185_75
; %bb.67:
	s_or_b32 exec_lo, exec_lo, s7
	s_and_saveexec_b32 s1, s4
	s_cbranch_execnz .LBB185_76
.LBB185_68:
	s_or_b32 exec_lo, exec_lo, s1
	s_and_saveexec_b32 s1, s5
	s_cbranch_execnz .LBB185_77
.LBB185_69:
	s_or_b32 exec_lo, exec_lo, s1
	s_and_saveexec_b32 s1, s6
	s_cbranch_execz .LBB185_71
.LBB185_70:
	ds_load_b64 v[1:2], v6
	s_waitcnt lgkmcnt(0)
	ds_store_b64 v4, v[1:2] offset:24
.LBB185_71:
	s_or_b32 exec_lo, exec_lo, s1
	s_waitcnt lgkmcnt(0)
	s_barrier
	buffer_gl0_inv
	ds_load_b64 v[1:2], v7
	ds_load_b128 v[12:15], v3 offset:256
	ds_load_2addr_b64 v[29:32], v8 offset1:33
	ds_load_b128 v[33:36], v3 offset:272
	ds_load_b64 v[6:7], v6
	v_cmp_eq_u32_e64 s1, 1, v5
	s_waitcnt lgkmcnt(0)
	s_barrier
	buffer_gl0_inv
	v_mul_f32_e32 v8, v13, v2
	v_mul_f32_e32 v2, v12, v2
	v_mul_f32_e32 v23, v15, v30
	v_mul_f32_e32 v24, v14, v30
	v_mul_f32_e32 v30, v34, v32
	v_fma_f32 v8, v12, v1, -v8
	v_dual_fmac_f32 v2, v13, v1 :: v_dual_mul_f32 v1, v36, v7
	v_fma_f32 v12, v14, v29, -v23
	v_fmac_f32_e32 v24, v15, v29
	v_dual_mul_f32 v7, v35, v7 :: v_dual_mul_f32 v32, v33, v32
	s_delay_alu instid0(VALU_DEP_4)
	v_add_f32_e32 v2, 0, v2
	v_fma_f32 v1, v35, v6, -v1
	v_add_f32_e32 v8, 0, v8
	v_fma_f32 v13, v33, v31, -v30
	v_dual_fmac_f32 v7, v36, v6 :: v_dual_fmac_f32 v32, v34, v31
	v_add_f32_e32 v2, v2, v24
	s_delay_alu instid0(VALU_DEP_4) | instskip(NEXT) | instid1(VALU_DEP_2)
	v_add_f32_e32 v8, v8, v12
	v_add_f32_e32 v2, v2, v32
	s_delay_alu instid0(VALU_DEP_2) | instskip(NEXT) | instid1(VALU_DEP_2)
	v_add_f32_e32 v6, v8, v13
	v_add_f32_e32 v2, v2, v7
	s_delay_alu instid0(VALU_DEP_2)
	v_add_f32_e32 v1, v6, v1
	ds_store_b64 v28, v[1:2]
	s_waitcnt lgkmcnt(0)
	s_barrier
	buffer_gl0_inv
	s_and_saveexec_b32 s4, s1
	s_cbranch_execz .LBB185_73
; %bb.72:
	v_lshlrev_b32_e32 v1, 3, v27
	ds_load_2addr_b64 v[12:15], v1 offset1:7
	ds_load_2addr_b64 v[29:32], v1 offset0:1 offset1:2
	ds_load_2addr_b64 v[33:36], v1 offset0:3 offset1:4
	;; [unrolled: 1-line block ×3, first 2 shown]
	s_waitcnt lgkmcnt(2)
	v_add_f32_e32 v2, v30, v13
	s_delay_alu instid0(VALU_DEP_1) | instskip(SKIP_1) | instid1(VALU_DEP_1)
	v_add_f32_e32 v2, v2, v32
	s_waitcnt lgkmcnt(1)
	v_dual_add_f32 v1, v29, v12 :: v_dual_add_f32 v2, v2, v34
	s_delay_alu instid0(VALU_DEP_1) | instskip(SKIP_1) | instid1(VALU_DEP_1)
	v_dual_add_f32 v1, v1, v31 :: v_dual_add_f32 v2, v2, v36
	s_waitcnt lgkmcnt(0)
	v_dual_add_f32 v1, v1, v33 :: v_dual_add_f32 v2, v2, v38
	s_delay_alu instid0(VALU_DEP_1) | instskip(NEXT) | instid1(VALU_DEP_1)
	v_dual_add_f32 v1, v1, v35 :: v_dual_add_f32 v2, v2, v40
	v_dual_add_f32 v1, v1, v37 :: v_dual_add_f32 v18, v2, v15
	s_delay_alu instid0(VALU_DEP_1) | instskip(NEXT) | instid1(VALU_DEP_1)
	v_add_f32_e32 v1, v1, v39
	v_add_f32_e32 v17, v1, v14
.LBB185_73:
	s_or_b32 exec_lo, exec_lo, s4
	v_cmp_ne_u32_e32 vcc_lo, 1, v9
	v_sub_co_u32 v23, s4, v10, s22
	s_delay_alu instid0(VALU_DEP_1)
	v_subrev_co_ci_u32_e64 v24, s4, s23, v11, s4
	s_barrier
	buffer_gl0_inv
	s_cbranch_vccnz .LBB185_78
; %bb.74:
	flat_load_b64 v[1:2], v[23:24]
	s_lshl_b32 s4, s8, 3
	v_mad_u32_u24 v6, v5, 33, v0
	s_ashr_i32 s5, s4, 31
	s_ashr_i32 s9, s8, 31
	s_lshl_b64 s[4:5], s[4:5], 3
	v_add_nc_u32_e32 v9, 24, v5
	v_add_co_u32 v7, vcc_lo, v23, s4
	v_lshlrev_b32_e32 v10, 3, v6
	v_add_co_ci_u32_e32 v8, vcc_lo, s5, v24, vcc_lo
	s_lshl_b64 s[4:5], s[8:9], 6
	v_add_nc_u32_e32 v11, 0x318, v6
	s_waitcnt vmcnt(0) lgkmcnt(0)
	ds_store_b64 v10, v[1:2]
	flat_load_b64 v[1:2], v[7:8]
	v_add_co_u32 v7, vcc_lo, v7, s4
	v_add_co_ci_u32_e32 v8, vcc_lo, s5, v8, vcc_lo
	s_waitcnt vmcnt(0) lgkmcnt(0)
	ds_store_b64 v10, v[1:2] offset:2112
	flat_load_b64 v[1:2], v[7:8]
	v_add_co_u32 v7, vcc_lo, v7, s4
	v_add_co_ci_u32_e32 v8, vcc_lo, s5, v8, vcc_lo
	s_waitcnt vmcnt(0) lgkmcnt(0)
	ds_store_b64 v10, v[1:2] offset:4224
	flat_load_b64 v[12:13], v[7:8]
	v_add_nc_u32_e32 v7, 8, v5
	v_add_nc_u32_e32 v1, 0x108, v6
	;; [unrolled: 1-line block ×4, first 2 shown]
	s_waitcnt vmcnt(0) lgkmcnt(0)
	ds_store_b64 v10, v[12:13] offset:6336
	s_cbranch_execz .LBB185_79
	s_branch .LBB185_96
.LBB185_75:
	ds_load_b64 v[1:2], v7
	s_waitcnt lgkmcnt(0)
	ds_store_b64 v4, v[1:2]
	s_or_b32 exec_lo, exec_lo, s7
	s_and_saveexec_b32 s1, s4
	s_cbranch_execz .LBB185_68
.LBB185_76:
	ds_load_b64 v[1:2], v8
	s_waitcnt lgkmcnt(0)
	ds_store_b64 v4, v[1:2] offset:8
	s_or_b32 exec_lo, exec_lo, s1
	s_and_saveexec_b32 s1, s5
	s_cbranch_execz .LBB185_69
.LBB185_77:
	ds_load_b64 v[1:2], v8 offset:264
	s_waitcnt lgkmcnt(0)
	ds_store_b64 v4, v[1:2] offset:16
	s_or_b32 exec_lo, exec_lo, s1
	s_and_saveexec_b32 s1, s6
	s_cbranch_execnz .LBB185_70
	s_branch .LBB185_71
.LBB185_78:
                                        ; implicit-def: $vgpr6
                                        ; implicit-def: $vgpr7
                                        ; implicit-def: $vgpr1
                                        ; implicit-def: $vgpr8
                                        ; implicit-def: $vgpr2
                                        ; implicit-def: $vgpr9
                                        ; implicit-def: $vgpr11
.LBB185_79:
	v_or_b32_e32 v1, 32, v0
	s_ashr_i32 s11, s10, 31
	v_cmp_le_i32_e64 s4, s10, v5
	s_lshl_b64 s[6:7], s[10:11], 3
	s_delay_alu instid0(VALU_DEP_2) | instskip(NEXT) | instid1(VALU_DEP_1)
	v_lshlrev_b32_e32 v2, 3, v1
	v_sub_co_u32 v2, vcc_lo, v23, v2
	v_subrev_co_ci_u32_e32 v6, vcc_lo, 0, v24, vcc_lo
	s_delay_alu instid0(VALU_DEP_2) | instskip(NEXT) | instid1(VALU_DEP_2)
	v_add_co_u32 v2, vcc_lo, v2, s6
	v_add_co_ci_u32_e32 v6, vcc_lo, s7, v6, vcc_lo
	s_delay_alu instid0(VALU_DEP_2) | instskip(NEXT) | instid1(VALU_DEP_2)
	v_add_co_u32 v7, vcc_lo, v2, -8
	v_add_co_ci_u32_e32 v2, vcc_lo, -1, v6, vcc_lo
	v_cmp_gt_i32_e32 vcc_lo, s10, v1
	v_mad_u32_u24 v6, v5, 33, v0
	s_delay_alu instid0(VALU_DEP_3) | instskip(NEXT) | instid1(VALU_DEP_2)
	v_dual_cndmask_b32 v1, v7, v23 :: v_dual_cndmask_b32 v2, v2, v24
	v_lshlrev_b32_e32 v10, 3, v6
	s_and_saveexec_b32 s5, s4
	s_delay_alu instid0(SALU_CYCLE_1)
	s_xor_b32 s4, exec_lo, s5
	s_cbranch_execz .LBB185_81
; %bb.80:
	v_mov_b32_e32 v7, 0
	s_delay_alu instid0(VALU_DEP_1)
	v_mov_b32_e32 v8, v7
	ds_store_b64 v10, v[7:8]
.LBB185_81:
	s_and_not1_saveexec_b32 s4, s4
	s_cbranch_execz .LBB185_83
; %bb.82:
	flat_load_b64 v[7:8], v[1:2]
	s_waitcnt vmcnt(0) lgkmcnt(0)
	ds_store_b64 v10, v[7:8]
.LBB185_83:
	s_or_b32 exec_lo, exec_lo, s4
	v_add_nc_u32_e32 v7, 8, v5
	s_delay_alu instid0(VALU_DEP_1) | instskip(NEXT) | instid1(VALU_DEP_1)
	v_cmp_le_i32_e64 s4, s10, v7
	s_and_saveexec_b32 s5, s4
	s_delay_alu instid0(SALU_CYCLE_1)
	s_xor_b32 s4, exec_lo, s5
	s_cbranch_execz .LBB185_85
; %bb.84:
	v_mul_u32_u24_e32 v9, 33, v7
	v_mov_b32_e32 v8, 0
	s_delay_alu instid0(VALU_DEP_2) | instskip(NEXT) | instid1(VALU_DEP_2)
	v_add_lshl_u32 v11, v9, v0, 3
	v_mov_b32_e32 v9, v8
	ds_store_b64 v11, v[8:9]
.LBB185_85:
	s_and_not1_saveexec_b32 s5, s4
	s_cbranch_execz .LBB185_87
; %bb.86:
	s_lshl_b32 s22, s8, 3
	s_delay_alu instid0(SALU_CYCLE_1) | instskip(NEXT) | instid1(SALU_CYCLE_1)
	s_ashr_i32 s23, s22, 31
	s_lshl_b64 s[22:23], s[22:23], 3
	s_delay_alu instid0(SALU_CYCLE_1) | instskip(NEXT) | instid1(VALU_DEP_1)
	v_add_co_u32 v8, s4, v1, s22
	v_add_co_ci_u32_e64 v9, s4, s23, v2, s4
	flat_load_b64 v[8:9], v[8:9]
	s_waitcnt vmcnt(0) lgkmcnt(0)
	ds_store_b64 v10, v[8:9] offset:2112
.LBB185_87:
	s_or_b32 exec_lo, exec_lo, s5
	v_add_nc_u32_e32 v8, 16, v5
	s_delay_alu instid0(VALU_DEP_1) | instskip(NEXT) | instid1(VALU_DEP_1)
	v_cmp_le_i32_e64 s4, s10, v8
	s_and_saveexec_b32 s5, s4
	s_delay_alu instid0(SALU_CYCLE_1)
	s_xor_b32 s4, exec_lo, s5
	s_cbranch_execz .LBB185_89
; %bb.88:
	v_mul_u32_u24_e32 v9, 33, v8
	v_mov_b32_e32 v11, 0
	s_delay_alu instid0(VALU_DEP_2) | instskip(NEXT) | instid1(VALU_DEP_2)
	v_add_lshl_u32 v9, v9, v0, 3
	v_mov_b32_e32 v12, v11
	ds_store_b64 v9, v[11:12]
.LBB185_89:
	s_and_not1_saveexec_b32 s5, s4
	s_cbranch_execz .LBB185_91
; %bb.90:
	s_lshl_b32 s22, s8, 4
	s_delay_alu instid0(SALU_CYCLE_1) | instskip(NEXT) | instid1(SALU_CYCLE_1)
	s_ashr_i32 s23, s22, 31
	s_lshl_b64 s[22:23], s[22:23], 3
	s_delay_alu instid0(SALU_CYCLE_1) | instskip(NEXT) | instid1(VALU_DEP_1)
	v_add_co_u32 v11, s4, v1, s22
	v_add_co_ci_u32_e64 v12, s4, s23, v2, s4
	flat_load_b64 v[11:12], v[11:12]
	s_waitcnt vmcnt(0) lgkmcnt(0)
	ds_store_b64 v10, v[11:12] offset:4224
.LBB185_91:
	s_or_b32 exec_lo, exec_lo, s5
	v_add_nc_u32_e32 v9, 24, v5
                                        ; implicit-def: $vgpr11
	s_delay_alu instid0(VALU_DEP_1) | instskip(NEXT) | instid1(VALU_DEP_1)
	v_cmp_le_i32_e64 s4, s10, v9
	s_and_saveexec_b32 s5, s4
	s_delay_alu instid0(SALU_CYCLE_1)
	s_xor_b32 s4, exec_lo, s5
	s_cbranch_execz .LBB185_93
; %bb.92:
	v_mad_u32_u24 v11, v9, 33, v0
	v_mov_b32_e32 v12, 0
	s_delay_alu instid0(VALU_DEP_1)
	v_dual_mov_b32 v13, v12 :: v_dual_lshlrev_b32 v10, 3, v11
	ds_store_b64 v10, v[12:13]
                                        ; implicit-def: $vgpr10
.LBB185_93:
	s_and_not1_saveexec_b32 s5, s4
	s_cbranch_execz .LBB185_95
; %bb.94:
	s_mul_i32 s22, s8, 24
	s_delay_alu instid0(SALU_CYCLE_1) | instskip(NEXT) | instid1(SALU_CYCLE_1)
	s_ashr_i32 s23, s22, 31
	s_lshl_b64 s[22:23], s[22:23], 3
	s_delay_alu instid0(SALU_CYCLE_1) | instskip(NEXT) | instid1(VALU_DEP_1)
	v_add_co_u32 v11, s4, v1, s22
	v_add_co_ci_u32_e64 v12, s4, s23, v2, s4
	flat_load_b64 v[12:13], v[11:12]
	v_add_nc_u32_e32 v11, 0x318, v6
	s_waitcnt vmcnt(0) lgkmcnt(0)
	ds_store_b64 v10, v[12:13] offset:6336
.LBB185_95:
	s_or_b32 exec_lo, exec_lo, s5
	v_lshlrev_b32_e32 v0, 3, v0
	s_delay_alu instid0(VALU_DEP_1) | instskip(NEXT) | instid1(VALU_DEP_1)
	v_add_co_u32 v0, s4, v1, v0
	v_add_co_ci_u32_e64 v1, s4, 0, v2, s4
	s_delay_alu instid0(VALU_DEP_2) | instskip(NEXT) | instid1(VALU_DEP_1)
	v_sub_co_u32 v0, s4, v0, s6
	v_subrev_co_ci_u32_e64 v1, s4, s7, v1, s4
	s_delay_alu instid0(VALU_DEP_2) | instskip(NEXT) | instid1(VALU_DEP_1)
	v_add_co_u32 v0, s4, 0x108, v0
	v_add_co_ci_u32_e64 v2, s4, 0, v1, s4
	v_add_nc_u32_e32 v1, 0x108, v6
	s_delay_alu instid0(VALU_DEP_2)
	v_dual_cndmask_b32 v23, v0, v23 :: v_dual_cndmask_b32 v24, v2, v24
	v_add_nc_u32_e32 v2, 0x210, v6
.LBB185_96:
	v_lshlrev_b32_e32 v0, 3, v6
	v_lshlrev_b32_e32 v5, 3, v5
	;; [unrolled: 1-line block ×8, first 2 shown]
	s_waitcnt lgkmcnt(0)
	s_barrier
	buffer_gl0_inv
	ds_load_b64 v[29:30], v0
	ds_load_b64 v[31:32], v5 offset:9088
	ds_load_b64 v[33:34], v1
	ds_load_b64 v[35:36], v6 offset:9088
	;; [unrolled: 2-line block ×4, first 2 shown]
	ds_load_b128 v[8:11], v3 offset:256
	ds_load_b128 v[0:3], v3 offset:272
	ds_load_2addr_b64 v[12:15], v4 offset1:1
	ds_load_2addr_b64 v[4:7], v4 offset0:2 offset1:3
	s_waitcnt lgkmcnt(0)
	s_barrier
	buffer_gl0_inv
	v_mul_f32_e32 v45, v32, v30
	v_mul_f32_e32 v30, v31, v30
	;; [unrolled: 1-line block ×5, first 2 shown]
	v_fma_f32 v31, v31, v29, -v45
	v_dual_fmac_f32 v30, v32, v29 :: v_dual_mul_f32 v29, v39, v38
	v_fma_f32 v32, v35, v33, -v46
	v_dual_fmac_f32 v34, v36, v33 :: v_dual_mul_f32 v33, v43, v42
	s_delay_alu instid0(VALU_DEP_3) | instskip(SKIP_3) | instid1(VALU_DEP_4)
	v_dual_add_f32 v31, 0, v31 :: v_dual_add_f32 v30, 0, v30
	v_mul_f32_e32 v48, v44, v42
	v_fma_f32 v35, v39, v37, -v47
	v_fmac_f32_e32 v29, v40, v37
	v_dual_add_f32 v31, v31, v32 :: v_dual_add_f32 v30, v30, v34
	v_fmac_f32_e32 v33, v44, v41
	v_fma_f32 v32, v43, v41, -v48
	s_delay_alu instid0(VALU_DEP_3) | instskip(NEXT) | instid1(VALU_DEP_1)
	v_dual_add_f32 v31, v31, v35 :: v_dual_add_f32 v30, v30, v29
	v_dual_add_f32 v29, v31, v32 :: v_dual_add_f32 v30, v30, v33
	ds_store_b64 v28, v[29:30]
	s_waitcnt lgkmcnt(0)
	s_barrier
	buffer_gl0_inv
	s_and_saveexec_b32 s4, s1
	s_cbranch_execz .LBB185_98
; %bb.97:
	v_lshlrev_b32_e32 v41, 3, v27
	ds_load_2addr_b64 v[29:32], v41 offset1:1
	ds_load_2addr_b64 v[33:36], v41 offset0:2 offset1:3
	s_waitcnt lgkmcnt(1)
	v_dual_add_f32 v18, v18, v30 :: v_dual_add_f32 v17, v17, v29
	ds_load_2addr_b64 v[37:40], v41 offset0:4 offset1:5
	v_dual_add_f32 v18, v18, v32 :: v_dual_add_f32 v17, v17, v31
	ds_load_2addr_b64 v[29:32], v41 offset0:6 offset1:7
	s_waitcnt lgkmcnt(2)
	v_dual_add_f32 v18, v18, v34 :: v_dual_add_f32 v17, v17, v33
	s_delay_alu instid0(VALU_DEP_1) | instskip(SKIP_1) | instid1(VALU_DEP_1)
	v_dual_add_f32 v18, v18, v36 :: v_dual_add_f32 v17, v17, v35
	s_waitcnt lgkmcnt(1)
	v_dual_add_f32 v18, v18, v38 :: v_dual_add_f32 v17, v17, v37
	s_delay_alu instid0(VALU_DEP_1) | instskip(SKIP_1) | instid1(VALU_DEP_1)
	v_dual_add_f32 v18, v18, v40 :: v_dual_add_f32 v17, v17, v39
	s_waitcnt lgkmcnt(0)
	v_dual_add_f32 v18, v18, v30 :: v_dual_add_f32 v17, v17, v29
	s_delay_alu instid0(VALU_DEP_1)
	v_dual_add_f32 v18, v18, v32 :: v_dual_add_f32 v17, v17, v31
.LBB185_98:
	s_or_b32 exec_lo, exec_lo, s4
	v_dual_mul_f32 v29, v9, v13 :: v_dual_mul_f32 v30, v11, v15
	v_mul_f32_e32 v13, v8, v13
	s_barrier
	s_delay_alu instid0(VALU_DEP_2) | instskip(SKIP_3) | instid1(VALU_DEP_1)
	v_fma_f32 v8, v8, v12, -v29
	buffer_gl0_inv
	v_dual_add_f32 v8, 0, v8 :: v_dual_mul_f32 v15, v10, v15
	v_fma_f32 v10, v10, v14, -v30
	v_dual_add_f32 v8, v8, v10 :: v_dual_mul_f32 v31, v1, v5
	v_mul_f32_e32 v5, v0, v5
	s_delay_alu instid0(VALU_DEP_4) | instskip(NEXT) | instid1(VALU_DEP_3)
	v_fmac_f32_e32 v15, v11, v14
	v_fma_f32 v0, v0, v4, -v31
	s_delay_alu instid0(VALU_DEP_3) | instskip(NEXT) | instid1(VALU_DEP_2)
	v_fmac_f32_e32 v5, v1, v4
	v_add_f32_e32 v0, v8, v0
	v_fmac_f32_e32 v13, v9, v12
	v_mul_f32_e32 v9, v3, v7
	v_mul_f32_e32 v7, v2, v7
	s_delay_alu instid0(VALU_DEP_2) | instskip(NEXT) | instid1(VALU_DEP_2)
	v_fma_f32 v2, v2, v6, -v9
	v_fmac_f32_e32 v7, v3, v6
	s_delay_alu instid0(VALU_DEP_2) | instskip(NEXT) | instid1(VALU_DEP_1)
	v_dual_add_f32 v0, v0, v2 :: v_dual_add_f32 v11, 0, v13
	v_add_f32_e32 v1, v11, v15
	s_delay_alu instid0(VALU_DEP_1) | instskip(NEXT) | instid1(VALU_DEP_1)
	v_add_f32_e32 v1, v1, v5
	v_add_f32_e32 v1, v1, v7
	ds_store_b64 v28, v[0:1]
	s_waitcnt lgkmcnt(0)
	s_barrier
	buffer_gl0_inv
	s_and_saveexec_b32 s1, s0
	s_cbranch_execz .LBB185_100
; %bb.99:
	v_lshlrev_b32_e32 v12, 3, v27
	ds_load_2addr_b64 v[0:3], v12 offset1:1
	ds_load_2addr_b64 v[4:7], v12 offset0:2 offset1:3
	s_waitcnt lgkmcnt(1)
	v_add_f32_e32 v1, v18, v1
	ds_load_2addr_b64 v[8:11], v12 offset0:4 offset1:5
	v_add_f32_e32 v14, v1, v3
	s_waitcnt lgkmcnt(1)
	s_delay_alu instid0(VALU_DEP_1) | instskip(NEXT) | instid1(VALU_DEP_1)
	v_dual_add_f32 v0, v17, v0 :: v_dual_add_f32 v5, v14, v5
	v_add_f32_e32 v13, v0, v2
	ds_load_2addr_b64 v[0:3], v12 offset0:6 offset1:7
	v_add_f32_e32 v5, v5, v7
	s_waitcnt lgkmcnt(1)
	s_delay_alu instid0(VALU_DEP_1) | instskip(NEXT) | instid1(VALU_DEP_1)
	v_add_f32_e32 v5, v5, v9
	v_add_f32_e32 v5, v5, v11
	s_waitcnt lgkmcnt(0)
	s_delay_alu instid0(VALU_DEP_1) | instskip(NEXT) | instid1(VALU_DEP_1)
	v_add_f32_e32 v1, v5, v1
	v_add_f32_e32 v18, v1, v3
	;; [unrolled: 1-line block ×3, first 2 shown]
	s_delay_alu instid0(VALU_DEP_1) | instskip(NEXT) | instid1(VALU_DEP_1)
	v_add_f32_e32 v4, v4, v6
	v_add_f32_e32 v4, v4, v8
	s_delay_alu instid0(VALU_DEP_1) | instskip(NEXT) | instid1(VALU_DEP_1)
	v_add_f32_e32 v4, v4, v10
	v_add_f32_e32 v0, v4, v0
	s_delay_alu instid0(VALU_DEP_1)
	v_add_f32_e32 v17, v0, v2
.LBB185_100:
	s_or_b32 exec_lo, exec_lo, s1
	s_mul_hi_u32 s0, s15, s12
	s_mul_i32 s27, s27, s12
	s_mul_i32 s1, s15, s12
	s_add_i32 s0, s0, s27
	s_mul_hi_u32 s5, s1, s26
	s_mul_i32 s4, s0, s26
	s_mul_i32 s0, s1, s26
	s_add_i32 s1, s5, s4
	s_mul_i32 s4, s14, s15
	s_lshl_b64 s[0:1], s[0:1], 3
	v_cmp_le_i32_e32 vcc_lo, s10, v25
	s_add_u32 s6, s16, s0
	s_addc_u32 s7, s17, s1
	s_ashr_i32 s5, s4, 31
	v_lshlrev_b32_e32 v72, 3, v25
	s_lshl_b64 s[0:1], s[4:5], 3
	s_delay_alu instid0(SALU_CYCLE_1)
	s_add_u32 s15, s6, s0
	s_addc_u32 s22, s7, s1
	s_and_b32 vcc_lo, s19, vcc_lo
	s_cmp_lt_i32 s14, 1
	s_barrier
	buffer_gl0_inv
	s_cbranch_scc1 .LBB185_107
; %bb.101:
	v_mul_lo_u32 v0, v71, s8
	s_ashr_i32 s11, s10, 31
	v_dual_mov_b32 v1, 0 :: v_dual_and_b32 v4, 15, v25
	s_lshl_b64 s[6:7], s[10:11], 3
	v_lshrrev_b32_e32 v5, 4, v26
	v_and_b32_e32 v7, 48, v25
	s_mul_i32 s4, s18, s13
	s_delay_alu instid0(VALU_DEP_4) | instskip(SKIP_1) | instid1(VALU_DEP_1)
	v_lshl_add_u32 v2, v0, 2, v25
	v_sub_co_u32 v0, s0, v23, s20
	v_subrev_co_ci_u32_e64 v6, s0, s21, v24, s0
	s_delay_alu instid0(VALU_DEP_3) | instskip(NEXT) | instid1(VALU_DEP_3)
	v_ashrrev_i32_e32 v3, 31, v2
	v_sub_co_u32 v0, s0, v0, v21
	s_delay_alu instid0(VALU_DEP_1) | instskip(NEXT) | instid1(VALU_DEP_3)
	v_sub_co_ci_u32_e64 v6, s0, v6, v22, s0
	v_lshlrev_b64 v[2:3], 3, v[2:3]
	s_ashr_i32 s5, s4, 31
	v_lshlrev_b32_e32 v8, 3, v7
	s_lshl_b64 s[4:5], s[4:5], 3
	v_lshl_add_u32 v80, v71, 5, 0x2180
	v_mad_u32_u24 v81, 0x860, v71, v72
	v_add_co_u32 v0, s0, v0, v2
	s_delay_alu instid0(VALU_DEP_1) | instskip(SKIP_1) | instid1(VALU_DEP_3)
	v_add_co_ci_u32_e64 v2, s0, v6, v3, s0
	v_mad_u32_u24 v77, 0x218, v4, v8
	v_add_co_u32 v0, s0, 0xffffff00, v0
	s_delay_alu instid0(VALU_DEP_1) | instskip(SKIP_1) | instid1(VALU_DEP_2)
	v_add_co_ci_u32_e64 v2, s0, -1, v2, s0
	s_ashr_i32 s9, s8, 31
	v_sub_co_u32 v3, s0, v0, v72
	s_delay_alu instid0(VALU_DEP_1) | instskip(SKIP_1) | instid1(VALU_DEP_2)
	v_subrev_co_ci_u32_e64 v6, s0, 0, v2, s0
	s_lshl_b32 s18, s13, 6
	v_add_co_u32 v3, s0, v3, s6
	s_delay_alu instid0(VALU_DEP_1) | instskip(SKIP_1) | instid1(VALU_DEP_2)
	v_add_co_ci_u32_e64 v6, s0, s7, v6, s0
	s_lshl_b64 s[6:7], s[8:9], 4
	v_add_co_u32 v9, s0, v3, -8
	s_delay_alu instid0(VALU_DEP_1) | instskip(SKIP_3) | instid1(VALU_DEP_4)
	v_add_co_ci_u32_e64 v3, s0, -1, v6, s0
	v_add_nc_u32_e32 v73, 0x2180, v72
	v_lshlrev_b32_e32 v6, 5, v5
	v_sub_co_u32 v74, s0, v19, s4
	v_dual_cndmask_b32 v3, v2, v3 :: v_dual_add_nc_u32 v76, 0x2380, v72
	v_cndmask_b32_e32 v2, v0, v9, vcc_lo
	v_or_b32_e32 v0, 0x78, v72
	v_subrev_co_ci_u32_e64 v75, s0, s5, v20, s0
	v_cmp_gt_u32_e64 s0, 64, v26
	v_mad_u32_u24 v79, 0x218, v4, v6
	s_delay_alu instid0(VALU_DEP_4)
	v_mad_u32_u24 v78, 0x218, v4, v0
	v_lshlrev_b32_e32 v0, 3, v5
	s_lshl_b64 s[4:5], s[8:9], 3
	s_lshl_b64 s[10:11], s[8:9], 9
	s_mul_hi_i32 s19, s8, 24
	s_mul_i32 s20, s8, 24
	v_mad_u32_u24 v82, 0x218, v4, v0
	v_or_b32_e32 v0, v7, v4
	s_lshl_b64 s[12:13], s[8:9], 7
	s_mul_hi_i32 s21, s8, 0x90
	s_mul_i32 s23, s8, 0x90
	s_mul_hi_i32 s24, s8, 0x98
	s_mul_i32 s25, s8, 0x98
	s_lshl_b64 s[16:17], s[8:9], 8
	s_mul_hi_i32 s26, s8, 0x110
	s_mul_i32 s27, s8, 0x110
	s_mul_hi_i32 s28, s8, 0x118
	s_mul_i32 s29, s8, 0x118
	;; [unrolled: 2-line block ×8, first 2 shown]
	s_mov_b32 s8, 0
	s_branch .LBB185_103
.LBB185_102:                            ;   in Loop: Header=BB185_103 Depth=1
	s_or_b32 exec_lo, exec_lo, s9
	v_dual_mul_f32 v83, v13, v5 :: v_dual_mul_f32 v84, v30, v11
	v_dual_mul_f32 v13, v13, v4 :: v_dual_mul_f32 v30, v30, v10
	v_mul_f32_e32 v85, v28, v9
	s_delay_alu instid0(VALU_DEP_3) | instskip(SKIP_3) | instid1(VALU_DEP_4)
	v_fma_f32 v4, v12, v4, -v83
	v_dual_mul_f32 v28, v28, v8 :: v_dual_mul_f32 v83, v26, v7
	v_mul_f32_e32 v26, v26, v6
	v_fma_f32 v10, v29, v10, -v84
	v_dual_add_f32 v4, v17, v4 :: v_dual_fmac_f32 v13, v12, v5
	v_mul_f32_e32 v17, v42, v24
	v_fma_f32 v5, v27, v8, -v85
	v_fmac_f32_e32 v30, v29, v11
	s_delay_alu instid0(VALU_DEP_4)
	v_add_f32_e32 v4, v4, v10
	v_fmac_f32_e32 v26, v25, v7
	v_add_f32_e32 v10, v18, v13
	v_fma_f32 v6, v25, v6, -v83
	v_mul_f32_e32 v8, v46, v22
	v_add_f32_e32 v4, v4, v5
	v_mul_f32_e32 v5, v46, v21
	v_dual_fmac_f32 v28, v27, v9 :: v_dual_add_f32 v9, v10, v30
	v_fma_f32 v10, v41, v23, -v17
	v_add_co_u32 v2, s1, v2, s10
	s_delay_alu instid0(VALU_DEP_4) | instskip(NEXT) | instid1(VALU_DEP_4)
	v_dual_fmac_f32 v5, v45, v22 :: v_dual_mul_f32 v42, v42, v23
	v_add_f32_e32 v7, v9, v28
	v_mul_f32_e32 v9, v40, v15
	v_fma_f32 v8, v45, v21, -v8
	v_add_co_ci_u32_e64 v3, s1, s11, v3, s1
	s_delay_alu instid0(VALU_DEP_4) | instskip(NEXT) | instid1(VALU_DEP_4)
	v_dual_fmac_f32 v42, v41, v24 :: v_dual_add_f32 v7, v7, v26
	v_fma_f32 v9, v39, v14, -v9
	v_add_nc_u32_e32 v0, 64, v0
	s_add_i32 s14, s14, -1
	s_add_i32 s8, s8, s18
	v_add_f32_e32 v7, v7, v42
	v_add_f32_e32 v4, v4, v6
	s_cmp_eq_u32 s14, 0
	s_waitcnt_vscnt null, 0x0
	s_barrier
	s_delay_alu instid0(VALU_DEP_1)
	v_dual_add_f32 v5, v7, v5 :: v_dual_add_f32 v4, v4, v10
	v_mul_f32_e32 v7, v40, v14
	v_mul_f32_e32 v6, v44, v20
	buffer_gl0_inv
	v_mul_f32_e32 v10, v66, v47
	v_dual_fmac_f32 v7, v39, v15 :: v_dual_add_f32 v4, v4, v8
	v_mul_f32_e32 v8, v44, v19
	v_fma_f32 v6, v43, v19, -v6
	s_delay_alu instid0(VALU_DEP_4) | instskip(NEXT) | instid1(VALU_DEP_3)
	v_fmac_f32_e32 v10, v65, v48
	v_fmac_f32_e32 v8, v43, v20
	s_delay_alu instid0(VALU_DEP_1) | instskip(NEXT) | instid1(VALU_DEP_1)
	v_dual_add_f32 v5, v5, v8 :: v_dual_mul_f32 v8, v56, v37
	v_dual_add_f32 v5, v5, v7 :: v_dual_add_f32 v4, v4, v6
	s_delay_alu instid0(VALU_DEP_2) | instskip(SKIP_1) | instid1(VALU_DEP_2)
	v_dual_mul_f32 v7, v62, v35 :: v_dual_fmac_f32 v8, v55, v38
	v_mul_f32_e32 v6, v56, v38
	v_dual_add_f32 v4, v4, v9 :: v_dual_fmac_f32 v7, v61, v36
	v_mul_f32_e32 v9, v62, v36
	s_delay_alu instid0(VALU_DEP_4) | instskip(NEXT) | instid1(VALU_DEP_4)
	v_add_f32_e32 v5, v5, v8
	v_fma_f32 v6, v55, v37, -v6
	s_delay_alu instid0(VALU_DEP_2) | instskip(NEXT) | instid1(VALU_DEP_2)
	v_dual_mul_f32 v8, v60, v33 :: v_dual_add_f32 v5, v5, v7
	v_add_f32_e32 v4, v4, v6
	v_fma_f32 v6, v61, v35, -v9
	v_mul_f32_e32 v9, v60, v34
	s_delay_alu instid0(VALU_DEP_4) | instskip(SKIP_1) | instid1(VALU_DEP_4)
	v_fmac_f32_e32 v8, v59, v34
	v_mul_f32_e32 v7, v64, v54
	v_add_f32_e32 v4, v4, v6
	s_delay_alu instid0(VALU_DEP_4) | instskip(NEXT) | instid1(VALU_DEP_4)
	v_fma_f32 v6, v59, v33, -v9
	v_add_f32_e32 v5, v5, v8
	s_delay_alu instid0(VALU_DEP_2) | instskip(NEXT) | instid1(VALU_DEP_1)
	v_dual_mul_f32 v9, v58, v32 :: v_dual_add_f32 v4, v4, v6
	v_fma_f32 v6, v57, v31, -v9
	v_mul_f32_e32 v9, v58, v31
	s_delay_alu instid0(VALU_DEP_1) | instskip(SKIP_2) | instid1(VALU_DEP_3)
	v_dual_fmac_f32 v9, v57, v32 :: v_dual_add_f32 v4, v4, v6
	v_fma_f32 v6, v63, v53, -v7
	v_mul_f32_e32 v7, v70, v52
	v_add_f32_e32 v5, v5, v9
	v_mul_f32_e32 v9, v68, v50
	s_delay_alu instid0(VALU_DEP_4) | instskip(NEXT) | instid1(VALU_DEP_4)
	v_add_f32_e32 v4, v4, v6
	v_fma_f32 v6, v69, v51, -v7
	v_dual_mul_f32 v7, v70, v51 :: v_dual_mul_f32 v8, v64, v53
	s_delay_alu instid0(VALU_DEP_1) | instskip(NEXT) | instid1(VALU_DEP_1)
	v_dual_fmac_f32 v7, v69, v52 :: v_dual_fmac_f32 v8, v63, v54
	v_dual_add_f32 v5, v5, v8 :: v_dual_add_f32 v4, v4, v6
	v_mul_f32_e32 v6, v68, v49
	v_fma_f32 v8, v67, v49, -v9
	v_mul_f32_e32 v9, v66, v48
	s_delay_alu instid0(VALU_DEP_2) | instskip(NEXT) | instid1(VALU_DEP_2)
	v_dual_add_f32 v5, v5, v7 :: v_dual_add_f32 v4, v4, v8
	v_fma_f32 v7, v65, v47, -v9
	s_delay_alu instid0(VALU_DEP_1) | instskip(NEXT) | instid1(VALU_DEP_1)
	v_dual_fmac_f32 v6, v67, v50 :: v_dual_add_f32 v17, v4, v7
	v_add_f32_e32 v5, v5, v6
	s_delay_alu instid0(VALU_DEP_1)
	v_add_f32_e32 v18, v5, v10
	s_cbranch_scc1 .LBB185_107
.LBB185_103:                            ; =>This Inner Loop Header: Depth=1
	s_and_saveexec_b32 s43, s3
	s_cbranch_execz .LBB185_105
; %bb.104:                              ;   in Loop: Header=BB185_103 Depth=1
	s_ashr_i32 s9, s8, 31
	s_delay_alu instid0(SALU_CYCLE_1) | instskip(NEXT) | instid1(SALU_CYCLE_1)
	s_lshl_b64 s[44:45], s[8:9], 3
	v_add_co_u32 v4, s1, v74, s44
	s_delay_alu instid0(VALU_DEP_1)
	v_add_co_ci_u32_e64 v5, s1, s45, v75, s1
	flat_load_b64 v[4:5], v[4:5]
	s_waitcnt vmcnt(0) lgkmcnt(0)
	ds_store_b64 v73, v[4:5]
.LBB185_105:                            ;   in Loop: Header=BB185_103 Depth=1
	s_or_b32 exec_lo, exec_lo, s43
	v_add_co_u32 v6, s1, v2, s4
	s_delay_alu instid0(VALU_DEP_1) | instskip(SKIP_1) | instid1(VALU_DEP_1)
	v_add_co_ci_u32_e64 v7, s1, s5, v3, s1
	v_add_co_u32 v8, s1, v2, s6
	v_add_co_ci_u32_e64 v9, s1, s7, v3, s1
	v_add_co_u32 v12, s1, v2, s20
	s_delay_alu instid0(VALU_DEP_1)
	v_add_co_ci_u32_e64 v13, s1, s19, v3, s1
	s_waitcnt lgkmcnt(0)
	s_barrier
	buffer_gl0_inv
	s_clause 0x3
	flat_load_b64 v[4:5], v[2:3]
	flat_load_b64 v[10:11], v[6:7]
	;; [unrolled: 1-line block ×4, first 2 shown]
	ds_load_b64 v[14:15], v76
	ds_load_b64 v[12:13], v80
	v_add_co_u32 v19, s1, v2, s12
	s_delay_alu instid0(VALU_DEP_1) | instskip(SKIP_1) | instid1(VALU_DEP_1)
	v_add_co_ci_u32_e64 v20, s1, s13, v3, s1
	v_add_co_u32 v21, s1, v2, s42
	v_add_co_ci_u32_e64 v22, s1, s41, v3, s1
	v_add_co_u32 v31, s1, v2, s23
	s_delay_alu instid0(VALU_DEP_1)
	v_add_co_ci_u32_e64 v32, s1, s21, v3, s1
	s_waitcnt vmcnt(2) lgkmcnt(1)
	v_mul_f32_e32 v26, v15, v11
	s_waitcnt vmcnt(1)
	v_mul_f32_e32 v34, v15, v8
	s_waitcnt vmcnt(0)
	v_dual_mul_f32 v23, v15, v5 :: v_dual_mul_f32 v36, v14, v7
	v_mul_f32_e32 v25, v15, v10
	v_mul_f32_e32 v27, v15, v9
	v_fmac_f32_e32 v34, v14, v9
	v_mul_f32_e32 v24, v15, v4
	v_fma_f32 v23, v14, v4, -v23
	v_fmac_f32_e32 v25, v14, v11
	v_mul_f32_e32 v28, v15, v7
	v_fma_f32 v33, v14, v8, -v27
	v_fmac_f32_e32 v24, v14, v5
	v_fmac_f32_e32 v36, v15, v6
	s_delay_alu instid0(VALU_DEP_4) | instskip(SKIP_4) | instid1(VALU_DEP_1)
	v_fma_f32 v35, v14, v6, -v28
	ds_store_b64 v81, v[23:24]
	v_fma_f32 v24, v14, v10, -v26
	ds_load_b64 v[29:30], v80 offset:8
	v_add_co_u32 v14, s1, v2, s25
	v_add_co_ci_u32_e64 v15, s1, s24, v3, s1
	ds_store_b64 v81, v[24:25] offset:536
	ds_load_b64 v[27:28], v80 offset:16
	ds_store_b64 v81, v[33:34] offset:1072
	ds_load_b64 v[25:26], v80 offset:24
	ds_store_b64 v81, v[35:36] offset:1608
	s_waitcnt lgkmcnt(0)
	s_barrier
	buffer_gl0_inv
	ds_load_2addr_b64 v[83:86], v79 offset1:1
	ds_load_2addr_b64 v[87:90], v79 offset0:2 offset1:3
	s_waitcnt lgkmcnt(0)
	s_barrier
	buffer_gl0_inv
	s_clause 0x3
	flat_load_b64 v[23:24], v[19:20]
	flat_load_b64 v[21:22], v[21:22]
	;; [unrolled: 1-line block ×4, first 2 shown]
	ds_load_b64 v[31:32], v76
	ds_load_b64 v[41:42], v80 offset:128
	v_add_co_u32 v33, s1, v2, s16
	s_delay_alu instid0(VALU_DEP_1) | instskip(SKIP_1) | instid1(VALU_DEP_1)
	v_add_co_ci_u32_e64 v34, s1, s17, v3, s1
	v_add_co_u32 v35, s1, v2, s40
	v_add_co_ci_u32_e64 v36, s1, s39, v3, s1
	v_add_co_u32 v47, s1, v2, s27
	s_delay_alu instid0(VALU_DEP_1)
	v_add_co_ci_u32_e64 v48, s1, s26, v3, s1
	v_add_f32_e32 v111, 0, v83
	s_waitcnt vmcnt(2) lgkmcnt(1)
	v_mul_f32_e32 v39, v32, v22
	v_mul_f32_e32 v37, v32, v24
	;; [unrolled: 1-line block ×4, first 2 shown]
	s_waitcnt vmcnt(1)
	v_mul_f32_e32 v43, v32, v20
	v_mul_f32_e32 v50, v32, v19
	s_waitcnt vmcnt(0)
	v_mul_f32_e32 v44, v32, v15
	v_mul_f32_e32 v52, v31, v15
	v_fma_f32 v37, v31, v23, -v37
	v_fmac_f32_e32 v38, v31, v24
	v_fma_f32 v39, v31, v21, -v39
	v_fmac_f32_e32 v40, v31, v22
	;; [unrolled: 2-line block ×4, first 2 shown]
	ds_store_b64 v81, v[37:38]
	ds_load_b64 v[45:46], v80 offset:136
	ds_store_b64 v81, v[39:40] offset:536
	v_add_co_u32 v31, s1, v2, s29
	ds_load_b64 v[43:44], v80 offset:144
	ds_store_b64 v81, v[49:50] offset:1072
	ds_load_b64 v[39:40], v80 offset:152
	ds_store_b64 v81, v[51:52] offset:1608
	s_waitcnt lgkmcnt(0)
	s_barrier
	buffer_gl0_inv
	ds_load_2addr_b64 v[91:94], v79 offset1:1
	ds_load_2addr_b64 v[95:98], v79 offset0:2 offset1:3
	s_waitcnt lgkmcnt(0)
	s_barrier
	buffer_gl0_inv
	flat_load_b64 v[37:38], v[33:34]
	v_add_co_ci_u32_e64 v32, s1, s28, v3, s1
	s_clause 0x2
	flat_load_b64 v[35:36], v[35:36]
	flat_load_b64 v[33:34], v[47:48]
	;; [unrolled: 1-line block ×3, first 2 shown]
	ds_load_b64 v[47:48], v76
	ds_load_b64 v[55:56], v80 offset:256
	v_add_co_u32 v49, s1, v2, s31
	s_delay_alu instid0(VALU_DEP_1) | instskip(SKIP_1) | instid1(VALU_DEP_1)
	v_add_co_ci_u32_e64 v50, s1, s30, v3, s1
	v_add_co_u32 v51, s1, v2, s38
	v_add_co_ci_u32_e64 v52, s1, s37, v3, s1
	v_add_f32_e32 v91, 0, v91
	v_add_co_u32 v63, s1, v2, s34
	s_delay_alu instid0(VALU_DEP_1) | instskip(NEXT) | instid1(VALU_DEP_3)
	v_add_co_ci_u32_e64 v64, s1, s33, v3, s1
	v_dual_add_f32 v92, 0, v92 :: v_dual_add_f32 v91, v91, v93
	s_waitcnt vmcnt(3) lgkmcnt(1)
	v_mul_f32_e32 v53, v48, v38
	v_mul_f32_e32 v54, v48, v37
	s_waitcnt vmcnt(2)
	v_mul_f32_e32 v57, v48, v36
	v_mul_f32_e32 v58, v48, v35
	s_waitcnt vmcnt(1)
	;; [unrolled: 3-line block ×3, first 2 shown]
	v_mul_f32_e32 v60, v48, v32
	v_mul_f32_e32 v68, v47, v32
	v_fma_f32 v53, v47, v37, -v53
	v_fmac_f32_e32 v54, v47, v38
	v_fma_f32 v57, v47, v35, -v57
	v_fmac_f32_e32 v58, v47, v36
	;; [unrolled: 2-line block ×4, first 2 shown]
	ds_store_b64 v81, v[53:54]
	ds_load_b64 v[61:62], v80 offset:264
	ds_store_b64 v81, v[57:58] offset:536
	v_add_co_u32 v47, s1, v2, s36
	ds_load_b64 v[59:60], v80 offset:272
	ds_store_b64 v81, v[65:66] offset:1072
	ds_load_b64 v[57:58], v80 offset:280
	ds_store_b64 v81, v[67:68] offset:1608
	s_waitcnt lgkmcnt(0)
	s_barrier
	buffer_gl0_inv
	ds_load_2addr_b64 v[99:102], v79 offset1:1
	ds_load_2addr_b64 v[103:106], v79 offset0:2 offset1:3
	s_waitcnt lgkmcnt(0)
	s_barrier
	buffer_gl0_inv
	flat_load_b64 v[53:54], v[49:50]
	v_add_co_ci_u32_e64 v48, s1, s35, v3, s1
	s_clause 0x2
	flat_load_b64 v[51:52], v[51:52]
	flat_load_b64 v[49:50], v[63:64]
	;; [unrolled: 1-line block ×3, first 2 shown]
	ds_load_b64 v[65:66], v76
	ds_load_b64 v[63:64], v80 offset:384
	s_waitcnt vmcnt(3) lgkmcnt(1)
	v_dual_add_f32 v112, 0, v84 :: v_dual_mul_f32 v67, v66, v54
	v_mul_f32_e32 v68, v66, v53
	s_waitcnt vmcnt(2)
	v_mul_f32_e32 v69, v66, v52
	v_mul_f32_e32 v84, v66, v51
	s_waitcnt vmcnt(1)
	v_mul_f32_e32 v70, v66, v50
	v_mul_f32_e32 v108, v66, v49
	s_waitcnt vmcnt(0)
	v_mul_f32_e32 v109, v66, v48
	v_mul_f32_e32 v110, v65, v48
	v_fma_f32 v67, v65, v53, -v67
	v_fmac_f32_e32 v68, v65, v54
	v_fma_f32 v83, v65, v51, -v69
	v_fmac_f32_e32 v84, v65, v52
	;; [unrolled: 2-line block ×4, first 2 shown]
	ds_store_b64 v81, v[67:68]
	ds_load_b64 v[69:70], v80 offset:392
	ds_store_b64 v81, v[83:84] offset:536
	ds_load_b64 v[67:68], v80 offset:400
	ds_store_b64 v81, v[107:108] offset:1072
	;; [unrolled: 2-line block ×3, first 2 shown]
	s_waitcnt lgkmcnt(0)
	s_barrier
	buffer_gl0_inv
	ds_load_2addr_b64 v[107:110], v79 offset1:1
	v_dual_add_f32 v83, v111, v85 :: v_dual_add_f32 v84, v112, v86
	s_delay_alu instid0(VALU_DEP_1)
	v_dual_add_f32 v87, v83, v87 :: v_dual_add_f32 v88, v84, v88
	ds_load_2addr_b64 v[83:86], v79 offset0:2 offset1:3
	s_waitcnt lgkmcnt(0)
	s_barrier
	v_dual_add_f32 v87, v87, v89 :: v_dual_add_f32 v88, v88, v90
	v_dual_add_f32 v89, v92, v94 :: v_dual_add_f32 v90, v91, v95
	v_dual_add_f32 v91, 0, v99 :: v_dual_add_f32 v92, 0, v100
	buffer_gl0_inv
	v_add_f32_e32 v95, v89, v96
	v_add_f32_e32 v89, v90, v97
	v_dual_add_f32 v93, 0, v107 :: v_dual_add_f32 v94, 0, v108
	v_dual_add_f32 v91, v91, v101 :: v_dual_add_f32 v92, v92, v102
	s_delay_alu instid0(VALU_DEP_2) | instskip(NEXT) | instid1(VALU_DEP_2)
	v_dual_add_f32 v90, v95, v98 :: v_dual_add_f32 v93, v93, v109
	v_dual_add_f32 v94, v94, v110 :: v_dual_add_f32 v91, v91, v103
	s_delay_alu instid0(VALU_DEP_2) | instskip(NEXT) | instid1(VALU_DEP_2)
	;; [unrolled: 3-line block ×3, first 2 shown]
	v_dual_add_f32 v84, v92, v106 :: v_dual_add_f32 v85, v93, v85
	v_add_f32_e32 v86, v94, v86
	ds_store_2addr_b64 v82, v[87:88], v[89:90] offset1:16
	ds_store_2addr_b64 v82, v[83:84], v[85:86] offset0:32 offset1:48
	s_waitcnt lgkmcnt(0)
	s_barrier
	buffer_gl0_inv
	s_and_saveexec_b32 s9, s0
	s_cbranch_execz .LBB185_102
; %bb.106:                              ;   in Loop: Header=BB185_103 Depth=1
	ds_load_b64 v[94:95], v77
	ds_load_2addr_b64 v[83:86], v77 offset0:1 offset1:2
	ds_load_2addr_b64 v[87:90], v77 offset0:3 offset1:4
	s_waitcnt lgkmcnt(1)
	v_dual_add_f32 v83, v83, v94 :: v_dual_add_f32 v84, v84, v95
	ds_load_2addr_b64 v[91:94], v77 offset0:5 offset1:6
	v_add_f32_e32 v83, v83, v85
	v_add_f32_e32 v95, v84, v86
	s_waitcnt lgkmcnt(1)
	s_delay_alu instid0(VALU_DEP_2) | instskip(SKIP_3) | instid1(VALU_DEP_2)
	v_add_f32_e32 v87, v83, v87
	ds_load_2addr_b64 v[83:86], v77 offset0:7 offset1:8
	v_add_f32_e32 v88, v95, v88
	v_add_f32_e32 v87, v87, v89
	;; [unrolled: 1-line block ×3, first 2 shown]
	s_waitcnt lgkmcnt(1)
	s_delay_alu instid0(VALU_DEP_2) | instskip(SKIP_3) | instid1(VALU_DEP_2)
	v_add_f32_e32 v91, v87, v91
	ds_load_2addr_b64 v[87:90], v77 offset0:9 offset1:10
	v_add_f32_e32 v92, v95, v92
	v_add_f32_e32 v91, v91, v93
	;; [unrolled: 1-line block ×3, first 2 shown]
	s_waitcnt lgkmcnt(1)
	s_delay_alu instid0(VALU_DEP_2) | instskip(SKIP_4) | instid1(VALU_DEP_1)
	v_add_f32_e32 v83, v91, v83
	ds_load_2addr_b64 v[91:94], v77 offset0:11 offset1:12
	v_add_f32_e32 v84, v95, v84
	v_add_f32_e32 v95, v83, v85
	s_waitcnt lgkmcnt(1)
	v_add_f32_e32 v87, v95, v87
	s_delay_alu instid0(VALU_DEP_1) | instskip(SKIP_1) | instid1(VALU_DEP_1)
	v_add_f32_e32 v89, v87, v89
	s_waitcnt lgkmcnt(0)
	v_add_f32_e32 v89, v89, v91
	s_delay_alu instid0(VALU_DEP_1) | instskip(SKIP_2) | instid1(VALU_DEP_1)
	v_dual_add_f32 v89, v89, v93 :: v_dual_add_f32 v96, v84, v86
	ds_load_2addr_b64 v[83:86], v77 offset0:13 offset1:14
	v_add_f32_e32 v88, v96, v88
	v_add_f32_e32 v90, v88, v90
	ds_load_b64 v[87:88], v78
	v_add_f32_e32 v90, v90, v92
	s_waitcnt lgkmcnt(1)
	s_delay_alu instid0(VALU_DEP_1) | instskip(NEXT) | instid1(VALU_DEP_1)
	v_dual_add_f32 v90, v90, v94 :: v_dual_add_f32 v83, v89, v83
	v_dual_add_f32 v84, v90, v84 :: v_dual_add_f32 v85, v83, v85
	s_delay_alu instid0(VALU_DEP_1) | instskip(SKIP_2) | instid1(VALU_DEP_2)
	v_add_f32_e32 v86, v84, v86
	v_lshlrev_b64 v[83:84], 3, v[0:1]
	s_waitcnt lgkmcnt(0)
	v_dual_add_f32 v85, v85, v87 :: v_dual_add_f32 v86, v86, v88
	s_delay_alu instid0(VALU_DEP_2) | instskip(NEXT) | instid1(VALU_DEP_1)
	v_add_co_u32 v83, s1, s15, v83
	v_add_co_ci_u32_e64 v84, s1, s22, v84, s1
	global_store_b64 v[83:84], v[85:86], off
	s_branch .LBB185_102
.LBB185_107:
	v_mad_u32_u24 v0, 0x218, v71, v72
	s_or_b32 s0, s2, vcc_lo
	s_delay_alu instid0(SALU_CYCLE_1)
	s_xor_b32 s0, s0, -1
	ds_store_b64 v0, v[17:18]
	s_waitcnt lgkmcnt(0)
	s_barrier
	buffer_gl0_inv
	s_and_saveexec_b32 s1, s0
	s_cbranch_execz .LBB185_109
; %bb.108:
	ds_load_2addr_b64 v[0:3], v72 offset1:67
	ds_load_2addr_b64 v[4:7], v72 offset0:134 offset1:201
	v_ashrrev_i32_e32 v17, 31, v16
	s_waitcnt lgkmcnt(1)
	v_dual_add_f32 v0, v2, v0 :: v_dual_add_f32 v1, v3, v1
	s_waitcnt lgkmcnt(0)
	s_delay_alu instid0(VALU_DEP_1) | instskip(SKIP_1) | instid1(VALU_DEP_2)
	v_dual_add_f32 v2, v0, v4 :: v_dual_add_f32 v3, v1, v5
	v_lshlrev_b64 v[0:1], 3, v[16:17]
	v_dual_add_f32 v2, v2, v6 :: v_dual_add_f32 v3, v3, v7
	s_delay_alu instid0(VALU_DEP_2) | instskip(NEXT) | instid1(VALU_DEP_3)
	v_add_co_u32 v0, vcc_lo, s15, v0
	v_add_co_ci_u32_e32 v1, vcc_lo, s22, v1, vcc_lo
	global_store_b64 v[0:1], v[2:3], off
.LBB185_109:
	s_nop 0
	s_sendmsg sendmsg(MSG_DEALLOC_VGPRS)
	s_endpgm
	.section	.rodata,"a",@progbits
	.p2align	6, 0x0
	.amdhsa_kernel _ZL26rocblas_hemvn_kernel_lowerILb0ELi64ELi4ELi33ELi32ELi16EiPK19rocblas_complex_numIfEPKS3_PS1_EviT6_lT7_lT5_lS8_lS9_lS7_lT8_i
		.amdhsa_group_segment_fixed_size 9600
		.amdhsa_private_segment_fixed_size 0
		.amdhsa_kernarg_size 376
		.amdhsa_user_sgpr_count 14
		.amdhsa_user_sgpr_dispatch_ptr 0
		.amdhsa_user_sgpr_queue_ptr 0
		.amdhsa_user_sgpr_kernarg_segment_ptr 1
		.amdhsa_user_sgpr_dispatch_id 0
		.amdhsa_user_sgpr_private_segment_size 0
		.amdhsa_wavefront_size32 1
		.amdhsa_uses_dynamic_stack 0
		.amdhsa_enable_private_segment 0
		.amdhsa_system_sgpr_workgroup_id_x 1
		.amdhsa_system_sgpr_workgroup_id_y 0
		.amdhsa_system_sgpr_workgroup_id_z 1
		.amdhsa_system_sgpr_workgroup_info 0
		.amdhsa_system_vgpr_workitem_id 1
		.amdhsa_next_free_vgpr 113
		.amdhsa_next_free_sgpr 46
		.amdhsa_reserve_vcc 1
		.amdhsa_float_round_mode_32 0
		.amdhsa_float_round_mode_16_64 0
		.amdhsa_float_denorm_mode_32 3
		.amdhsa_float_denorm_mode_16_64 3
		.amdhsa_dx10_clamp 1
		.amdhsa_ieee_mode 1
		.amdhsa_fp16_overflow 0
		.amdhsa_workgroup_processor_mode 1
		.amdhsa_memory_ordered 1
		.amdhsa_forward_progress 0
		.amdhsa_shared_vgpr_count 0
		.amdhsa_exception_fp_ieee_invalid_op 0
		.amdhsa_exception_fp_denorm_src 0
		.amdhsa_exception_fp_ieee_div_zero 0
		.amdhsa_exception_fp_ieee_overflow 0
		.amdhsa_exception_fp_ieee_underflow 0
		.amdhsa_exception_fp_ieee_inexact 0
		.amdhsa_exception_int_div_zero 0
	.end_amdhsa_kernel
	.section	.text._ZL26rocblas_hemvn_kernel_lowerILb0ELi64ELi4ELi33ELi32ELi16EiPK19rocblas_complex_numIfEPKS3_PS1_EviT6_lT7_lT5_lS8_lS9_lS7_lT8_i,"axG",@progbits,_ZL26rocblas_hemvn_kernel_lowerILb0ELi64ELi4ELi33ELi32ELi16EiPK19rocblas_complex_numIfEPKS3_PS1_EviT6_lT7_lT5_lS8_lS9_lS7_lT8_i,comdat
.Lfunc_end185:
	.size	_ZL26rocblas_hemvn_kernel_lowerILb0ELi64ELi4ELi33ELi32ELi16EiPK19rocblas_complex_numIfEPKS3_PS1_EviT6_lT7_lT5_lS8_lS9_lS7_lT8_i, .Lfunc_end185-_ZL26rocblas_hemvn_kernel_lowerILb0ELi64ELi4ELi33ELi32ELi16EiPK19rocblas_complex_numIfEPKS3_PS1_EviT6_lT7_lT5_lS8_lS9_lS7_lT8_i
                                        ; -- End function
	.section	.AMDGPU.csdata,"",@progbits
; Kernel info:
; codeLenInByte = 8596
; NumSgprs: 48
; NumVgprs: 113
; ScratchSize: 0
; MemoryBound: 1
; FloatMode: 240
; IeeeMode: 1
; LDSByteSize: 9600 bytes/workgroup (compile time only)
; SGPRBlocks: 5
; VGPRBlocks: 14
; NumSGPRsForWavesPerEU: 48
; NumVGPRsForWavesPerEU: 113
; Occupancy: 12
; WaveLimiterHint : 1
; COMPUTE_PGM_RSRC2:SCRATCH_EN: 0
; COMPUTE_PGM_RSRC2:USER_SGPR: 14
; COMPUTE_PGM_RSRC2:TRAP_HANDLER: 0
; COMPUTE_PGM_RSRC2:TGID_X_EN: 1
; COMPUTE_PGM_RSRC2:TGID_Y_EN: 0
; COMPUTE_PGM_RSRC2:TGID_Z_EN: 1
; COMPUTE_PGM_RSRC2:TIDIG_COMP_CNT: 1
	.section	.text._ZL26rocblas_hemvn_kernel_lowerILb0ELi64ELi4ELi33ELi32ELi16El19rocblas_complex_numIfEPKPKS1_PS1_EviT6_lT7_lT5_lS8_lS9_lS7_lT8_i,"axG",@progbits,_ZL26rocblas_hemvn_kernel_lowerILb0ELi64ELi4ELi33ELi32ELi16El19rocblas_complex_numIfEPKPKS1_PS1_EviT6_lT7_lT5_lS8_lS9_lS7_lT8_i,comdat
	.globl	_ZL26rocblas_hemvn_kernel_lowerILb0ELi64ELi4ELi33ELi32ELi16El19rocblas_complex_numIfEPKPKS1_PS1_EviT6_lT7_lT5_lS8_lS9_lS7_lT8_i ; -- Begin function _ZL26rocblas_hemvn_kernel_lowerILb0ELi64ELi4ELi33ELi32ELi16El19rocblas_complex_numIfEPKPKS1_PS1_EviT6_lT7_lT5_lS8_lS9_lS7_lT8_i
	.p2align	8
	.type	_ZL26rocblas_hemvn_kernel_lowerILb0ELi64ELi4ELi33ELi32ELi16El19rocblas_complex_numIfEPKPKS1_PS1_EviT6_lT7_lT5_lS8_lS9_lS7_lT8_i,@function
_ZL26rocblas_hemvn_kernel_lowerILb0ELi64ELi4ELi33ELi32ELi16El19rocblas_complex_numIfEPKPKS1_PS1_EviT6_lT7_lT5_lS8_lS9_lS7_lT8_i: ; @_ZL26rocblas_hemvn_kernel_lowerILb0ELi64ELi4ELi33ELi32ELi16El19rocblas_complex_numIfEPKPKS1_PS1_EviT6_lT7_lT5_lS8_lS9_lS7_lT8_i
; %bb.0:
	s_load_b64 s[4:5], s[0:1], 0x84
	s_add_u32 s2, s0, 0x78
	s_addc_u32 s3, s1, 0
	s_waitcnt lgkmcnt(0)
	s_lshr_b32 s6, s4, 16
	s_and_b32 s4, s4, 0xffff
	s_and_b32 s5, s5, 0xffff
	s_mul_i32 s4, s6, s4
	s_delay_alu instid0(SALU_CYCLE_1) | instskip(NEXT) | instid1(SALU_CYCLE_1)
	s_mul_i32 s4, s4, s5
	s_cmpk_lg_i32 s4, 0x100
	s_cbranch_scc1 .LBB186_109
; %bb.1:
	s_clause 0x2
	s_load_b64 s[8:9], s[0:1], 0x4
	s_load_b128 s[4:7], s[0:1], 0x18
	s_load_b64 s[16:17], s[0:1], 0x28
	s_mov_b32 s18, s15
	s_mov_b32 s10, 0
	s_waitcnt lgkmcnt(0)
	s_or_b32 s8, s8, s9
	s_delay_alu instid0(SALU_CYCLE_1) | instskip(NEXT) | instid1(SALU_CYCLE_1)
	s_bitset0_b32 s8, 31
	s_cmp_lg_u32 s8, 0
	s_cselect_b32 s12, -1, 0
	s_delay_alu instid0(SALU_CYCLE_1)
	s_and_b32 vcc_lo, exec_lo, s12
	s_cbranch_vccnz .LBB186_4
; %bb.2:
	s_load_b64 s[8:9], s[0:1], 0x58
	s_mov_b32 s11, 0
	s_waitcnt lgkmcnt(0)
	v_cmp_eq_f32_e64 s8, s8, 1.0
	v_cmp_eq_f32_e64 s9, s9, 0
	s_delay_alu instid0(VALU_DEP_1) | instskip(NEXT) | instid1(SALU_CYCLE_1)
	s_and_b32 s8, s8, s9
	s_and_not1_b32 vcc_lo, exec_lo, s8
                                        ; implicit-def: $sgpr8_sgpr9
	s_cbranch_vccz .LBB186_5
; %bb.3:
	s_mov_b32 s10, -1
	s_mov_b64 s[8:9], 0
	s_branch .LBB186_5
.LBB186_4:
	s_mov_b32 s11, -1
                                        ; implicit-def: $sgpr8_sgpr9
.LBB186_5:
	s_delay_alu instid0(SALU_CYCLE_1)
	s_and_b32 vcc_lo, exec_lo, s11
	s_cbranch_vccz .LBB186_7
; %bb.6:
	s_mov_b32 s19, 0
	s_mov_b32 s10, -1
	s_lshl_b64 s[8:9], s[18:19], 3
	s_delay_alu instid0(SALU_CYCLE_1)
	s_add_u32 s4, s4, s8
	s_addc_u32 s5, s5, s9
	s_lshl_b64 s[6:7], s[6:7], 3
	s_load_b64 s[4:5], s[4:5], 0x0
	s_waitcnt lgkmcnt(0)
	s_add_u32 s8, s4, s6
	s_addc_u32 s9, s5, s7
.LBB186_7:
	s_and_not1_b32 vcc_lo, exec_lo, s10
	s_cbranch_vccnz .LBB186_109
; %bb.8:
	s_clause 0x1
	s_load_b128 s[4:7], s[0:1], 0x38
	s_load_b64 s[10:11], s[0:1], 0x48
	v_cndmask_b32_e64 v1, 0, 1, s12
	s_and_not1_b32 vcc_lo, exec_lo, s12
	s_mov_b64 s[12:13], 0
	s_cbranch_vccnz .LBB186_10
; %bb.9:
	s_mov_b32 s19, 0
	s_delay_alu instid0(SALU_CYCLE_1)
	s_lshl_b64 s[12:13], s[18:19], 3
	s_waitcnt lgkmcnt(0)
	s_add_u32 s4, s4, s12
	s_addc_u32 s5, s5, s13
	s_lshl_b64 s[6:7], s[6:7], 3
	s_load_b64 s[4:5], s[4:5], 0x0
	s_waitcnt lgkmcnt(0)
	s_add_u32 s12, s4, s6
	s_addc_u32 s13, s5, s7
.LBB186_10:
	s_delay_alu instid0(VALU_DEP_1)
	v_cmp_ne_u32_e32 vcc_lo, 1, v1
	s_cbranch_vccnz .LBB186_109
; %bb.11:
	v_and_b32_e32 v26, 0x3ff, v0
	s_lshl_b32 s20, s14, 6
	s_load_b32 s15, s[0:1], 0x0
	s_load_b32 s19, s[2:3], 0x0
	v_bfe_u32 v72, v0, 10, 10
	v_add_nc_u32_e32 v16, s20, v26
	s_delay_alu instid0(VALU_DEP_1) | instskip(SKIP_3) | instid1(VALU_DEP_3)
	v_ashrrev_i32_e32 v17, 31, v16
	s_waitcnt lgkmcnt(0)
	v_mul_lo_u32 v3, v16, s11
	v_mad_u64_u32 v[1:2], null, v16, s10, 0
	v_mul_lo_u32 v4, v17, s10
	s_ashr_i32 s28, s15, 31
	s_delay_alu instid0(VALU_DEP_1)
	v_add3_u32 v2, v2, v3, v4
	s_lshr_b32 s2, s28, 26
	s_add_i32 s4, s19, -1
	s_add_i32 s3, s15, s2
	v_cmp_ne_u32_e64 s2, 0, v72
	v_lshlrev_b64 v[0:1], 3, v[1:2]
	s_and_not1_b32 s3, s3, 63
	s_delay_alu instid0(SALU_CYCLE_1) | instskip(SKIP_2) | instid1(VALU_DEP_2)
	s_sub_i32 s5, s15, s3
	v_cmp_eq_u32_e64 s3, 0, v72
	s_cmp_eq_u32 s14, s4
	v_add_co_u32 v20, vcc_lo, s12, v0
	v_add_co_ci_u32_e32 v21, vcc_lo, s13, v1, vcc_lo
	s_mov_b32 s4, -1
	s_cselect_b32 s22, s5, 0
	s_and_saveexec_b32 s5, s3
	s_cbranch_execz .LBB186_16
; %bb.12:
	v_cmp_le_i32_e32 vcc_lo, s22, v26
	s_cmp_lg_u32 s22, 0
	v_lshl_add_u32 v0, v26, 3, 0x2380
	s_cselect_b32 s6, -1, 0
	s_delay_alu instid0(SALU_CYCLE_1) | instskip(NEXT) | instid1(SALU_CYCLE_1)
	s_and_b32 s6, s6, vcc_lo
	s_and_saveexec_b32 s7, s6
	s_delay_alu instid0(SALU_CYCLE_1)
	s_xor_b32 s6, exec_lo, s7
	s_cbranch_execz .LBB186_14
; %bb.13:
	v_mov_b32_e32 v1, 0
	s_delay_alu instid0(VALU_DEP_1)
	v_mov_b32_e32 v2, v1
	ds_store_b64 v0, v[1:2]
                                        ; implicit-def: $vgpr0
.LBB186_14:
	s_and_not1_saveexec_b32 s6, s6
	s_cbranch_execz .LBB186_16
; %bb.15:
	flat_load_b64 v[1:2], v[20:21]
	s_waitcnt vmcnt(0) lgkmcnt(0)
	ds_store_b64 v0, v[1:2]
.LBB186_16:
	s_or_b32 exec_lo, exec_lo, s5
	v_lshl_add_u32 v27, v72, 6, v26
	v_dual_mov_b32 v1, 0 :: v_dual_and_b32 v0, 31, v26
	s_ashr_i32 s21, s20, 31
	s_mul_i32 s5, s20, s17
	s_delay_alu instid0(VALU_DEP_2)
	v_lshrrev_b32_e32 v5, 5, v27
	s_lshl_b64 s[6:7], s[20:21], 3
	s_mul_hi_u32 s12, s20, s16
	s_add_u32 s8, s8, s6
	s_mul_i32 s13, s21, s16
	v_mad_u64_u32 v[2:3], null, v5, s16, v[0:1]
	s_addc_u32 s9, s9, s7
	s_add_i32 s5, s12, s5
	s_mul_i32 s6, s20, s16
	s_add_i32 s7, s5, s13
	s_delay_alu instid0(SALU_CYCLE_1) | instskip(NEXT) | instid1(VALU_DEP_1)
	s_lshl_b64 s[24:25], s[6:7], 3
	v_mov_b32_e32 v1, v3
	s_add_u32 s5, s24, s8
	s_addc_u32 s6, s25, s9
	s_cmp_lg_u32 s22, 0
	s_cselect_b32 s29, -1, 0
	v_mad_u64_u32 v[3:4], null, v5, s17, v[1:2]
	s_cmp_eq_u32 s22, 0
	s_cselect_b32 s9, -1, 0
	s_delay_alu instid0(VALU_DEP_1) | instskip(NEXT) | instid1(VALU_DEP_1)
	v_lshlrev_b64 v[22:23], 3, v[2:3]
	v_add_co_u32 v1, vcc_lo, s5, v22
	s_delay_alu instid0(VALU_DEP_2)
	v_add_co_ci_u32_e32 v2, vcc_lo, s6, v23, vcc_lo
	s_and_b32 vcc_lo, exec_lo, s29
	s_cbranch_vccnz .LBB186_18
; %bb.17:
	flat_load_b64 v[3:4], v[1:2]
	v_mul_u32_u24_e32 v6, 33, v5
	s_lshl_b64 s[4:5], s[16:17], 6
	s_delay_alu instid0(VALU_DEP_1)
	v_add_lshl_u32 v10, v6, v0, 3
	v_add_co_u32 v6, vcc_lo, v1, s4
	v_add_co_ci_u32_e32 v7, vcc_lo, s5, v2, vcc_lo
	s_waitcnt vmcnt(0) lgkmcnt(0)
	ds_store_b64 v10, v[3:4]
	flat_load_b64 v[3:4], v[6:7]
	v_add_co_u32 v6, vcc_lo, v6, s4
	v_add_co_ci_u32_e32 v7, vcc_lo, s5, v7, vcc_lo
	s_mov_b32 s4, 0
	s_waitcnt vmcnt(0) lgkmcnt(0)
	ds_store_b64 v10, v[3:4] offset:2112
	flat_load_b64 v[3:4], v[6:7]
	v_mad_u64_u32 v[6:7], null, 0xc0, s16, v[1:2]
	s_delay_alu instid0(VALU_DEP_1) | instskip(NEXT) | instid1(VALU_DEP_1)
	v_mad_u64_u32 v[8:9], null, 0xc0, s17, v[7:8]
	v_mov_b32_e32 v7, v8
	s_waitcnt vmcnt(0) lgkmcnt(0)
	ds_store_b64 v10, v[3:4] offset:4224
	flat_load_b64 v[3:4], v[6:7]
	s_waitcnt vmcnt(0) lgkmcnt(0)
	ds_store_b64 v10, v[3:4] offset:6336
.LBB186_18:
	s_and_not1_b32 vcc_lo, exec_lo, s4
	s_cbranch_vccnz .LBB186_36
; %bb.19:
	v_lshlrev_b32_e32 v6, 3, v0
	s_ashr_i32 s23, s22, 31
	v_mul_u32_u24_e32 v7, 33, v5
	s_lshl_b64 s[6:7], s[22:23], 3
	v_cmp_le_i32_e64 s4, s22, v5
	v_sub_co_u32 v3, vcc_lo, v1, v6
	v_subrev_co_ci_u32_e32 v4, vcc_lo, 0, v2, vcc_lo
	v_add_lshl_u32 v7, v7, v0, 3
	s_delay_alu instid0(VALU_DEP_3) | instskip(NEXT) | instid1(VALU_DEP_3)
	v_add_co_u32 v3, vcc_lo, v3, s6
	v_add_co_ci_u32_e32 v4, vcc_lo, s7, v4, vcc_lo
	s_delay_alu instid0(VALU_DEP_2) | instskip(NEXT) | instid1(VALU_DEP_2)
	v_add_co_u32 v3, vcc_lo, v3, -8
	v_add_co_ci_u32_e32 v4, vcc_lo, -1, v4, vcc_lo
	v_cmp_gt_i32_e32 vcc_lo, s22, v0
	s_delay_alu instid0(VALU_DEP_2) | instskip(SKIP_1) | instid1(SALU_CYCLE_1)
	v_dual_cndmask_b32 v3, v3, v1 :: v_dual_cndmask_b32 v4, v4, v2
	s_and_saveexec_b32 s5, s4
	s_xor_b32 s4, exec_lo, s5
	s_cbranch_execz .LBB186_21
; %bb.20:
	v_mov_b32_e32 v8, 0
	s_delay_alu instid0(VALU_DEP_1)
	v_mov_b32_e32 v9, v8
	ds_store_b64 v7, v[8:9]
.LBB186_21:
	s_and_not1_saveexec_b32 s4, s4
	s_cbranch_execz .LBB186_23
; %bb.22:
	flat_load_b64 v[8:9], v[3:4]
	s_waitcnt vmcnt(0) lgkmcnt(0)
	ds_store_b64 v7, v[8:9]
.LBB186_23:
	s_or_b32 exec_lo, exec_lo, s4
	v_add_nc_u32_e32 v8, 8, v5
	s_delay_alu instid0(VALU_DEP_1) | instskip(NEXT) | instid1(VALU_DEP_1)
	v_cmp_le_i32_e64 s4, s22, v8
	s_and_saveexec_b32 s5, s4
	s_delay_alu instid0(SALU_CYCLE_1)
	s_xor_b32 s4, exec_lo, s5
	s_cbranch_execz .LBB186_25
; %bb.24:
	v_mul_u32_u24_e32 v9, 33, v8
	v_mov_b32_e32 v8, 0
	s_delay_alu instid0(VALU_DEP_2) | instskip(NEXT) | instid1(VALU_DEP_2)
	v_add_lshl_u32 v10, v9, v0, 3
	v_mov_b32_e32 v9, v8
	ds_store_b64 v10, v[8:9]
.LBB186_25:
	s_and_not1_saveexec_b32 s5, s4
	s_cbranch_execz .LBB186_27
; %bb.26:
	s_lshl_b64 s[12:13], s[16:17], 6
	s_delay_alu instid0(SALU_CYCLE_1) | instskip(NEXT) | instid1(VALU_DEP_1)
	v_add_co_u32 v8, s4, v3, s12
	v_add_co_ci_u32_e64 v9, s4, s13, v4, s4
	flat_load_b64 v[8:9], v[8:9]
	s_waitcnt vmcnt(0) lgkmcnt(0)
	ds_store_b64 v7, v[8:9] offset:2112
.LBB186_27:
	s_or_b32 exec_lo, exec_lo, s5
	v_add_nc_u32_e32 v8, 16, v5
	s_delay_alu instid0(VALU_DEP_1) | instskip(NEXT) | instid1(VALU_DEP_1)
	v_cmp_le_i32_e64 s4, s22, v8
	s_and_saveexec_b32 s5, s4
	s_delay_alu instid0(SALU_CYCLE_1)
	s_xor_b32 s4, exec_lo, s5
	s_cbranch_execz .LBB186_29
; %bb.28:
	v_mov_b32_e32 v8, 0
	s_delay_alu instid0(VALU_DEP_1)
	v_mov_b32_e32 v9, v8
	ds_store_b64 v7, v[8:9] offset:4224
.LBB186_29:
	s_and_not1_saveexec_b32 s5, s4
	s_cbranch_execz .LBB186_31
; %bb.30:
	s_lshl_b64 s[12:13], s[16:17], 7
	s_delay_alu instid0(SALU_CYCLE_1) | instskip(NEXT) | instid1(VALU_DEP_1)
	v_add_co_u32 v8, s4, v3, s12
	v_add_co_ci_u32_e64 v9, s4, s13, v4, s4
	flat_load_b64 v[8:9], v[8:9]
	s_waitcnt vmcnt(0) lgkmcnt(0)
	ds_store_b64 v7, v[8:9] offset:4224
.LBB186_31:
	s_or_b32 exec_lo, exec_lo, s5
	v_add_nc_u32_e32 v8, 24, v5
	s_delay_alu instid0(VALU_DEP_1) | instskip(NEXT) | instid1(VALU_DEP_1)
	v_cmp_le_i32_e64 s4, s22, v8
	s_and_saveexec_b32 s5, s4
	s_delay_alu instid0(SALU_CYCLE_1)
	s_xor_b32 s4, exec_lo, s5
	s_cbranch_execz .LBB186_33
; %bb.32:
	v_mov_b32_e32 v8, 0
	s_delay_alu instid0(VALU_DEP_1)
	v_mov_b32_e32 v9, v8
	ds_store_b64 v7, v[8:9] offset:6336
                                        ; implicit-def: $vgpr7
.LBB186_33:
	s_and_not1_saveexec_b32 s4, s4
	s_cbranch_execz .LBB186_35
; %bb.34:
	v_mad_u64_u32 v[8:9], null, 0xc0, s16, v[3:4]
	s_delay_alu instid0(VALU_DEP_1) | instskip(NEXT) | instid1(VALU_DEP_1)
	v_mad_u64_u32 v[10:11], null, 0xc0, s17, v[9:10]
	v_mov_b32_e32 v9, v10
	flat_load_b64 v[8:9], v[8:9]
	s_waitcnt vmcnt(0) lgkmcnt(0)
	ds_store_b64 v7, v[8:9] offset:6336
.LBB186_35:
	s_or_b32 exec_lo, exec_lo, s4
	v_add_co_u32 v3, s4, v3, v6
	s_delay_alu instid0(VALU_DEP_1) | instskip(NEXT) | instid1(VALU_DEP_2)
	v_add_co_ci_u32_e64 v4, s4, 0, v4, s4
	v_sub_co_u32 v3, s4, v3, s6
	s_delay_alu instid0(VALU_DEP_1) | instskip(NEXT) | instid1(VALU_DEP_2)
	v_subrev_co_ci_u32_e64 v4, s4, s7, v4, s4
	v_add_co_u32 v3, s4, v3, 8
	s_delay_alu instid0(VALU_DEP_1) | instskip(NEXT) | instid1(VALU_DEP_1)
	v_add_co_ci_u32_e64 v4, s4, 0, v4, s4
	v_dual_cndmask_b32 v1, v3, v1 :: v_dual_cndmask_b32 v2, v4, v2
.LBB186_36:
	v_lshlrev_b32_e32 v3, 2, v5
	v_mul_u32_u24_e32 v28, 33, v0
	v_mul_u32_u24_e32 v7, 0x84, v5
	s_waitcnt lgkmcnt(0)
	s_barrier
	v_cmp_lt_u32_e64 s5, v3, v0
	v_add_lshl_u32 v4, v3, v28, 3
	buffer_gl0_inv
	s_and_saveexec_b32 s4, s5
	s_cbranch_execz .LBB186_38
; %bb.37:
	v_add_lshl_u32 v6, v7, v0, 3
	ds_load_b64 v[8:9], v6
	s_waitcnt lgkmcnt(0)
	ds_store_b64 v4, v[8:9]
.LBB186_38:
	s_or_b32 exec_lo, exec_lo, s4
	v_or_b32_e32 v6, 1, v3
	s_delay_alu instid0(VALU_DEP_1) | instskip(NEXT) | instid1(VALU_DEP_1)
	v_cmp_lt_u32_e64 s6, v6, v0
	s_and_saveexec_b32 s4, s6
	s_cbranch_execz .LBB186_40
; %bb.39:
	v_mul_u32_u24_e32 v6, 33, v6
	s_delay_alu instid0(VALU_DEP_1)
	v_add_lshl_u32 v6, v6, v0, 3
	ds_load_b64 v[8:9], v6
	s_waitcnt lgkmcnt(0)
	ds_store_b64 v4, v[8:9] offset:8
.LBB186_40:
	s_or_b32 exec_lo, exec_lo, s4
	v_or_b32_e32 v6, 2, v3
	s_delay_alu instid0(VALU_DEP_1) | instskip(NEXT) | instid1(VALU_DEP_1)
	v_cmp_lt_u32_e64 s7, v6, v0
	s_and_saveexec_b32 s4, s7
	s_cbranch_execz .LBB186_42
; %bb.41:
	v_mul_u32_u24_e32 v6, 33, v6
	s_delay_alu instid0(VALU_DEP_1)
	v_add_lshl_u32 v6, v6, v0, 3
	ds_load_b64 v[8:9], v6
	s_waitcnt lgkmcnt(0)
	ds_store_b64 v4, v[8:9] offset:16
.LBB186_42:
	s_or_b32 exec_lo, exec_lo, s4
	v_or_b32_e32 v6, 3, v3
	s_delay_alu instid0(VALU_DEP_1) | instskip(SKIP_1) | instid1(VALU_DEP_2)
	v_mad_u32_u24 v8, v6, 33, v0
	v_cmp_lt_u32_e64 s8, v6, v0
	v_lshlrev_b32_e32 v6, 3, v8
	s_delay_alu instid0(VALU_DEP_2)
	s_and_saveexec_b32 s4, s8
	s_cbranch_execz .LBB186_44
; %bb.43:
	ds_load_b64 v[8:9], v6
	s_waitcnt lgkmcnt(0)
	ds_store_b64 v4, v[8:9] offset:24
.LBB186_44:
	s_or_b32 exec_lo, exec_lo, s4
	v_add_lshl_u32 v7, v7, v0, 3
	v_lshlrev_b32_e32 v3, 3, v3
	v_add_nc_u32_e32 v8, 0xfffffdf0, v6
	s_waitcnt lgkmcnt(0)
	s_barrier
	buffer_gl0_inv
	ds_load_b64 v[13:14], v7
	ds_load_b128 v[9:12], v3 offset:9088
	ds_load_2addr_b64 v[29:32], v8 offset1:33
	ds_load_b128 v[33:36], v3 offset:9104
	ds_load_b64 v[18:19], v6
	v_cmp_gt_u32_e64 s4, 32, v27
	s_waitcnt lgkmcnt(0)
	s_barrier
	buffer_gl0_inv
	v_mul_f32_e32 v15, v10, v14
	v_mul_f32_e32 v14, v9, v14
	;; [unrolled: 1-line block ×3, first 2 shown]
	v_dual_mul_f32 v25, v11, v30 :: v_dual_mul_f32 v30, v34, v32
	v_mul_f32_e32 v32, v33, v32
	v_fma_f32 v9, v9, v13, -v15
	v_dual_fmac_f32 v14, v10, v13 :: v_dual_mul_f32 v13, v35, v19
	s_delay_alu instid0(VALU_DEP_4) | instskip(NEXT) | instid1(VALU_DEP_3)
	v_fmac_f32_e32 v25, v12, v29
	v_add_f32_e32 v9, 0, v9
	v_fma_f32 v11, v11, v29, -v24
	s_delay_alu instid0(VALU_DEP_4) | instskip(SKIP_2) | instid1(VALU_DEP_4)
	v_add_f32_e32 v12, 0, v14
	v_fma_f32 v14, v33, v31, -v30
	v_dual_fmac_f32 v32, v34, v31 :: v_dual_fmac_f32 v13, v36, v18
	v_add_f32_e32 v9, v9, v11
	v_mul_f32_e32 v10, v36, v19
	v_add_f32_e32 v11, v12, v25
	v_add_lshl_u32 v29, v5, v28, 3
	v_mov_b32_e32 v19, 0
	v_add_f32_e32 v9, v9, v14
	v_fma_f32 v10, v35, v18, -v10
	v_dual_add_f32 v11, v11, v32 :: v_dual_mov_b32 v18, 0
	s_delay_alu instid0(VALU_DEP_1)
	v_dual_add_f32 v9, v9, v10 :: v_dual_add_f32 v10, v11, v13
	ds_store_b64 v29, v[9:10]
	s_waitcnt lgkmcnt(0)
	s_barrier
	buffer_gl0_inv
	s_and_saveexec_b32 s12, s4
	s_cbranch_execz .LBB186_46
; %bb.45:
	v_lshlrev_b32_e32 v13, 3, v28
	ds_load_2addr_b64 v[9:12], v13 offset1:7
	ds_load_2addr_b64 v[30:33], v13 offset0:1 offset1:2
	ds_load_2addr_b64 v[34:37], v13 offset0:3 offset1:4
	;; [unrolled: 1-line block ×3, first 2 shown]
	s_waitcnt lgkmcnt(2)
	v_dual_add_f32 v10, v31, v10 :: v_dual_add_f32 v9, v30, v9
	s_delay_alu instid0(VALU_DEP_1) | instskip(SKIP_1) | instid1(VALU_DEP_1)
	v_dual_add_f32 v10, v10, v33 :: v_dual_add_f32 v9, v9, v32
	s_waitcnt lgkmcnt(1)
	v_dual_add_f32 v10, v10, v35 :: v_dual_add_f32 v9, v9, v34
	s_delay_alu instid0(VALU_DEP_1) | instskip(SKIP_1) | instid1(VALU_DEP_1)
	v_dual_add_f32 v10, v10, v37 :: v_dual_add_f32 v9, v9, v36
	s_waitcnt lgkmcnt(0)
	v_dual_add_f32 v10, v10, v39 :: v_dual_add_f32 v9, v9, v38
	s_delay_alu instid0(VALU_DEP_1) | instskip(NEXT) | instid1(VALU_DEP_1)
	v_dual_add_f32 v10, v10, v41 :: v_dual_add_f32 v9, v9, v40
	v_dual_add_f32 v19, v10, v12 :: v_dual_add_f32 v18, v9, v11
.LBB186_46:
	s_or_b32 exec_lo, exec_lo, s12
	s_lshl_b64 s[12:13], s[16:17], 8
	v_cndmask_b32_e64 v9, 0, 1, s9
	v_add_co_u32 v1, vcc_lo, v1, s12
	v_add_co_ci_u32_e32 v2, vcc_lo, s13, v2, vcc_lo
	s_delay_alu instid0(VALU_DEP_2) | instskip(NEXT) | instid1(VALU_DEP_2)
	v_add_co_u32 v10, vcc_lo, 0x100, v1
	v_add_co_ci_u32_e32 v11, vcc_lo, 0, v2, vcc_lo
	s_and_not1_b32 vcc_lo, exec_lo, s9
	s_barrier
	buffer_gl0_inv
	s_cbranch_vccnz .LBB186_48
; %bb.47:
	flat_load_b64 v[12:13], v[1:2] offset:256
	v_mul_u32_u24_e32 v14, 33, v5
	s_lshl_b64 s[26:27], s[16:17], 6
	s_delay_alu instid0(VALU_DEP_1)
	v_add_lshl_u32 v30, v14, v0, 3
	v_add_co_u32 v14, vcc_lo, v1, s26
	v_add_co_ci_u32_e32 v15, vcc_lo, s27, v2, vcc_lo
	s_waitcnt vmcnt(0) lgkmcnt(0)
	ds_store_b64 v30, v[12:13]
	flat_load_b64 v[12:13], v[14:15] offset:256
	v_add_co_u32 v14, vcc_lo, v14, s26
	v_add_co_ci_u32_e32 v15, vcc_lo, s27, v15, vcc_lo
	s_waitcnt vmcnt(0) lgkmcnt(0)
	ds_store_b64 v30, v[12:13] offset:2112
	flat_load_b64 v[12:13], v[14:15] offset:256
	v_mad_u64_u32 v[14:15], null, 0xc0, s16, v[1:2]
	s_delay_alu instid0(VALU_DEP_1) | instskip(NEXT) | instid1(VALU_DEP_1)
	v_mov_b32_e32 v1, v15
	v_mad_u64_u32 v[24:25], null, 0xc0, s17, v[1:2]
	s_delay_alu instid0(VALU_DEP_1)
	v_mov_b32_e32 v15, v24
	s_waitcnt vmcnt(0) lgkmcnt(0)
	ds_store_b64 v30, v[12:13] offset:4224
	flat_load_b64 v[1:2], v[14:15] offset:256
	s_waitcnt vmcnt(0) lgkmcnt(0)
	ds_store_b64 v30, v[1:2] offset:6336
	s_cbranch_execz .LBB186_49
	s_branch .LBB186_66
.LBB186_48:
.LBB186_49:
	v_or_b32_e32 v1, 32, v0
	s_ashr_i32 s23, s22, 31
	v_mul_u32_u24_e32 v13, 33, v5
	s_lshl_b64 s[26:27], s[22:23], 3
	s_sub_i32 s23, s22, 32
	v_lshlrev_b32_e32 v2, 3, v1
	v_cmp_le_i32_e64 s9, s23, v5
	s_delay_alu instid0(VALU_DEP_2) | instskip(SKIP_1) | instid1(VALU_DEP_2)
	v_sub_co_u32 v2, vcc_lo, v10, v2
	v_subrev_co_ci_u32_e32 v12, vcc_lo, 0, v11, vcc_lo
	v_add_co_u32 v2, vcc_lo, v2, s26
	s_delay_alu instid0(VALU_DEP_2) | instskip(NEXT) | instid1(VALU_DEP_2)
	v_add_co_ci_u32_e32 v12, vcc_lo, s27, v12, vcc_lo
	v_add_co_u32 v14, vcc_lo, v2, -8
	s_delay_alu instid0(VALU_DEP_2) | instskip(SKIP_2) | instid1(VALU_DEP_4)
	v_add_co_ci_u32_e32 v2, vcc_lo, -1, v12, vcc_lo
	v_cmp_gt_i32_e32 vcc_lo, s22, v1
	v_add_lshl_u32 v12, v13, v0, 3
	v_cndmask_b32_e32 v1, v14, v10, vcc_lo
	s_delay_alu instid0(VALU_DEP_4) | instskip(SKIP_1) | instid1(SALU_CYCLE_1)
	v_cndmask_b32_e32 v2, v2, v11, vcc_lo
	s_and_saveexec_b32 s30, s9
	s_xor_b32 s9, exec_lo, s30
	s_cbranch_execz .LBB186_51
; %bb.50:
	v_mov_b32_e32 v13, 0
	s_delay_alu instid0(VALU_DEP_1)
	v_mov_b32_e32 v14, v13
	ds_store_b64 v12, v[13:14]
.LBB186_51:
	s_and_not1_saveexec_b32 s9, s9
	s_cbranch_execz .LBB186_53
; %bb.52:
	flat_load_b64 v[13:14], v[1:2]
	s_waitcnt vmcnt(0) lgkmcnt(0)
	ds_store_b64 v12, v[13:14]
.LBB186_53:
	s_or_b32 exec_lo, exec_lo, s9
	v_add_nc_u32_e32 v13, 8, v5
	s_delay_alu instid0(VALU_DEP_1) | instskip(NEXT) | instid1(VALU_DEP_1)
	v_cmp_le_i32_e64 s9, s23, v13
	s_and_saveexec_b32 s30, s9
	s_delay_alu instid0(SALU_CYCLE_1)
	s_xor_b32 s9, exec_lo, s30
	s_cbranch_execz .LBB186_55
; %bb.54:
	v_mul_u32_u24_e32 v14, 33, v13
	v_mov_b32_e32 v13, 0
	s_delay_alu instid0(VALU_DEP_2) | instskip(NEXT) | instid1(VALU_DEP_2)
	v_add_lshl_u32 v15, v14, v0, 3
	v_mov_b32_e32 v14, v13
	ds_store_b64 v15, v[13:14]
.LBB186_55:
	s_and_not1_saveexec_b32 s30, s9
	s_cbranch_execz .LBB186_57
; %bb.56:
	s_lshl_b64 s[34:35], s[16:17], 6
	s_delay_alu instid0(SALU_CYCLE_1) | instskip(NEXT) | instid1(VALU_DEP_1)
	v_add_co_u32 v13, s9, v1, s34
	v_add_co_ci_u32_e64 v14, s9, s35, v2, s9
	flat_load_b64 v[13:14], v[13:14]
	s_waitcnt vmcnt(0) lgkmcnt(0)
	ds_store_b64 v12, v[13:14] offset:2112
.LBB186_57:
	s_or_b32 exec_lo, exec_lo, s30
	v_add_nc_u32_e32 v13, 16, v5
	s_delay_alu instid0(VALU_DEP_1) | instskip(NEXT) | instid1(VALU_DEP_1)
	v_cmp_le_i32_e64 s9, s23, v13
	s_and_saveexec_b32 s30, s9
	s_delay_alu instid0(SALU_CYCLE_1)
	s_xor_b32 s9, exec_lo, s30
	s_cbranch_execz .LBB186_59
; %bb.58:
	v_mov_b32_e32 v13, 0
	s_delay_alu instid0(VALU_DEP_1)
	v_mov_b32_e32 v14, v13
	ds_store_b64 v12, v[13:14] offset:4224
.LBB186_59:
	s_and_not1_saveexec_b32 s30, s9
	s_cbranch_execz .LBB186_61
; %bb.60:
	s_lshl_b64 s[34:35], s[16:17], 7
	s_delay_alu instid0(SALU_CYCLE_1) | instskip(NEXT) | instid1(VALU_DEP_1)
	v_add_co_u32 v13, s9, v1, s34
	v_add_co_ci_u32_e64 v14, s9, s35, v2, s9
	flat_load_b64 v[13:14], v[13:14]
	s_waitcnt vmcnt(0) lgkmcnt(0)
	ds_store_b64 v12, v[13:14] offset:4224
.LBB186_61:
	s_or_b32 exec_lo, exec_lo, s30
	v_add_nc_u32_e32 v13, 24, v5
	s_delay_alu instid0(VALU_DEP_1) | instskip(NEXT) | instid1(VALU_DEP_1)
	v_cmp_le_i32_e64 s9, s23, v13
	s_and_saveexec_b32 s23, s9
	s_delay_alu instid0(SALU_CYCLE_1)
	s_xor_b32 s9, exec_lo, s23
	s_cbranch_execz .LBB186_63
; %bb.62:
	v_mov_b32_e32 v13, 0
	s_delay_alu instid0(VALU_DEP_1)
	v_mov_b32_e32 v14, v13
	ds_store_b64 v12, v[13:14] offset:6336
                                        ; implicit-def: $vgpr12
.LBB186_63:
	s_and_not1_saveexec_b32 s9, s9
	s_cbranch_execz .LBB186_65
; %bb.64:
	v_mad_u64_u32 v[13:14], null, 0xc0, s16, v[1:2]
	s_delay_alu instid0(VALU_DEP_1) | instskip(NEXT) | instid1(VALU_DEP_1)
	v_mad_u64_u32 v[24:25], null, 0xc0, s17, v[14:15]
	v_mov_b32_e32 v14, v24
	flat_load_b64 v[13:14], v[13:14]
	s_waitcnt vmcnt(0) lgkmcnt(0)
	ds_store_b64 v12, v[13:14] offset:6336
.LBB186_65:
	s_or_b32 exec_lo, exec_lo, s9
	v_lshlrev_b32_e32 v12, 3, v0
	s_delay_alu instid0(VALU_DEP_1) | instskip(NEXT) | instid1(VALU_DEP_1)
	v_add_co_u32 v1, s9, v1, v12
	v_add_co_ci_u32_e64 v2, s9, 0, v2, s9
	s_delay_alu instid0(VALU_DEP_2) | instskip(NEXT) | instid1(VALU_DEP_1)
	v_sub_co_u32 v1, s9, v1, s26
	v_subrev_co_ci_u32_e64 v2, s9, s27, v2, s9
	s_delay_alu instid0(VALU_DEP_2) | instskip(NEXT) | instid1(VALU_DEP_1)
	v_add_co_u32 v1, s9, 0x108, v1
	v_add_co_ci_u32_e64 v2, s9, 0, v2, s9
	s_delay_alu instid0(VALU_DEP_1)
	v_dual_cndmask_b32 v10, v1, v10 :: v_dual_cndmask_b32 v11, v2, v11
.LBB186_66:
	v_add_nc_u32_e32 v3, 0x2380, v3
	s_lshl_b64 s[26:27], s[16:17], 5
	s_waitcnt lgkmcnt(0)
	s_barrier
	buffer_gl0_inv
	s_and_saveexec_b32 s9, s5
	s_cbranch_execnz .LBB186_75
; %bb.67:
	s_or_b32 exec_lo, exec_lo, s9
	s_and_saveexec_b32 s5, s6
	s_cbranch_execnz .LBB186_76
.LBB186_68:
	s_or_b32 exec_lo, exec_lo, s5
	s_and_saveexec_b32 s5, s7
	s_cbranch_execnz .LBB186_77
.LBB186_69:
	s_or_b32 exec_lo, exec_lo, s5
	s_and_saveexec_b32 s5, s8
	s_cbranch_execz .LBB186_71
.LBB186_70:
	ds_load_b64 v[1:2], v6
	s_waitcnt lgkmcnt(0)
	ds_store_b64 v4, v[1:2] offset:24
.LBB186_71:
	s_or_b32 exec_lo, exec_lo, s5
	s_waitcnt lgkmcnt(0)
	s_barrier
	buffer_gl0_inv
	ds_load_b64 v[1:2], v7
	ds_load_b128 v[12:15], v3 offset:256
	ds_load_2addr_b64 v[30:33], v8 offset1:33
	ds_load_b128 v[34:37], v3 offset:272
	ds_load_b64 v[6:7], v6
	v_cmp_eq_u32_e64 s5, 1, v5
	s_waitcnt lgkmcnt(0)
	s_barrier
	buffer_gl0_inv
	v_dual_mul_f32 v8, v13, v2 :: v_dual_mul_f32 v25, v14, v31
	v_mul_f32_e32 v2, v12, v2
	v_mul_f32_e32 v24, v15, v31
	v_mul_f32_e32 v31, v35, v33
	v_mul_f32_e32 v33, v34, v33
	v_fma_f32 v8, v12, v1, -v8
	v_dual_fmac_f32 v2, v13, v1 :: v_dual_fmac_f32 v25, v15, v30
	v_mul_f32_e32 v1, v37, v7
	v_fma_f32 v12, v14, v30, -v24
	s_delay_alu instid0(VALU_DEP_4) | instskip(NEXT) | instid1(VALU_DEP_4)
	v_add_f32_e32 v8, 0, v8
	v_dual_add_f32 v2, 0, v2 :: v_dual_mul_f32 v7, v36, v7
	v_fma_f32 v13, v34, v32, -v31
	v_fmac_f32_e32 v33, v35, v32
	s_delay_alu instid0(VALU_DEP_4) | instskip(NEXT) | instid1(VALU_DEP_4)
	v_add_f32_e32 v8, v8, v12
	v_dual_add_f32 v2, v2, v25 :: v_dual_fmac_f32 v7, v37, v6
	v_fma_f32 v1, v36, v6, -v1
	s_delay_alu instid0(VALU_DEP_3) | instskip(NEXT) | instid1(VALU_DEP_3)
	v_add_f32_e32 v6, v8, v13
	v_add_f32_e32 v2, v2, v33
	s_delay_alu instid0(VALU_DEP_2) | instskip(NEXT) | instid1(VALU_DEP_2)
	v_add_f32_e32 v1, v6, v1
	v_add_f32_e32 v2, v2, v7
	ds_store_b64 v29, v[1:2]
	s_waitcnt lgkmcnt(0)
	s_barrier
	buffer_gl0_inv
	s_and_saveexec_b32 s6, s5
	s_cbranch_execz .LBB186_73
; %bb.72:
	v_lshlrev_b32_e32 v1, 3, v28
	ds_load_2addr_b64 v[12:15], v1 offset1:7
	ds_load_2addr_b64 v[30:33], v1 offset0:1 offset1:2
	ds_load_2addr_b64 v[34:37], v1 offset0:3 offset1:4
	;; [unrolled: 1-line block ×3, first 2 shown]
	s_waitcnt lgkmcnt(2)
	v_dual_add_f32 v2, v31, v13 :: v_dual_add_f32 v1, v30, v12
	s_delay_alu instid0(VALU_DEP_1) | instskip(SKIP_1) | instid1(VALU_DEP_1)
	v_dual_add_f32 v2, v2, v33 :: v_dual_add_f32 v1, v1, v32
	s_waitcnt lgkmcnt(1)
	v_dual_add_f32 v2, v2, v35 :: v_dual_add_f32 v1, v1, v34
	s_delay_alu instid0(VALU_DEP_1) | instskip(SKIP_1) | instid1(VALU_DEP_1)
	v_dual_add_f32 v2, v2, v37 :: v_dual_add_f32 v1, v1, v36
	s_waitcnt lgkmcnt(0)
	v_dual_add_f32 v2, v2, v39 :: v_dual_add_f32 v1, v1, v38
	s_delay_alu instid0(VALU_DEP_1) | instskip(NEXT) | instid1(VALU_DEP_1)
	v_dual_add_f32 v2, v2, v41 :: v_dual_add_f32 v1, v1, v40
	v_dual_add_f32 v19, v2, v15 :: v_dual_add_f32 v18, v1, v14
.LBB186_73:
	s_or_b32 exec_lo, exec_lo, s6
	s_lshl_b64 s[6:7], s[26:27], 3
	v_cmp_ne_u32_e32 vcc_lo, 1, v9
	v_sub_co_u32 v24, s6, v10, s6
	s_delay_alu instid0(VALU_DEP_1)
	v_subrev_co_ci_u32_e64 v25, s6, s7, v11, s6
	s_barrier
	buffer_gl0_inv
	s_cbranch_vccnz .LBB186_78
; %bb.74:
	flat_load_b64 v[1:2], v[24:25]
	v_mad_u32_u24 v6, v5, 33, v0
	s_lshl_b64 s[6:7], s[16:17], 6
	s_delay_alu instid0(SALU_CYCLE_1) | instskip(NEXT) | instid1(VALU_DEP_2)
	v_add_co_u32 v7, vcc_lo, v24, s6
	v_lshlrev_b32_e32 v13, 3, v6
	v_add_co_ci_u32_e32 v8, vcc_lo, s7, v25, vcc_lo
	s_waitcnt vmcnt(0) lgkmcnt(0)
	ds_store_b64 v13, v[1:2]
	flat_load_b64 v[1:2], v[7:8]
	v_add_co_u32 v7, vcc_lo, v7, s6
	v_add_co_ci_u32_e32 v8, vcc_lo, s7, v8, vcc_lo
	s_waitcnt vmcnt(0) lgkmcnt(0)
	ds_store_b64 v13, v[1:2] offset:2112
	flat_load_b64 v[1:2], v[7:8]
	v_mad_u64_u32 v[7:8], null, 0xc0, s16, v[24:25]
	s_delay_alu instid0(VALU_DEP_1) | instskip(SKIP_1) | instid1(VALU_DEP_2)
	v_mad_u64_u32 v[9:10], null, 0xc0, s17, v[8:9]
	v_add_nc_u32_e32 v10, 0x318, v6
	v_dual_mov_b32 v8, v9 :: v_dual_add_nc_u32 v9, 24, v5
	s_waitcnt vmcnt(0) lgkmcnt(0)
	ds_store_b64 v13, v[1:2] offset:4224
	flat_load_b64 v[11:12], v[7:8]
	v_add_nc_u32_e32 v7, 8, v5
	v_add_nc_u32_e32 v1, 0x108, v6
	;; [unrolled: 1-line block ×4, first 2 shown]
	s_waitcnt vmcnt(0) lgkmcnt(0)
	ds_store_b64 v13, v[11:12] offset:6336
	s_cbranch_execz .LBB186_79
	s_branch .LBB186_96
.LBB186_75:
	ds_load_b64 v[1:2], v7
	s_waitcnt lgkmcnt(0)
	ds_store_b64 v4, v[1:2]
	s_or_b32 exec_lo, exec_lo, s9
	s_and_saveexec_b32 s5, s6
	s_cbranch_execz .LBB186_68
.LBB186_76:
	ds_load_b64 v[1:2], v8
	s_waitcnt lgkmcnt(0)
	ds_store_b64 v4, v[1:2] offset:8
	s_or_b32 exec_lo, exec_lo, s5
	s_and_saveexec_b32 s5, s7
	s_cbranch_execz .LBB186_69
.LBB186_77:
	ds_load_b64 v[1:2], v8 offset:264
	s_waitcnt lgkmcnt(0)
	ds_store_b64 v4, v[1:2] offset:16
	s_or_b32 exec_lo, exec_lo, s5
	s_and_saveexec_b32 s5, s8
	s_cbranch_execnz .LBB186_70
	s_branch .LBB186_71
.LBB186_78:
                                        ; implicit-def: $vgpr6
                                        ; implicit-def: $vgpr7
                                        ; implicit-def: $vgpr1
                                        ; implicit-def: $vgpr8
                                        ; implicit-def: $vgpr2
                                        ; implicit-def: $vgpr9
                                        ; implicit-def: $vgpr10
.LBB186_79:
	v_or_b32_e32 v1, 32, v0
	s_ashr_i32 s23, s22, 31
	v_cmp_le_i32_e64 s6, s22, v5
	s_lshl_b64 s[8:9], s[22:23], 3
	s_delay_alu instid0(VALU_DEP_2) | instskip(NEXT) | instid1(VALU_DEP_1)
	v_lshlrev_b32_e32 v2, 3, v1
	v_sub_co_u32 v2, vcc_lo, v24, v2
	v_subrev_co_ci_u32_e32 v6, vcc_lo, 0, v25, vcc_lo
	s_delay_alu instid0(VALU_DEP_2) | instskip(NEXT) | instid1(VALU_DEP_2)
	v_add_co_u32 v2, vcc_lo, v2, s8
	v_add_co_ci_u32_e32 v6, vcc_lo, s9, v6, vcc_lo
	s_delay_alu instid0(VALU_DEP_2) | instskip(NEXT) | instid1(VALU_DEP_2)
	v_add_co_u32 v7, vcc_lo, v2, -8
	v_add_co_ci_u32_e32 v2, vcc_lo, -1, v6, vcc_lo
	v_cmp_gt_i32_e32 vcc_lo, s22, v1
	v_mad_u32_u24 v6, v5, 33, v0
	s_delay_alu instid0(VALU_DEP_3) | instskip(NEXT) | instid1(VALU_DEP_2)
	v_dual_cndmask_b32 v1, v7, v24 :: v_dual_cndmask_b32 v2, v2, v25
	v_lshlrev_b32_e32 v11, 3, v6
	s_and_saveexec_b32 s7, s6
	s_delay_alu instid0(SALU_CYCLE_1)
	s_xor_b32 s6, exec_lo, s7
	s_cbranch_execz .LBB186_81
; %bb.80:
	v_mov_b32_e32 v7, 0
	s_delay_alu instid0(VALU_DEP_1)
	v_mov_b32_e32 v8, v7
	ds_store_b64 v11, v[7:8]
.LBB186_81:
	s_and_not1_saveexec_b32 s6, s6
	s_cbranch_execz .LBB186_83
; %bb.82:
	flat_load_b64 v[7:8], v[1:2]
	s_waitcnt vmcnt(0) lgkmcnt(0)
	ds_store_b64 v11, v[7:8]
.LBB186_83:
	s_or_b32 exec_lo, exec_lo, s6
	v_add_nc_u32_e32 v7, 8, v5
	s_delay_alu instid0(VALU_DEP_1) | instskip(NEXT) | instid1(VALU_DEP_1)
	v_cmp_le_i32_e64 s6, s22, v7
	s_and_saveexec_b32 s7, s6
	s_delay_alu instid0(SALU_CYCLE_1)
	s_xor_b32 s6, exec_lo, s7
	s_cbranch_execz .LBB186_85
; %bb.84:
	v_mul_u32_u24_e32 v9, 33, v7
	v_mov_b32_e32 v8, 0
	s_delay_alu instid0(VALU_DEP_2) | instskip(NEXT) | instid1(VALU_DEP_2)
	v_add_lshl_u32 v10, v9, v0, 3
	v_mov_b32_e32 v9, v8
	ds_store_b64 v10, v[8:9]
.LBB186_85:
	s_and_not1_saveexec_b32 s7, s6
	s_cbranch_execz .LBB186_87
; %bb.86:
	s_lshl_b64 s[26:27], s[16:17], 6
	s_delay_alu instid0(SALU_CYCLE_1) | instskip(NEXT) | instid1(VALU_DEP_1)
	v_add_co_u32 v8, s6, v1, s26
	v_add_co_ci_u32_e64 v9, s6, s27, v2, s6
	flat_load_b64 v[8:9], v[8:9]
	s_waitcnt vmcnt(0) lgkmcnt(0)
	ds_store_b64 v11, v[8:9] offset:2112
.LBB186_87:
	s_or_b32 exec_lo, exec_lo, s7
	v_add_nc_u32_e32 v8, 16, v5
	s_delay_alu instid0(VALU_DEP_1) | instskip(NEXT) | instid1(VALU_DEP_1)
	v_cmp_le_i32_e64 s6, s22, v8
	s_and_saveexec_b32 s7, s6
	s_delay_alu instid0(SALU_CYCLE_1)
	s_xor_b32 s6, exec_lo, s7
	s_cbranch_execz .LBB186_89
; %bb.88:
	v_mul_u32_u24_e32 v10, 33, v8
	v_mov_b32_e32 v9, 0
	s_delay_alu instid0(VALU_DEP_2) | instskip(NEXT) | instid1(VALU_DEP_2)
	v_add_lshl_u32 v12, v10, v0, 3
	v_mov_b32_e32 v10, v9
	ds_store_b64 v12, v[9:10]
.LBB186_89:
	s_and_not1_saveexec_b32 s7, s6
	s_cbranch_execz .LBB186_91
; %bb.90:
	s_lshl_b64 s[26:27], s[16:17], 7
	s_delay_alu instid0(SALU_CYCLE_1) | instskip(NEXT) | instid1(VALU_DEP_1)
	v_add_co_u32 v9, s6, v1, s26
	v_add_co_ci_u32_e64 v10, s6, s27, v2, s6
	flat_load_b64 v[9:10], v[9:10]
	s_waitcnt vmcnt(0) lgkmcnt(0)
	ds_store_b64 v11, v[9:10] offset:4224
.LBB186_91:
	s_or_b32 exec_lo, exec_lo, s7
	v_add_nc_u32_e32 v9, 24, v5
                                        ; implicit-def: $vgpr10
	s_delay_alu instid0(VALU_DEP_1) | instskip(NEXT) | instid1(VALU_DEP_1)
	v_cmp_le_i32_e64 s6, s22, v9
	s_and_saveexec_b32 s7, s6
	s_delay_alu instid0(SALU_CYCLE_1)
	s_xor_b32 s6, exec_lo, s7
	s_cbranch_execz .LBB186_93
; %bb.92:
	v_mov_b32_e32 v12, 0
	s_delay_alu instid0(VALU_DEP_1)
	v_dual_mov_b32 v13, v12 :: v_dual_add_nc_u32 v10, 0x318, v6
	ds_store_b64 v11, v[12:13] offset:6336
                                        ; implicit-def: $vgpr11
.LBB186_93:
	s_and_not1_saveexec_b32 s6, s6
	s_cbranch_execz .LBB186_95
; %bb.94:
	v_mad_u64_u32 v[12:13], null, 0xc0, s16, v[1:2]
	s_delay_alu instid0(VALU_DEP_1) | instskip(NEXT) | instid1(VALU_DEP_1)
	v_mov_b32_e32 v10, v13
	v_mad_u64_u32 v[13:14], null, 0xc0, s17, v[10:11]
	v_add_nc_u32_e32 v10, 0x318, v6
	flat_load_b64 v[12:13], v[12:13]
	s_waitcnt vmcnt(0) lgkmcnt(0)
	ds_store_b64 v11, v[12:13] offset:6336
.LBB186_95:
	s_or_b32 exec_lo, exec_lo, s6
	v_lshlrev_b32_e32 v0, 3, v0
	s_delay_alu instid0(VALU_DEP_1) | instskip(NEXT) | instid1(VALU_DEP_1)
	v_add_co_u32 v0, s6, v1, v0
	v_add_co_ci_u32_e64 v1, s6, 0, v2, s6
	s_delay_alu instid0(VALU_DEP_2) | instskip(NEXT) | instid1(VALU_DEP_1)
	v_sub_co_u32 v0, s6, v0, s8
	v_subrev_co_ci_u32_e64 v1, s6, s9, v1, s6
	s_delay_alu instid0(VALU_DEP_2) | instskip(NEXT) | instid1(VALU_DEP_1)
	v_add_co_u32 v0, s6, 0x108, v0
	v_add_co_ci_u32_e64 v2, s6, 0, v1, s6
	s_delay_alu instid0(VALU_DEP_2) | instskip(NEXT) | instid1(VALU_DEP_2)
	v_dual_cndmask_b32 v24, v0, v24 :: v_dual_add_nc_u32 v1, 0x108, v6
	v_dual_cndmask_b32 v25, v2, v25 :: v_dual_add_nc_u32 v2, 0x210, v6
.LBB186_96:
	v_lshlrev_b32_e32 v0, 3, v6
	v_lshlrev_b32_e32 v5, 3, v5
	s_delay_alu instid0(VALU_DEP_4)
	v_lshlrev_b32_e32 v1, 3, v1
	v_lshlrev_b32_e32 v6, 3, v7
	;; [unrolled: 1-line block ×6, first 2 shown]
	s_waitcnt lgkmcnt(0)
	s_barrier
	buffer_gl0_inv
	ds_load_b64 v[30:31], v0
	ds_load_b64 v[32:33], v5 offset:9088
	ds_load_b64 v[34:35], v1
	ds_load_b64 v[36:37], v6 offset:9088
	;; [unrolled: 2-line block ×4, first 2 shown]
	ds_load_b128 v[8:11], v3 offset:256
	ds_load_b128 v[0:3], v3 offset:272
	ds_load_2addr_b64 v[12:15], v4 offset1:1
	ds_load_2addr_b64 v[4:7], v4 offset0:2 offset1:3
	s_waitcnt lgkmcnt(0)
	s_barrier
	buffer_gl0_inv
	v_mul_f32_e32 v46, v33, v31
	v_mul_f32_e32 v31, v32, v31
	;; [unrolled: 1-line block ×4, first 2 shown]
	s_delay_alu instid0(VALU_DEP_4) | instskip(NEXT) | instid1(VALU_DEP_4)
	v_fma_f32 v32, v32, v30, -v46
	v_dual_fmac_f32 v31, v33, v30 :: v_dual_mul_f32 v30, v40, v39
	v_mul_f32_e32 v35, v36, v35
	v_fma_f32 v33, v36, v34, -v47
	s_delay_alu instid0(VALU_DEP_3) | instskip(NEXT) | instid1(VALU_DEP_4)
	v_dual_add_f32 v32, 0, v32 :: v_dual_add_f32 v31, 0, v31
	v_fmac_f32_e32 v30, v41, v38
	s_delay_alu instid0(VALU_DEP_4) | instskip(SKIP_2) | instid1(VALU_DEP_3)
	v_dual_fmac_f32 v35, v37, v34 :: v_dual_mul_f32 v34, v44, v43
	v_mul_f32_e32 v49, v45, v43
	v_fma_f32 v36, v40, v38, -v48
	v_dual_add_f32 v32, v32, v33 :: v_dual_add_f32 v31, v31, v35
	s_delay_alu instid0(VALU_DEP_4) | instskip(NEXT) | instid1(VALU_DEP_4)
	v_fmac_f32_e32 v34, v45, v42
	v_fma_f32 v33, v44, v42, -v49
	s_delay_alu instid0(VALU_DEP_3) | instskip(NEXT) | instid1(VALU_DEP_1)
	v_dual_add_f32 v32, v32, v36 :: v_dual_add_f32 v31, v31, v30
	v_dual_add_f32 v30, v32, v33 :: v_dual_add_f32 v31, v31, v34
	ds_store_b64 v29, v[30:31]
	s_waitcnt lgkmcnt(0)
	s_barrier
	buffer_gl0_inv
	s_and_saveexec_b32 s6, s5
	s_cbranch_execz .LBB186_98
; %bb.97:
	v_lshlrev_b32_e32 v42, 3, v28
	ds_load_2addr_b64 v[30:33], v42 offset1:1
	ds_load_2addr_b64 v[34:37], v42 offset0:2 offset1:3
	s_waitcnt lgkmcnt(1)
	v_dual_add_f32 v19, v19, v31 :: v_dual_add_f32 v18, v18, v30
	ds_load_2addr_b64 v[38:41], v42 offset0:4 offset1:5
	v_dual_add_f32 v19, v19, v33 :: v_dual_add_f32 v18, v18, v32
	ds_load_2addr_b64 v[30:33], v42 offset0:6 offset1:7
	s_waitcnt lgkmcnt(2)
	v_dual_add_f32 v19, v19, v35 :: v_dual_add_f32 v18, v18, v34
	s_delay_alu instid0(VALU_DEP_1) | instskip(SKIP_1) | instid1(VALU_DEP_1)
	v_dual_add_f32 v19, v19, v37 :: v_dual_add_f32 v18, v18, v36
	s_waitcnt lgkmcnt(1)
	v_dual_add_f32 v19, v19, v39 :: v_dual_add_f32 v18, v18, v38
	s_delay_alu instid0(VALU_DEP_1) | instskip(SKIP_1) | instid1(VALU_DEP_1)
	v_dual_add_f32 v19, v19, v41 :: v_dual_add_f32 v18, v18, v40
	s_waitcnt lgkmcnt(0)
	v_dual_add_f32 v19, v19, v31 :: v_dual_add_f32 v18, v18, v30
	s_delay_alu instid0(VALU_DEP_1)
	v_dual_add_f32 v19, v19, v33 :: v_dual_add_f32 v18, v18, v32
.LBB186_98:
	s_or_b32 exec_lo, exec_lo, s6
	v_dual_mul_f32 v30, v9, v13 :: v_dual_mul_f32 v31, v11, v15
	v_mul_f32_e32 v13, v8, v13
	v_dual_mul_f32 v15, v10, v15 :: v_dual_mul_f32 v32, v1, v5
	s_delay_alu instid0(VALU_DEP_3) | instskip(NEXT) | instid1(VALU_DEP_4)
	v_fma_f32 v8, v8, v12, -v30
	v_fma_f32 v10, v10, v14, -v31
	v_mul_f32_e32 v5, v0, v5
	s_delay_alu instid0(VALU_DEP_4)
	v_fmac_f32_e32 v15, v11, v14
	v_fma_f32 v0, v0, v4, -v32
	v_add_f32_e32 v8, 0, v8
	v_fmac_f32_e32 v13, v9, v12
	v_fmac_f32_e32 v5, v1, v4
	s_barrier
	s_delay_alu instid0(VALU_DEP_3)
	v_dual_add_f32 v8, v8, v10 :: v_dual_mul_f32 v9, v3, v7
	v_mul_f32_e32 v7, v2, v7
	buffer_gl0_inv
	v_add_f32_e32 v0, v8, v0
	v_fma_f32 v2, v2, v6, -v9
	v_add_f32_e32 v11, 0, v13
	v_fmac_f32_e32 v7, v3, v6
	s_delay_alu instid0(VALU_DEP_2) | instskip(NEXT) | instid1(VALU_DEP_1)
	v_dual_add_f32 v0, v0, v2 :: v_dual_add_f32 v1, v11, v15
	v_add_f32_e32 v1, v1, v5
	s_delay_alu instid0(VALU_DEP_1)
	v_add_f32_e32 v1, v1, v7
	ds_store_b64 v29, v[0:1]
	s_waitcnt lgkmcnt(0)
	s_barrier
	buffer_gl0_inv
	s_and_saveexec_b32 s5, s4
	s_cbranch_execz .LBB186_100
; %bb.99:
	v_lshlrev_b32_e32 v12, 3, v28
	ds_load_2addr_b64 v[0:3], v12 offset1:1
	ds_load_2addr_b64 v[4:7], v12 offset0:2 offset1:3
	s_waitcnt lgkmcnt(1)
	v_add_f32_e32 v1, v19, v1
	ds_load_2addr_b64 v[8:11], v12 offset0:4 offset1:5
	v_add_f32_e32 v14, v1, v3
	s_waitcnt lgkmcnt(1)
	s_delay_alu instid0(VALU_DEP_1) | instskip(NEXT) | instid1(VALU_DEP_1)
	v_add_f32_e32 v5, v14, v5
	v_dual_add_f32 v0, v18, v0 :: v_dual_add_f32 v5, v5, v7
	s_delay_alu instid0(VALU_DEP_1) | instskip(SKIP_3) | instid1(VALU_DEP_1)
	v_add_f32_e32 v13, v0, v2
	ds_load_2addr_b64 v[0:3], v12 offset0:6 offset1:7
	v_add_f32_e32 v4, v13, v4
	s_waitcnt lgkmcnt(1)
	v_dual_add_f32 v5, v5, v9 :: v_dual_add_f32 v4, v4, v6
	s_delay_alu instid0(VALU_DEP_1) | instskip(SKIP_1) | instid1(VALU_DEP_1)
	v_dual_add_f32 v5, v5, v11 :: v_dual_add_f32 v4, v4, v8
	s_waitcnt lgkmcnt(0)
	v_dual_add_f32 v4, v4, v10 :: v_dual_add_f32 v1, v5, v1
	s_delay_alu instid0(VALU_DEP_1) | instskip(NEXT) | instid1(VALU_DEP_1)
	v_dual_add_f32 v0, v4, v0 :: v_dual_add_f32 v19, v1, v3
	v_add_f32_e32 v18, v0, v2
.LBB186_100:
	s_or_b32 exec_lo, exec_lo, s5
	s_load_b64 s[0:1], s[0:1], 0x68
	s_mul_hi_u32 s4, s15, s18
	s_mul_i32 s28, s28, s18
	s_mul_i32 s5, s15, s18
	s_add_i32 s4, s4, s28
	s_mul_hi_u32 s6, s5, s19
	s_mul_i32 s7, s4, s19
	s_mul_i32 s4, s5, s19
	s_add_i32 s5, s6, s7
	s_mul_i32 s6, s14, s15
	s_lshl_b64 s[4:5], s[4:5], 3
	v_cmp_le_i32_e32 vcc_lo, s22, v26
	v_lshlrev_b32_e32 v73, 3, v26
	s_waitcnt lgkmcnt(0)
	s_barrier
	buffer_gl0_inv
	s_add_u32 s4, s0, s4
	s_addc_u32 s5, s1, s5
	s_ashr_i32 s7, s6, 31
	s_delay_alu instid0(SALU_CYCLE_1) | instskip(NEXT) | instid1(SALU_CYCLE_1)
	s_lshl_b64 s[0:1], s[6:7], 3
	s_add_u32 s15, s4, s0
	s_addc_u32 s26, s5, s1
	s_and_b32 vcc_lo, s29, vcc_lo
	s_cmp_lt_i32 s14, 1
	s_cbranch_scc1 .LBB186_107
; %bb.101:
	v_lshlrev_b32_e32 v1, 2, v72
	s_mul_i32 s1, s20, s11
	s_mul_hi_u32 s5, s20, s10
	s_ashr_i32 s23, s22, 31
	s_mul_i32 s8, s21, s10
	v_mad_u64_u32 v[2:3], null, v1, s16, 0
	s_add_i32 s1, s5, s1
	s_lshl_b64 s[6:7], s[22:23], 3
	s_add_i32 s5, s1, s8
	s_mul_i32 s1, s17, 24
	s_mul_hi_u32 s18, s16, 24
	s_mul_i32 s4, s20, s10
	s_delay_alu instid0(VALU_DEP_1)
	v_mov_b32_e32 v0, v3
	s_add_i32 s20, s18, s1
	s_mul_i32 s1, s17, 0x90
	s_mul_hi_u32 s22, s16, 0x90
	v_and_b32_e32 v7, 48, v26
	v_mad_u64_u32 v[3:4], null, v1, s17, v[0:1]
	v_sub_co_u32 v0, s0, v24, s24
	s_delay_alu instid0(VALU_DEP_1) | instskip(SKIP_1) | instid1(VALU_DEP_2)
	v_subrev_co_ci_u32_e64 v4, s0, s25, v25, s0
	s_add_i32 s22, s22, s1
	v_sub_co_u32 v0, s0, v0, v22
	s_delay_alu instid0(VALU_DEP_4) | instskip(NEXT) | instid1(VALU_DEP_3)
	v_lshlrev_b64 v[2:3], 3, v[2:3]
	v_sub_co_ci_u32_e64 v4, s0, v4, v23, s0
	s_mul_i32 s1, s17, 0x98
	s_mul_hi_u32 s24, s16, 0x98
	s_mul_hi_u32 s27, s16, 0x110
	s_delay_alu instid0(VALU_DEP_2) | instskip(NEXT) | instid1(VALU_DEP_1)
	v_add_co_u32 v0, s0, v0, v2
	v_add_co_ci_u32_e64 v2, s0, v4, v3, s0
	s_add_i32 s24, s24, s1
	s_delay_alu instid0(VALU_DEP_2) | instskip(NEXT) | instid1(VALU_DEP_1)
	v_add_co_u32 v0, s0, 0xffffff00, v0
	v_add_co_ci_u32_e64 v2, s0, -1, v2, s0
	s_mul_i32 s1, s17, 0x110
	s_delay_alu instid0(VALU_DEP_2) | instskip(NEXT) | instid1(VALU_DEP_1)
	v_add_co_u32 v3, s0, v0, s6
	v_add_co_ci_u32_e64 v8, s0, s7, v2, s0
	v_add_co_u32 v0, s0, v0, v73
	s_delay_alu instid0(VALU_DEP_1) | instskip(NEXT) | instid1(VALU_DEP_4)
	v_add_co_ci_u32_e64 v2, s0, 0, v2, s0
	v_add_co_u32 v9, s0, v3, -8
	s_add_i32 s27, s27, s1
	s_mul_i32 s1, s17, 0x118
	s_mul_hi_u32 s29, s16, 0x118
	v_and_b32_e32 v5, 15, v26
	v_lshrrev_b32_e32 v6, 4, v27
	v_lshlrev_b32_e32 v4, 3, v7
	v_add_co_ci_u32_e64 v3, s0, -1, v8, s0
	s_add_i32 s29, s29, s1
	s_mul_i32 s1, s17, 0x180
	s_mul_hi_u32 s31, s16, 0x180
	s_mul_hi_u32 s34, s16, 0x190
	s_add_i32 s31, s31, s1
	s_mul_i32 s1, s17, 0x190
	s_lshl_b64 s[4:5], s[4:5], 3
	v_dual_cndmask_b32 v3, v2, v3 :: v_dual_lshlrev_b32 v8, 5, v6
	v_cndmask_b32_e32 v2, v0, v9, vcc_lo
	v_or_b32_e32 v0, 0x78, v73
	v_mad_u32_u24 v78, 0x218, v5, v4
	v_lshlrev_b32_e32 v4, 3, v6
	s_add_i32 s34, s34, s1
	s_mul_i32 s1, s17, 0x198
	s_mul_hi_u32 s36, s16, 0x198
	v_sub_co_u32 v76, s0, v20, s4
	s_add_i32 s36, s36, s1
	s_mul_i32 s1, s17, 0x188
	s_mul_hi_u32 s38, s16, 0x188
	v_subrev_co_ci_u32_e64 v77, s0, s5, v21, s0
	s_add_i32 s38, s38, s1
	s_mul_i32 s1, s17, 0x108
	s_mul_hi_u32 s40, s16, 0x108
	v_dual_mov_b32 v1, 0 :: v_dual_add_nc_u32 v74, 0x2180, v73
	v_add_nc_u32_e32 v75, 0x2380, v73
	v_cmp_gt_u32_e64 s0, 64, v27
	v_mad_u32_u24 v79, 0x218, v5, v0
	v_mad_u32_u24 v80, 0x218, v5, v8
	v_lshl_add_u32 v81, v72, 5, 0x2180
	v_mad_u32_u24 v82, 0x860, v72, v73
	v_mad_u32_u24 v83, 0x218, v5, v4
	v_or_b32_e32 v84, v7, v5
	s_lshl_b64 s[4:5], s[16:17], 3
	s_lshl_b64 s[6:7], s[16:17], 4
	;; [unrolled: 1-line block ×4, first 2 shown]
	s_add_i32 s40, s40, s1
	s_mul_i32 s1, s17, 0x88
	s_mul_hi_u32 s17, s16, 0x88
	s_mul_i32 s21, s16, 24
	s_mul_i32 s23, s16, 0x90
	;; [unrolled: 1-line block ×10, first 2 shown]
	s_add_i32 s17, s17, s1
	s_mulk_i32 s16, 0x88
	s_mov_b32 s42, 0
	s_branch .LBB186_103
.LBB186_102:                            ;   in Loop: Header=BB186_103 Depth=1
	s_or_b32 exec_lo, exec_lo, s43
	v_dual_mul_f32 v0, v13, v5 :: v_dual_mul_f32 v85, v31, v11
	v_mul_f32_e32 v13, v13, v4
	v_dual_mul_f32 v31, v31, v10 :: v_dual_mul_f32 v86, v29, v9
	s_delay_alu instid0(VALU_DEP_3) | instskip(SKIP_3) | instid1(VALU_DEP_4)
	v_fma_f32 v0, v12, v4, -v0
	v_dual_mul_f32 v4, v29, v8 :: v_dual_mul_f32 v29, v27, v7
	v_mul_f32_e32 v27, v27, v6
	v_fma_f32 v10, v30, v10, -v85
	v_add_f32_e32 v0, v18, v0
	v_mul_f32_e32 v18, v43, v25
	v_fmac_f32_e32 v13, v12, v5
	v_mul_f32_e32 v43, v43, v24
	v_fma_f32 v5, v28, v8, -v86
	v_add_f32_e32 v0, v0, v10
	v_mul_f32_e32 v8, v47, v23
	v_dual_fmac_f32 v31, v30, v11 :: v_dual_add_f32 v10, v19, v13
	v_fma_f32 v6, v26, v6, -v29
	s_delay_alu instid0(VALU_DEP_4) | instskip(NEXT) | instid1(VALU_DEP_3)
	v_dual_add_f32 v0, v0, v5 :: v_dual_mul_f32 v5, v47, v22
	v_dual_fmac_f32 v4, v28, v9 :: v_dual_add_f32 v9, v10, v31
	v_fma_f32 v10, v42, v24, -v18
	s_delay_alu instid0(VALU_DEP_3) | instskip(SKIP_1) | instid1(VALU_DEP_4)
	v_dual_add_f32 v0, v0, v6 :: v_dual_fmac_f32 v27, v26, v7
	v_fma_f32 v7, v46, v22, -v8
	v_dual_add_f32 v4, v9, v4 :: v_dual_fmac_f32 v43, v42, v25
	s_delay_alu instid0(VALU_DEP_3) | instskip(SKIP_1) | instid1(VALU_DEP_3)
	v_add_f32_e32 v0, v0, v10
	v_dual_mul_f32 v6, v45, v21 :: v_dual_fmac_f32 v5, v46, v23
	v_add_f32_e32 v4, v4, v27
	v_add_co_u32 v2, s1, v2, s8
	s_delay_alu instid0(VALU_DEP_4) | instskip(NEXT) | instid1(VALU_DEP_3)
	v_dual_add_f32 v0, v0, v7 :: v_dual_mul_f32 v7, v45, v20
	v_add_f32_e32 v4, v4, v43
	v_mul_f32_e32 v8, v41, v15
	v_fma_f32 v6, v44, v20, -v6
	v_add_co_ci_u32_e64 v3, s1, s9, v3, s1
	v_fmac_f32_e32 v7, v44, v21
	v_dual_add_f32 v4, v4, v5 :: v_dual_mul_f32 v5, v41, v14
	v_fma_f32 v8, v40, v14, -v8
	s_add_i32 s14, s14, -1
	s_add_i32 s42, s42, 64
	s_delay_alu instid0(VALU_DEP_2)
	v_add_f32_e32 v4, v4, v7
	v_fmac_f32_e32 v5, v40, v15
	v_mul_f32_e32 v7, v57, v38
	v_mul_f32_e32 v9, v67, v48
	s_cmp_eq_u32 s14, 0
	s_waitcnt_vscnt null, 0x0
	v_dual_add_f32 v4, v4, v5 :: v_dual_mul_f32 v5, v63, v36
	v_add_f32_e32 v0, v0, v6
	v_mul_f32_e32 v6, v57, v39
	v_fmac_f32_e32 v7, v56, v39
	s_barrier
	s_delay_alu instid0(VALU_DEP_3)
	v_dual_fmac_f32 v5, v62, v37 :: v_dual_add_f32 v0, v0, v8
	v_mul_f32_e32 v8, v63, v37
	v_fma_f32 v6, v56, v38, -v6
	v_dual_add_f32 v4, v4, v7 :: v_dual_fmac_f32 v9, v66, v49
	v_mul_f32_e32 v7, v61, v34
	buffer_gl0_inv
	v_dual_add_f32 v4, v4, v5 :: v_dual_mul_f32 v5, v65, v55
	v_add_f32_e32 v0, v0, v6
	v_fma_f32 v6, v62, v36, -v8
	v_mul_f32_e32 v8, v61, v35
	v_fmac_f32_e32 v7, v60, v35
	v_fma_f32 v5, v64, v54, -v5
	s_delay_alu instid0(VALU_DEP_4) | instskip(NEXT) | instid1(VALU_DEP_4)
	v_add_f32_e32 v0, v0, v6
	v_fma_f32 v6, v60, v34, -v8
	v_mul_f32_e32 v8, v59, v33
	s_delay_alu instid0(VALU_DEP_2) | instskip(NEXT) | instid1(VALU_DEP_2)
	v_add_f32_e32 v0, v0, v6
	v_fma_f32 v6, v58, v32, -v8
	v_mul_f32_e32 v8, v59, v32
	v_dual_add_f32 v4, v4, v7 :: v_dual_mul_f32 v7, v65, v54
	s_delay_alu instid0(VALU_DEP_3) | instskip(NEXT) | instid1(VALU_DEP_2)
	v_add_f32_e32 v0, v0, v6
	v_dual_mul_f32 v6, v71, v53 :: v_dual_fmac_f32 v7, v64, v55
	s_delay_alu instid0(VALU_DEP_2) | instskip(NEXT) | instid1(VALU_DEP_2)
	v_add_f32_e32 v0, v0, v5
	v_fma_f32 v5, v70, v52, -v6
	v_mul_f32_e32 v6, v71, v52
	s_delay_alu instid0(VALU_DEP_2) | instskip(SKIP_1) | instid1(VALU_DEP_2)
	v_dual_add_f32 v0, v0, v5 :: v_dual_mul_f32 v5, v69, v50
	v_fmac_f32_e32 v8, v58, v33
	v_dual_fmac_f32 v6, v70, v53 :: v_dual_fmac_f32 v5, v68, v51
	s_delay_alu instid0(VALU_DEP_2) | instskip(SKIP_1) | instid1(VALU_DEP_2)
	v_add_f32_e32 v4, v4, v8
	v_mul_f32_e32 v8, v69, v51
	v_add_f32_e32 v4, v4, v7
	s_delay_alu instid0(VALU_DEP_2) | instskip(SKIP_1) | instid1(VALU_DEP_3)
	v_fma_f32 v7, v68, v50, -v8
	v_mul_f32_e32 v8, v67, v49
	v_add_f32_e32 v4, v4, v6
	s_delay_alu instid0(VALU_DEP_3) | instskip(NEXT) | instid1(VALU_DEP_3)
	v_add_f32_e32 v0, v0, v7
	v_fma_f32 v6, v66, v48, -v8
	s_delay_alu instid0(VALU_DEP_3) | instskip(NEXT) | instid1(VALU_DEP_2)
	v_add_f32_e32 v4, v4, v5
	v_add_f32_e32 v18, v0, v6
	s_delay_alu instid0(VALU_DEP_2)
	v_add_f32_e32 v19, v4, v9
	s_cbranch_scc1 .LBB186_107
.LBB186_103:                            ; =>This Inner Loop Header: Depth=1
	s_and_saveexec_b32 s43, s3
	s_cbranch_execz .LBB186_105
; %bb.104:                              ;   in Loop: Header=BB186_103 Depth=1
	s_mul_i32 s1, s42, s11
	s_mul_hi_u32 s45, s42, s10
	s_mul_i32 s44, s42, s10
	s_add_i32 s45, s45, s1
	s_delay_alu instid0(SALU_CYCLE_1) | instskip(NEXT) | instid1(SALU_CYCLE_1)
	s_lshl_b64 s[44:45], s[44:45], 3
	v_add_co_u32 v4, s1, v76, s44
	s_delay_alu instid0(VALU_DEP_1)
	v_add_co_ci_u32_e64 v5, s1, s45, v77, s1
	flat_load_b64 v[4:5], v[4:5]
	s_waitcnt vmcnt(0) lgkmcnt(0)
	ds_store_b64 v74, v[4:5]
.LBB186_105:                            ;   in Loop: Header=BB186_103 Depth=1
	s_or_b32 exec_lo, exec_lo, s43
	v_add_co_u32 v6, s1, v2, s4
	s_delay_alu instid0(VALU_DEP_1) | instskip(SKIP_1) | instid1(VALU_DEP_1)
	v_add_co_ci_u32_e64 v7, s1, s5, v3, s1
	v_add_co_u32 v8, s1, v2, s6
	v_add_co_ci_u32_e64 v9, s1, s7, v3, s1
	v_add_co_u32 v12, s1, v2, s21
	s_delay_alu instid0(VALU_DEP_1)
	v_add_co_ci_u32_e64 v13, s1, s20, v3, s1
	s_waitcnt lgkmcnt(0)
	s_barrier
	buffer_gl0_inv
	s_clause 0x3
	flat_load_b64 v[4:5], v[2:3]
	flat_load_b64 v[10:11], v[6:7]
	;; [unrolled: 1-line block ×4, first 2 shown]
	ds_load_b64 v[14:15], v75
	ds_load_b64 v[12:13], v81
	v_add_co_u32 v20, s1, v2, s18
	s_delay_alu instid0(VALU_DEP_1) | instskip(SKIP_1) | instid1(VALU_DEP_1)
	v_add_co_ci_u32_e64 v21, s1, s19, v3, s1
	v_add_co_u32 v22, s1, v2, s16
	v_add_co_ci_u32_e64 v23, s1, s17, v3, s1
	v_add_co_u32 v32, s1, v2, s23
	s_delay_alu instid0(VALU_DEP_1)
	v_add_co_ci_u32_e64 v33, s1, s22, v3, s1
	s_waitcnt vmcnt(0) lgkmcnt(1)
	v_dual_mul_f32 v0, v15, v5 :: v_dual_mul_f32 v37, v14, v7
	v_mul_f32_e32 v35, v15, v8
	v_mul_f32_e32 v26, v15, v10
	;; [unrolled: 1-line block ×3, first 2 shown]
	s_delay_alu instid0(VALU_DEP_4) | instskip(NEXT) | instid1(VALU_DEP_4)
	v_fma_f32 v24, v14, v4, -v0
	v_dual_mul_f32 v0, v15, v11 :: v_dual_fmac_f32 v35, v14, v9
	s_delay_alu instid0(VALU_DEP_4) | instskip(SKIP_3) | instid1(VALU_DEP_4)
	v_dual_mul_f32 v25, v15, v4 :: v_dual_fmac_f32 v26, v14, v11
	v_mul_f32_e32 v28, v15, v7
	v_fma_f32 v34, v14, v8, -v27
	v_fmac_f32_e32 v37, v15, v6
	v_fmac_f32_e32 v25, v14, v5
	s_delay_alu instid0(VALU_DEP_4) | instskip(SKIP_4) | instid1(VALU_DEP_1)
	v_fma_f32 v36, v14, v6, -v28
	ds_store_b64 v82, v[24:25]
	v_fma_f32 v25, v14, v10, -v0
	ds_load_b64 v[30:31], v81 offset:8
	v_add_co_u32 v14, s1, v2, s25
	v_add_co_ci_u32_e64 v15, s1, s24, v3, s1
	ds_store_b64 v82, v[25:26] offset:536
	ds_load_b64 v[28:29], v81 offset:16
	ds_store_b64 v82, v[34:35] offset:1072
	ds_load_b64 v[26:27], v81 offset:24
	ds_store_b64 v82, v[36:37] offset:1608
	s_waitcnt lgkmcnt(0)
	s_barrier
	buffer_gl0_inv
	ds_load_2addr_b64 v[85:88], v80 offset1:1
	ds_load_2addr_b64 v[89:92], v80 offset0:2 offset1:3
	s_waitcnt lgkmcnt(0)
	s_barrier
	buffer_gl0_inv
	s_clause 0x3
	flat_load_b64 v[24:25], v[20:21]
	flat_load_b64 v[22:23], v[22:23]
	;; [unrolled: 1-line block ×4, first 2 shown]
	ds_load_b64 v[32:33], v75
	ds_load_b64 v[42:43], v81 offset:128
	v_add_co_u32 v34, s1, v2, s12
	s_delay_alu instid0(VALU_DEP_1) | instskip(SKIP_1) | instid1(VALU_DEP_1)
	v_add_co_ci_u32_e64 v35, s1, s13, v3, s1
	v_add_co_u32 v36, s1, v2, s41
	v_add_co_ci_u32_e64 v37, s1, s40, v3, s1
	v_add_co_u32 v48, s1, v2, s28
	s_delay_alu instid0(VALU_DEP_1)
	v_add_co_ci_u32_e64 v49, s1, s27, v3, s1
	s_waitcnt vmcnt(2) lgkmcnt(1)
	v_mul_f32_e32 v40, v33, v23
	v_mul_f32_e32 v0, v33, v25
	v_mul_f32_e32 v39, v33, v24
	v_mul_f32_e32 v41, v33, v22
	s_waitcnt vmcnt(1)
	v_mul_f32_e32 v44, v33, v21
	v_mul_f32_e32 v51, v33, v20
	s_waitcnt vmcnt(0)
	v_mul_f32_e32 v45, v33, v15
	v_mul_f32_e32 v53, v32, v15
	v_fma_f32 v38, v32, v24, -v0
	v_fmac_f32_e32 v39, v32, v25
	v_fma_f32 v40, v32, v22, -v40
	v_fmac_f32_e32 v41, v32, v23
	;; [unrolled: 2-line block ×4, first 2 shown]
	ds_store_b64 v82, v[38:39]
	ds_load_b64 v[46:47], v81 offset:136
	ds_store_b64 v82, v[40:41] offset:536
	ds_load_b64 v[44:45], v81 offset:144
	ds_store_b64 v82, v[50:51] offset:1072
	;; [unrolled: 2-line block ×3, first 2 shown]
	s_waitcnt lgkmcnt(0)
	s_barrier
	buffer_gl0_inv
	ds_load_2addr_b64 v[93:96], v80 offset1:1
	ds_load_2addr_b64 v[97:100], v80 offset0:2 offset1:3
	s_waitcnt lgkmcnt(0)
	s_barrier
	buffer_gl0_inv
	flat_load_b64 v[38:39], v[34:35]
	v_add_co_u32 v32, s1, v2, s30
	s_delay_alu instid0(VALU_DEP_1)
	v_add_co_ci_u32_e64 v33, s1, s29, v3, s1
	s_clause 0x2
	flat_load_b64 v[36:37], v[36:37]
	flat_load_b64 v[34:35], v[48:49]
	;; [unrolled: 1-line block ×3, first 2 shown]
	ds_load_b64 v[48:49], v75
	ds_load_b64 v[56:57], v81 offset:256
	v_add_co_u32 v50, s1, v2, s33
	s_delay_alu instid0(VALU_DEP_1) | instskip(SKIP_1) | instid1(VALU_DEP_1)
	v_add_co_ci_u32_e64 v51, s1, s31, v3, s1
	v_add_co_u32 v52, s1, v2, s39
	v_add_co_ci_u32_e64 v53, s1, s38, v3, s1
	v_add_co_u32 v64, s1, v2, s35
	s_delay_alu instid0(VALU_DEP_1)
	v_add_co_ci_u32_e64 v65, s1, s34, v3, s1
	v_add_f32_e32 v94, 0, v94
	s_waitcnt vmcnt(3) lgkmcnt(1)
	v_mul_f32_e32 v0, v49, v39
	v_mul_f32_e32 v55, v49, v38
	s_waitcnt vmcnt(2)
	v_mul_f32_e32 v58, v49, v37
	s_delay_alu instid0(VALU_DEP_3)
	v_fma_f32 v54, v48, v38, -v0
	s_waitcnt vmcnt(0)
	v_mul_f32_e32 v69, v48, v33
	v_dual_add_f32 v0, 0, v85 :: v_dual_mul_f32 v59, v49, v36
	v_mul_f32_e32 v60, v49, v35
	v_mul_f32_e32 v67, v49, v34
	s_delay_alu instid0(VALU_DEP_3)
	v_dual_fmac_f32 v69, v49, v32 :: v_dual_add_f32 v0, v0, v87
	v_mul_f32_e32 v61, v49, v33
	v_fmac_f32_e32 v55, v48, v39
	v_fma_f32 v58, v48, v36, -v58
	v_fmac_f32_e32 v59, v48, v37
	v_fma_f32 v66, v48, v34, -v60
	v_fmac_f32_e32 v67, v48, v35
	v_dual_add_f32 v113, 0, v86 :: v_dual_add_f32 v0, v0, v89
	v_fma_f32 v68, v48, v32, -v61
	ds_store_b64 v82, v[54:55]
	ds_load_b64 v[62:63], v81 offset:264
	ds_store_b64 v82, v[58:59] offset:536
	v_add_co_u32 v48, s1, v2, s37
	ds_load_b64 v[60:61], v81 offset:272
	v_dual_add_f32 v89, v0, v91 :: v_dual_add_f32 v0, v94, v96
	ds_store_b64 v82, v[66:67] offset:1072
	ds_load_b64 v[58:59], v81 offset:280
	ds_store_b64 v82, v[68:69] offset:1608
	s_waitcnt lgkmcnt(0)
	s_barrier
	buffer_gl0_inv
	ds_load_2addr_b64 v[101:104], v80 offset1:1
	ds_load_2addr_b64 v[105:108], v80 offset0:2 offset1:3
	s_waitcnt lgkmcnt(0)
	s_barrier
	buffer_gl0_inv
	flat_load_b64 v[54:55], v[50:51]
	v_add_co_ci_u32_e64 v49, s1, s36, v3, s1
	s_clause 0x2
	flat_load_b64 v[52:53], v[52:53]
	flat_load_b64 v[50:51], v[64:65]
	;; [unrolled: 1-line block ×3, first 2 shown]
	ds_load_b64 v[66:67], v75
	ds_load_b64 v[64:65], v81 offset:384
	v_add_f32_e32 v0, v0, v98
	s_waitcnt vmcnt(3) lgkmcnt(1)
	v_mul_f32_e32 v68, v67, v55
	v_mul_f32_e32 v69, v67, v54
	s_waitcnt vmcnt(2)
	v_mul_f32_e32 v70, v67, v53
	v_mul_f32_e32 v86, v67, v52
	s_waitcnt vmcnt(1)
	v_mul_f32_e32 v71, v67, v51
	v_mul_f32_e32 v110, v67, v50
	s_waitcnt vmcnt(0)
	v_mul_f32_e32 v111, v67, v49
	v_mul_f32_e32 v112, v66, v49
	v_fma_f32 v68, v66, v54, -v68
	v_fmac_f32_e32 v69, v66, v55
	v_fma_f32 v85, v66, v52, -v70
	v_fmac_f32_e32 v86, v66, v53
	;; [unrolled: 2-line block ×4, first 2 shown]
	ds_store_b64 v82, v[68:69]
	ds_load_b64 v[70:71], v81 offset:392
	ds_store_b64 v82, v[85:86] offset:536
	ds_load_b64 v[68:69], v81 offset:400
	ds_store_b64 v82, v[109:110] offset:1072
	;; [unrolled: 2-line block ×3, first 2 shown]
	s_waitcnt lgkmcnt(0)
	s_barrier
	buffer_gl0_inv
	ds_load_2addr_b64 v[109:112], v80 offset1:1
	v_add_f32_e32 v85, v113, v88
	s_delay_alu instid0(VALU_DEP_1)
	v_add_f32_e32 v90, v85, v90
	ds_load_2addr_b64 v[85:88], v80 offset0:2 offset1:3
	s_waitcnt lgkmcnt(0)
	s_barrier
	buffer_gl0_inv
	v_add_f32_e32 v90, v90, v92
	v_add_f32_e32 v92, 0, v101
	s_delay_alu instid0(VALU_DEP_1) | instskip(SKIP_2) | instid1(VALU_DEP_3)
	v_add_f32_e32 v92, v92, v103
	v_add_f32_e32 v94, 0, v109
	;; [unrolled: 1-line block ×5, first 2 shown]
	s_delay_alu instid0(VALU_DEP_4) | instskip(NEXT) | instid1(VALU_DEP_4)
	v_add_f32_e32 v94, v94, v111
	v_add_f32_e32 v93, v93, v95
	s_delay_alu instid0(VALU_DEP_2) | instskip(NEXT) | instid1(VALU_DEP_2)
	v_dual_add_f32 v95, 0, v110 :: v_dual_add_f32 v94, v94, v85
	v_add_f32_e32 v91, v93, v97
	s_delay_alu instid0(VALU_DEP_2) | instskip(SKIP_1) | instid1(VALU_DEP_4)
	v_add_f32_e32 v95, v95, v112
	v_add_f32_e32 v85, v96, v107
	;; [unrolled: 1-line block ×3, first 2 shown]
	s_delay_alu instid0(VALU_DEP_4) | instskip(NEXT) | instid1(VALU_DEP_4)
	v_add_f32_e32 v91, v91, v99
	v_add_f32_e32 v95, v95, v86
	s_delay_alu instid0(VALU_DEP_1) | instskip(NEXT) | instid1(VALU_DEP_1)
	v_dual_add_f32 v93, 0, v102 :: v_dual_add_f32 v88, v95, v88
	v_add_f32_e32 v93, v93, v104
	s_delay_alu instid0(VALU_DEP_1) | instskip(NEXT) | instid1(VALU_DEP_1)
	v_add_f32_e32 v93, v93, v106
	v_add_f32_e32 v86, v93, v108
	ds_store_2addr_b64 v83, v[89:90], v[91:92] offset1:16
	ds_store_2addr_b64 v83, v[85:86], v[87:88] offset0:32 offset1:48
	s_waitcnt lgkmcnt(0)
	s_barrier
	buffer_gl0_inv
	s_and_saveexec_b32 s43, s0
	s_cbranch_execz .LBB186_102
; %bb.106:                              ;   in Loop: Header=BB186_103 Depth=1
	ds_load_b64 v[96:97], v78
	ds_load_2addr_b64 v[85:88], v78 offset0:1 offset1:2
	ds_load_2addr_b64 v[89:92], v78 offset0:3 offset1:4
	s_waitcnt lgkmcnt(1)
	v_dual_add_f32 v0, v85, v96 :: v_dual_add_f32 v85, v86, v97
	ds_load_2addr_b64 v[93:96], v78 offset0:5 offset1:6
	v_dual_add_f32 v0, v0, v87 :: v_dual_add_f32 v97, v85, v88
	ds_load_2addr_b64 v[85:88], v78 offset0:7 offset1:8
	s_waitcnt lgkmcnt(2)
	v_dual_add_f32 v0, v0, v89 :: v_dual_add_f32 v89, v97, v90
	s_delay_alu instid0(VALU_DEP_1) | instskip(SKIP_3) | instid1(VALU_DEP_1)
	v_dual_add_f32 v0, v0, v91 :: v_dual_add_f32 v97, v89, v92
	ds_load_2addr_b64 v[89:92], v78 offset0:9 offset1:10
	s_waitcnt lgkmcnt(2)
	v_dual_add_f32 v0, v0, v93 :: v_dual_add_f32 v93, v97, v94
	v_dual_add_f32 v0, v0, v95 :: v_dual_add_f32 v97, v93, v96
	ds_load_2addr_b64 v[93:96], v78 offset0:11 offset1:12
	s_waitcnt lgkmcnt(2)
	v_dual_add_f32 v0, v0, v85 :: v_dual_add_f32 v85, v97, v86
	s_delay_alu instid0(VALU_DEP_1) | instskip(SKIP_3) | instid1(VALU_DEP_1)
	v_dual_add_f32 v0, v0, v87 :: v_dual_add_f32 v97, v85, v88
	ds_load_2addr_b64 v[85:88], v78 offset0:13 offset1:14
	s_waitcnt lgkmcnt(2)
	v_dual_add_f32 v0, v0, v89 :: v_dual_add_f32 v89, v97, v90
	v_dual_add_f32 v0, v0, v91 :: v_dual_add_f32 v91, v89, v92
	ds_load_b64 v[89:90], v79
	s_waitcnt lgkmcnt(2)
	v_dual_add_f32 v0, v0, v93 :: v_dual_add_f32 v91, v91, v94
	s_delay_alu instid0(VALU_DEP_1) | instskip(SKIP_1) | instid1(VALU_DEP_1)
	v_dual_add_f32 v0, v0, v95 :: v_dual_add_f32 v91, v91, v96
	s_waitcnt lgkmcnt(1)
	v_dual_add_f32 v85, v0, v85 :: v_dual_add_f32 v86, v91, v86
	s_delay_alu instid0(VALU_DEP_1) | instskip(NEXT) | instid1(VALU_DEP_2)
	v_dual_add_f32 v87, v85, v87 :: v_dual_add_nc_u32 v0, s42, v84
	v_add_f32_e32 v88, v86, v88
	s_delay_alu instid0(VALU_DEP_2) | instskip(SKIP_1) | instid1(VALU_DEP_2)
	v_lshlrev_b64 v[85:86], 3, v[0:1]
	s_waitcnt lgkmcnt(0)
	v_dual_add_f32 v87, v87, v89 :: v_dual_add_f32 v88, v88, v90
	s_delay_alu instid0(VALU_DEP_2) | instskip(NEXT) | instid1(VALU_DEP_1)
	v_add_co_u32 v85, s1, s15, v85
	v_add_co_ci_u32_e64 v86, s1, s26, v86, s1
	global_store_b64 v[85:86], v[87:88], off
	s_branch .LBB186_102
.LBB186_107:
	v_mad_u32_u24 v0, 0x218, v72, v73
	s_or_b32 s0, s2, vcc_lo
	s_delay_alu instid0(SALU_CYCLE_1)
	s_xor_b32 s0, s0, -1
	ds_store_b64 v0, v[18:19]
	s_waitcnt lgkmcnt(0)
	s_barrier
	buffer_gl0_inv
	s_and_saveexec_b32 s1, s0
	s_cbranch_execz .LBB186_109
; %bb.108:
	ds_load_2addr_b64 v[0:3], v73 offset1:67
	ds_load_2addr_b64 v[4:7], v73 offset0:134 offset1:201
	s_waitcnt lgkmcnt(1)
	v_dual_add_f32 v0, v2, v0 :: v_dual_add_f32 v1, v3, v1
	s_waitcnt lgkmcnt(0)
	s_delay_alu instid0(VALU_DEP_1) | instskip(SKIP_1) | instid1(VALU_DEP_2)
	v_dual_add_f32 v2, v0, v4 :: v_dual_add_f32 v3, v1, v5
	v_lshlrev_b64 v[0:1], 3, v[16:17]
	v_dual_add_f32 v2, v2, v6 :: v_dual_add_f32 v3, v3, v7
	s_delay_alu instid0(VALU_DEP_2) | instskip(NEXT) | instid1(VALU_DEP_3)
	v_add_co_u32 v0, vcc_lo, s15, v0
	v_add_co_ci_u32_e32 v1, vcc_lo, s26, v1, vcc_lo
	global_store_b64 v[0:1], v[2:3], off
.LBB186_109:
	s_nop 0
	s_sendmsg sendmsg(MSG_DEALLOC_VGPRS)
	s_endpgm
	.section	.rodata,"a",@progbits
	.p2align	6, 0x0
	.amdhsa_kernel _ZL26rocblas_hemvn_kernel_lowerILb0ELi64ELi4ELi33ELi32ELi16El19rocblas_complex_numIfEPKPKS1_PS1_EviT6_lT7_lT5_lS8_lS9_lS7_lT8_i
		.amdhsa_group_segment_fixed_size 9600
		.amdhsa_private_segment_fixed_size 0
		.amdhsa_kernarg_size 376
		.amdhsa_user_sgpr_count 14
		.amdhsa_user_sgpr_dispatch_ptr 0
		.amdhsa_user_sgpr_queue_ptr 0
		.amdhsa_user_sgpr_kernarg_segment_ptr 1
		.amdhsa_user_sgpr_dispatch_id 0
		.amdhsa_user_sgpr_private_segment_size 0
		.amdhsa_wavefront_size32 1
		.amdhsa_uses_dynamic_stack 0
		.amdhsa_enable_private_segment 0
		.amdhsa_system_sgpr_workgroup_id_x 1
		.amdhsa_system_sgpr_workgroup_id_y 0
		.amdhsa_system_sgpr_workgroup_id_z 1
		.amdhsa_system_sgpr_workgroup_info 0
		.amdhsa_system_vgpr_workitem_id 1
		.amdhsa_next_free_vgpr 114
		.amdhsa_next_free_sgpr 46
		.amdhsa_reserve_vcc 1
		.amdhsa_float_round_mode_32 0
		.amdhsa_float_round_mode_16_64 0
		.amdhsa_float_denorm_mode_32 3
		.amdhsa_float_denorm_mode_16_64 3
		.amdhsa_dx10_clamp 1
		.amdhsa_ieee_mode 1
		.amdhsa_fp16_overflow 0
		.amdhsa_workgroup_processor_mode 1
		.amdhsa_memory_ordered 1
		.amdhsa_forward_progress 0
		.amdhsa_shared_vgpr_count 0
		.amdhsa_exception_fp_ieee_invalid_op 0
		.amdhsa_exception_fp_denorm_src 0
		.amdhsa_exception_fp_ieee_div_zero 0
		.amdhsa_exception_fp_ieee_overflow 0
		.amdhsa_exception_fp_ieee_underflow 0
		.amdhsa_exception_fp_ieee_inexact 0
		.amdhsa_exception_int_div_zero 0
	.end_amdhsa_kernel
	.section	.text._ZL26rocblas_hemvn_kernel_lowerILb0ELi64ELi4ELi33ELi32ELi16El19rocblas_complex_numIfEPKPKS1_PS1_EviT6_lT7_lT5_lS8_lS9_lS7_lT8_i,"axG",@progbits,_ZL26rocblas_hemvn_kernel_lowerILb0ELi64ELi4ELi33ELi32ELi16El19rocblas_complex_numIfEPKPKS1_PS1_EviT6_lT7_lT5_lS8_lS9_lS7_lT8_i,comdat
.Lfunc_end186:
	.size	_ZL26rocblas_hemvn_kernel_lowerILb0ELi64ELi4ELi33ELi32ELi16El19rocblas_complex_numIfEPKPKS1_PS1_EviT6_lT7_lT5_lS8_lS9_lS7_lT8_i, .Lfunc_end186-_ZL26rocblas_hemvn_kernel_lowerILb0ELi64ELi4ELi33ELi32ELi16El19rocblas_complex_numIfEPKPKS1_PS1_EviT6_lT7_lT5_lS8_lS9_lS7_lT8_i
                                        ; -- End function
	.section	.AMDGPU.csdata,"",@progbits
; Kernel info:
; codeLenInByte = 8620
; NumSgprs: 48
; NumVgprs: 114
; ScratchSize: 0
; MemoryBound: 1
; FloatMode: 240
; IeeeMode: 1
; LDSByteSize: 9600 bytes/workgroup (compile time only)
; SGPRBlocks: 5
; VGPRBlocks: 14
; NumSGPRsForWavesPerEU: 48
; NumVGPRsForWavesPerEU: 114
; Occupancy: 12
; WaveLimiterHint : 0
; COMPUTE_PGM_RSRC2:SCRATCH_EN: 0
; COMPUTE_PGM_RSRC2:USER_SGPR: 14
; COMPUTE_PGM_RSRC2:TRAP_HANDLER: 0
; COMPUTE_PGM_RSRC2:TGID_X_EN: 1
; COMPUTE_PGM_RSRC2:TGID_Y_EN: 0
; COMPUTE_PGM_RSRC2:TGID_Z_EN: 1
; COMPUTE_PGM_RSRC2:TIDIG_COMP_CNT: 1
	.section	.text._ZL26rocblas_hemvn_kernel_lowerILb0ELi64ELi4ELi33ELi32ELi16Ei19rocblas_complex_numIfEPKPKS1_PS1_EviT6_lT7_lT5_lS8_lS9_lS7_lT8_i,"axG",@progbits,_ZL26rocblas_hemvn_kernel_lowerILb0ELi64ELi4ELi33ELi32ELi16Ei19rocblas_complex_numIfEPKPKS1_PS1_EviT6_lT7_lT5_lS8_lS9_lS7_lT8_i,comdat
	.globl	_ZL26rocblas_hemvn_kernel_lowerILb0ELi64ELi4ELi33ELi32ELi16Ei19rocblas_complex_numIfEPKPKS1_PS1_EviT6_lT7_lT5_lS8_lS9_lS7_lT8_i ; -- Begin function _ZL26rocblas_hemvn_kernel_lowerILb0ELi64ELi4ELi33ELi32ELi16Ei19rocblas_complex_numIfEPKPKS1_PS1_EviT6_lT7_lT5_lS8_lS9_lS7_lT8_i
	.p2align	8
	.type	_ZL26rocblas_hemvn_kernel_lowerILb0ELi64ELi4ELi33ELi32ELi16Ei19rocblas_complex_numIfEPKPKS1_PS1_EviT6_lT7_lT5_lS8_lS9_lS7_lT8_i,@function
_ZL26rocblas_hemvn_kernel_lowerILb0ELi64ELi4ELi33ELi32ELi16Ei19rocblas_complex_numIfEPKPKS1_PS1_EviT6_lT7_lT5_lS8_lS9_lS7_lT8_i: ; @_ZL26rocblas_hemvn_kernel_lowerILb0ELi64ELi4ELi33ELi32ELi16Ei19rocblas_complex_numIfEPKPKS1_PS1_EviT6_lT7_lT5_lS8_lS9_lS7_lT8_i
; %bb.0:
	s_load_b64 s[4:5], s[0:1], 0x84
	s_add_u32 s2, s0, 0x78
	s_addc_u32 s3, s1, 0
	s_waitcnt lgkmcnt(0)
	s_lshr_b32 s6, s4, 16
	s_and_b32 s4, s4, 0xffff
	s_and_b32 s5, s5, 0xffff
	s_mul_i32 s4, s6, s4
	s_delay_alu instid0(SALU_CYCLE_1) | instskip(NEXT) | instid1(SALU_CYCLE_1)
	s_mul_i32 s4, s4, s5
	s_cmpk_lg_i32 s4, 0x100
	s_cbranch_scc1 .LBB187_109
; %bb.1:
	s_load_b64 s[4:5], s[0:1], 0x4
	s_mov_b32 s10, s15
	s_mov_b32 s7, 0
	s_waitcnt lgkmcnt(0)
	s_or_b32 s4, s4, s5
	s_delay_alu instid0(SALU_CYCLE_1) | instskip(NEXT) | instid1(SALU_CYCLE_1)
	s_bitset0_b32 s4, 31
	s_cmp_lg_u32 s4, 0
	s_cselect_b32 s6, -1, 0
	s_delay_alu instid0(SALU_CYCLE_1)
	s_and_b32 vcc_lo, exec_lo, s6
	s_cbranch_vccnz .LBB187_4
; %bb.2:
	s_load_b64 s[4:5], s[0:1], 0x58
	s_mov_b32 s8, 0
	s_waitcnt lgkmcnt(0)
	v_cmp_eq_f32_e64 s4, s4, 1.0
	v_cmp_eq_f32_e64 s5, s5, 0
	s_delay_alu instid0(VALU_DEP_1) | instskip(NEXT) | instid1(SALU_CYCLE_1)
	s_and_b32 s4, s4, s5
	s_and_not1_b32 vcc_lo, exec_lo, s4
                                        ; implicit-def: $sgpr4_sgpr5
	s_cbranch_vccz .LBB187_5
; %bb.3:
	s_mov_b32 s7, -1
	s_mov_b64 s[4:5], 0
	s_branch .LBB187_5
.LBB187_4:
	s_mov_b32 s8, -1
                                        ; implicit-def: $sgpr4_sgpr5
.LBB187_5:
	s_delay_alu instid0(SALU_CYCLE_1)
	s_and_b32 vcc_lo, exec_lo, s8
	s_cbranch_vccz .LBB187_7
; %bb.6:
	s_load_b128 s[16:19], s[0:1], 0x18
	s_mov_b32 s11, 0
	s_mov_b32 s7, -1
	s_lshl_b64 s[4:5], s[10:11], 3
	s_waitcnt lgkmcnt(0)
	s_add_u32 s4, s16, s4
	s_addc_u32 s5, s17, s5
	s_lshl_b64 s[8:9], s[18:19], 3
	s_load_b64 s[4:5], s[4:5], 0x0
	s_waitcnt lgkmcnt(0)
	s_add_u32 s4, s4, s8
	s_addc_u32 s5, s5, s9
.LBB187_7:
	s_and_not1_b32 vcc_lo, exec_lo, s7
	s_cbranch_vccnz .LBB187_109
; %bb.8:
	v_cndmask_b32_e64 v1, 0, 1, s6
	s_and_not1_b32 vcc_lo, exec_lo, s6
	s_mov_b64 s[6:7], 0
	s_cbranch_vccnz .LBB187_10
; %bb.9:
	s_load_b128 s[16:19], s[0:1], 0x38
	s_mov_b32 s11, 0
	s_delay_alu instid0(SALU_CYCLE_1)
	s_lshl_b64 s[6:7], s[10:11], 3
	s_waitcnt lgkmcnt(0)
	s_add_u32 s6, s16, s6
	s_addc_u32 s7, s17, s7
	s_lshl_b64 s[8:9], s[18:19], 3
	s_load_b64 s[6:7], s[6:7], 0x0
	s_waitcnt lgkmcnt(0)
	s_add_u32 s6, s6, s8
	s_addc_u32 s7, s7, s9
.LBB187_10:
	s_delay_alu instid0(VALU_DEP_1)
	v_cmp_ne_u32_e32 vcc_lo, 1, v1
	s_cbranch_vccnz .LBB187_109
; %bb.11:
	s_clause 0x1
	s_load_b32 s11, s[0:1], 0x48
	s_load_b32 s15, s[0:1], 0x0
	v_and_b32_e32 v25, 0x3ff, v0
	s_lshl_b32 s18, s14, 6
	s_load_b32 s26, s[2:3], 0x0
	v_bfe_u32 v71, v0, 10, 10
	s_delay_alu instid0(VALU_DEP_2) | instskip(SKIP_1) | instid1(VALU_DEP_1)
	v_add_nc_u32_e32 v16, s18, v25
	s_waitcnt lgkmcnt(0)
	v_mul_lo_u32 v1, v16, s11
	s_ashr_i32 s27, s15, 31
	s_delay_alu instid0(SALU_CYCLE_1) | instskip(SKIP_4) | instid1(VALU_DEP_2)
	s_lshr_b32 s2, s27, 26
	s_add_i32 s8, s26, -1
	s_add_i32 s3, s15, s2
	v_cmp_ne_u32_e64 s2, 0, v71
	s_and_not1_b32 s3, s3, 63
	v_ashrrev_i32_e32 v2, 31, v1
	s_sub_i32 s9, s15, s3
	v_cmp_eq_u32_e64 s3, 0, v71
	s_cmp_eq_u32 s14, s8
	s_cselect_b32 s16, s9, 0
	v_lshlrev_b64 v[0:1], 3, v[1:2]
	s_delay_alu instid0(VALU_DEP_1) | instskip(NEXT) | instid1(VALU_DEP_2)
	v_add_co_u32 v19, vcc_lo, s6, v0
	v_add_co_ci_u32_e32 v20, vcc_lo, s7, v1, vcc_lo
	s_mov_b32 s6, -1
	s_and_saveexec_b32 s7, s3
	s_cbranch_execz .LBB187_16
; %bb.12:
	v_cmp_le_i32_e32 vcc_lo, s16, v25
	s_cmp_lg_u32 s16, 0
	v_lshl_add_u32 v0, v25, 3, 0x2380
	s_cselect_b32 s8, -1, 0
	s_delay_alu instid0(SALU_CYCLE_1) | instskip(NEXT) | instid1(SALU_CYCLE_1)
	s_and_b32 s8, s8, vcc_lo
	s_and_saveexec_b32 s9, s8
	s_delay_alu instid0(SALU_CYCLE_1)
	s_xor_b32 s8, exec_lo, s9
	s_cbranch_execz .LBB187_14
; %bb.13:
	v_mov_b32_e32 v1, 0
	s_delay_alu instid0(VALU_DEP_1)
	v_mov_b32_e32 v2, v1
	ds_store_b64 v0, v[1:2]
                                        ; implicit-def: $vgpr0
.LBB187_14:
	s_and_not1_saveexec_b32 s8, s8
	s_cbranch_execz .LBB187_16
; %bb.15:
	flat_load_b64 v[1:2], v[19:20]
	s_waitcnt vmcnt(0) lgkmcnt(0)
	ds_store_b64 v0, v[1:2]
.LBB187_16:
	s_or_b32 exec_lo, exec_lo, s7
	s_load_b32 s12, s[0:1], 0x28
	v_lshl_add_u32 v26, v71, 6, v25
	v_and_b32_e32 v0, 31, v25
	s_ashr_i32 s19, s18, 31
	s_delay_alu instid0(SALU_CYCLE_1) | instskip(NEXT) | instid1(VALU_DEP_2)
	s_lshl_b64 s[8:9], s[18:19], 3
	v_lshrrev_b32_e32 v5, 5, v26
	s_add_u32 s7, s4, s8
	s_addc_u32 s8, s5, s9
	s_waitcnt lgkmcnt(0)
	s_delay_alu instid0(VALU_DEP_1) | instskip(SKIP_1) | instid1(SALU_CYCLE_1)
	v_mad_u64_u32 v[1:2], null, v5, s12, v[0:1]
	s_mul_i32 s4, s18, s12
	s_ashr_i32 s5, s4, 31
	s_delay_alu instid0(SALU_CYCLE_1) | instskip(NEXT) | instid1(SALU_CYCLE_1)
	s_lshl_b64 s[20:21], s[4:5], 3
	s_add_u32 s4, s20, s7
	s_delay_alu instid0(VALU_DEP_1) | instskip(SKIP_3) | instid1(VALU_DEP_1)
	v_ashrrev_i32_e32 v2, 31, v1
	s_addc_u32 s5, s21, s8
	s_cmp_lg_u32 s16, 0
	s_cselect_b32 s19, -1, 0
	v_lshlrev_b64 v[21:22], 3, v[1:2]
	s_cmp_eq_u32 s16, 0
	s_cselect_b32 s9, -1, 0
	s_delay_alu instid0(VALU_DEP_1) | instskip(NEXT) | instid1(VALU_DEP_2)
	v_add_co_u32 v1, vcc_lo, s4, v21
	v_add_co_ci_u32_e32 v2, vcc_lo, s5, v22, vcc_lo
	s_and_b32 vcc_lo, exec_lo, s19
	s_cbranch_vccnz .LBB187_18
; %bb.17:
	flat_load_b64 v[3:4], v[1:2]
	s_lshl_b32 s4, s12, 3
	v_mul_u32_u24_e32 v6, 33, v5
	s_ashr_i32 s5, s4, 31
	s_ashr_i32 s13, s12, 31
	s_lshl_b64 s[4:5], s[4:5], 3
	s_mov_b32 s6, 0
	v_add_lshl_u32 v8, v6, v0, 3
	v_add_co_u32 v6, vcc_lo, v1, s4
	v_add_co_ci_u32_e32 v7, vcc_lo, s5, v2, vcc_lo
	s_lshl_b64 s[4:5], s[12:13], 6
	s_waitcnt vmcnt(0) lgkmcnt(0)
	ds_store_b64 v8, v[3:4]
	flat_load_b64 v[3:4], v[6:7]
	v_add_co_u32 v6, vcc_lo, v6, s4
	v_add_co_ci_u32_e32 v7, vcc_lo, s5, v7, vcc_lo
	s_waitcnt vmcnt(0) lgkmcnt(0)
	ds_store_b64 v8, v[3:4] offset:2112
	flat_load_b64 v[3:4], v[6:7]
	v_add_co_u32 v6, vcc_lo, v6, s4
	v_add_co_ci_u32_e32 v7, vcc_lo, s5, v7, vcc_lo
	s_waitcnt vmcnt(0) lgkmcnt(0)
	ds_store_b64 v8, v[3:4] offset:4224
	flat_load_b64 v[3:4], v[6:7]
	s_waitcnt vmcnt(0) lgkmcnt(0)
	ds_store_b64 v8, v[3:4] offset:6336
.LBB187_18:
	s_and_not1_b32 vcc_lo, exec_lo, s6
	s_cbranch_vccnz .LBB187_36
; %bb.19:
	v_lshlrev_b32_e32 v6, 3, v0
	s_ashr_i32 s17, s16, 31
	v_mul_u32_u24_e32 v7, 33, v5
	s_lshl_b64 s[6:7], s[16:17], 3
	v_cmp_le_i32_e64 s4, s16, v5
	v_sub_co_u32 v3, vcc_lo, v1, v6
	v_subrev_co_ci_u32_e32 v4, vcc_lo, 0, v2, vcc_lo
	v_add_lshl_u32 v7, v7, v0, 3
	s_delay_alu instid0(VALU_DEP_3) | instskip(NEXT) | instid1(VALU_DEP_3)
	v_add_co_u32 v3, vcc_lo, v3, s6
	v_add_co_ci_u32_e32 v4, vcc_lo, s7, v4, vcc_lo
	s_delay_alu instid0(VALU_DEP_2) | instskip(NEXT) | instid1(VALU_DEP_2)
	v_add_co_u32 v3, vcc_lo, v3, -8
	v_add_co_ci_u32_e32 v4, vcc_lo, -1, v4, vcc_lo
	v_cmp_gt_i32_e32 vcc_lo, s16, v0
	s_delay_alu instid0(VALU_DEP_2) | instskip(SKIP_1) | instid1(SALU_CYCLE_1)
	v_dual_cndmask_b32 v3, v3, v1 :: v_dual_cndmask_b32 v4, v4, v2
	s_and_saveexec_b32 s5, s4
	s_xor_b32 s4, exec_lo, s5
	s_cbranch_execz .LBB187_21
; %bb.20:
	v_mov_b32_e32 v8, 0
	s_delay_alu instid0(VALU_DEP_1)
	v_mov_b32_e32 v9, v8
	ds_store_b64 v7, v[8:9]
.LBB187_21:
	s_and_not1_saveexec_b32 s4, s4
	s_cbranch_execz .LBB187_23
; %bb.22:
	flat_load_b64 v[8:9], v[3:4]
	s_waitcnt vmcnt(0) lgkmcnt(0)
	ds_store_b64 v7, v[8:9]
.LBB187_23:
	s_or_b32 exec_lo, exec_lo, s4
	v_add_nc_u32_e32 v8, 8, v5
	s_delay_alu instid0(VALU_DEP_1) | instskip(NEXT) | instid1(VALU_DEP_1)
	v_cmp_le_i32_e64 s4, s16, v8
	s_and_saveexec_b32 s5, s4
	s_delay_alu instid0(SALU_CYCLE_1)
	s_xor_b32 s4, exec_lo, s5
	s_cbranch_execz .LBB187_25
; %bb.24:
	v_mul_u32_u24_e32 v9, 33, v8
	v_mov_b32_e32 v8, 0
	s_delay_alu instid0(VALU_DEP_2) | instskip(NEXT) | instid1(VALU_DEP_2)
	v_add_lshl_u32 v10, v9, v0, 3
	v_mov_b32_e32 v9, v8
	ds_store_b64 v10, v[8:9]
.LBB187_25:
	s_and_not1_saveexec_b32 s5, s4
	s_cbranch_execz .LBB187_27
; %bb.26:
	s_lshl_b32 s22, s12, 3
	s_delay_alu instid0(SALU_CYCLE_1) | instskip(NEXT) | instid1(SALU_CYCLE_1)
	s_ashr_i32 s23, s22, 31
	s_lshl_b64 s[22:23], s[22:23], 3
	s_delay_alu instid0(SALU_CYCLE_1) | instskip(NEXT) | instid1(VALU_DEP_1)
	v_add_co_u32 v8, s4, v3, s22
	v_add_co_ci_u32_e64 v9, s4, s23, v4, s4
	flat_load_b64 v[8:9], v[8:9]
	s_waitcnt vmcnt(0) lgkmcnt(0)
	ds_store_b64 v7, v[8:9] offset:2112
.LBB187_27:
	s_or_b32 exec_lo, exec_lo, s5
	v_add_nc_u32_e32 v8, 16, v5
	s_delay_alu instid0(VALU_DEP_1) | instskip(NEXT) | instid1(VALU_DEP_1)
	v_cmp_le_i32_e64 s4, s16, v8
	s_and_saveexec_b32 s5, s4
	s_delay_alu instid0(SALU_CYCLE_1)
	s_xor_b32 s4, exec_lo, s5
	s_cbranch_execz .LBB187_29
; %bb.28:
	v_mul_u32_u24_e32 v9, 33, v8
	v_mov_b32_e32 v8, 0
	s_delay_alu instid0(VALU_DEP_2) | instskip(NEXT) | instid1(VALU_DEP_2)
	v_add_lshl_u32 v10, v9, v0, 3
	v_mov_b32_e32 v9, v8
	ds_store_b64 v10, v[8:9]
.LBB187_29:
	s_and_not1_saveexec_b32 s5, s4
	s_cbranch_execz .LBB187_31
; %bb.30:
	s_lshl_b32 s22, s12, 4
	s_delay_alu instid0(SALU_CYCLE_1) | instskip(NEXT) | instid1(SALU_CYCLE_1)
	s_ashr_i32 s23, s22, 31
	s_lshl_b64 s[22:23], s[22:23], 3
	s_delay_alu instid0(SALU_CYCLE_1) | instskip(NEXT) | instid1(VALU_DEP_1)
	v_add_co_u32 v8, s4, v3, s22
	v_add_co_ci_u32_e64 v9, s4, s23, v4, s4
	flat_load_b64 v[8:9], v[8:9]
	s_waitcnt vmcnt(0) lgkmcnt(0)
	ds_store_b64 v7, v[8:9] offset:4224
.LBB187_31:
	s_or_b32 exec_lo, exec_lo, s5
	v_add_nc_u32_e32 v8, 24, v5
	s_delay_alu instid0(VALU_DEP_1) | instskip(NEXT) | instid1(VALU_DEP_1)
	v_cmp_le_i32_e64 s4, s16, v8
	s_and_saveexec_b32 s5, s4
	s_delay_alu instid0(SALU_CYCLE_1)
	s_xor_b32 s4, exec_lo, s5
	s_cbranch_execz .LBB187_33
; %bb.32:
	v_mov_b32_e32 v8, 0
	s_delay_alu instid0(VALU_DEP_1)
	v_mov_b32_e32 v9, v8
	ds_store_b64 v7, v[8:9] offset:6336
                                        ; implicit-def: $vgpr7
.LBB187_33:
	s_and_not1_saveexec_b32 s5, s4
	s_cbranch_execz .LBB187_35
; %bb.34:
	s_mul_i32 s22, s12, 24
	s_delay_alu instid0(SALU_CYCLE_1) | instskip(NEXT) | instid1(SALU_CYCLE_1)
	s_ashr_i32 s23, s22, 31
	s_lshl_b64 s[22:23], s[22:23], 3
	s_delay_alu instid0(SALU_CYCLE_1) | instskip(NEXT) | instid1(VALU_DEP_1)
	v_add_co_u32 v8, s4, v3, s22
	v_add_co_ci_u32_e64 v9, s4, s23, v4, s4
	flat_load_b64 v[8:9], v[8:9]
	s_waitcnt vmcnt(0) lgkmcnt(0)
	ds_store_b64 v7, v[8:9] offset:6336
.LBB187_35:
	s_or_b32 exec_lo, exec_lo, s5
	v_add_co_u32 v3, s4, v3, v6
	s_delay_alu instid0(VALU_DEP_1) | instskip(NEXT) | instid1(VALU_DEP_2)
	v_add_co_ci_u32_e64 v4, s4, 0, v4, s4
	v_sub_co_u32 v3, s4, v3, s6
	s_delay_alu instid0(VALU_DEP_1) | instskip(NEXT) | instid1(VALU_DEP_2)
	v_subrev_co_ci_u32_e64 v4, s4, s7, v4, s4
	v_add_co_u32 v3, s4, v3, 8
	s_delay_alu instid0(VALU_DEP_1) | instskip(NEXT) | instid1(VALU_DEP_1)
	v_add_co_ci_u32_e64 v4, s4, 0, v4, s4
	v_dual_cndmask_b32 v1, v3, v1 :: v_dual_cndmask_b32 v2, v4, v2
.LBB187_36:
	v_lshlrev_b32_e32 v3, 2, v5
	v_mul_u32_u24_e32 v27, 33, v0
	v_mul_u32_u24_e32 v7, 0x84, v5
	s_waitcnt lgkmcnt(0)
	s_barrier
	v_cmp_lt_u32_e64 s5, v3, v0
	v_add_lshl_u32 v4, v3, v27, 3
	buffer_gl0_inv
	s_and_saveexec_b32 s4, s5
	s_cbranch_execz .LBB187_38
; %bb.37:
	v_add_lshl_u32 v6, v7, v0, 3
	ds_load_b64 v[8:9], v6
	s_waitcnt lgkmcnt(0)
	ds_store_b64 v4, v[8:9]
.LBB187_38:
	s_or_b32 exec_lo, exec_lo, s4
	v_or_b32_e32 v6, 1, v3
	s_delay_alu instid0(VALU_DEP_1) | instskip(NEXT) | instid1(VALU_DEP_1)
	v_cmp_lt_u32_e64 s6, v6, v0
	s_and_saveexec_b32 s4, s6
	s_cbranch_execz .LBB187_40
; %bb.39:
	v_mul_u32_u24_e32 v6, 33, v6
	s_delay_alu instid0(VALU_DEP_1)
	v_add_lshl_u32 v6, v6, v0, 3
	ds_load_b64 v[8:9], v6
	s_waitcnt lgkmcnt(0)
	ds_store_b64 v4, v[8:9] offset:8
.LBB187_40:
	s_or_b32 exec_lo, exec_lo, s4
	v_or_b32_e32 v6, 2, v3
	s_delay_alu instid0(VALU_DEP_1) | instskip(NEXT) | instid1(VALU_DEP_1)
	v_cmp_lt_u32_e64 s7, v6, v0
	s_and_saveexec_b32 s4, s7
	s_cbranch_execz .LBB187_42
; %bb.41:
	v_mul_u32_u24_e32 v6, 33, v6
	s_delay_alu instid0(VALU_DEP_1)
	v_add_lshl_u32 v6, v6, v0, 3
	ds_load_b64 v[8:9], v6
	s_waitcnt lgkmcnt(0)
	ds_store_b64 v4, v[8:9] offset:16
.LBB187_42:
	s_or_b32 exec_lo, exec_lo, s4
	v_or_b32_e32 v6, 3, v3
	s_delay_alu instid0(VALU_DEP_1) | instskip(SKIP_1) | instid1(VALU_DEP_2)
	v_mad_u32_u24 v8, v6, 33, v0
	v_cmp_lt_u32_e64 s8, v6, v0
	v_lshlrev_b32_e32 v6, 3, v8
	s_delay_alu instid0(VALU_DEP_2)
	s_and_saveexec_b32 s4, s8
	s_cbranch_execz .LBB187_44
; %bb.43:
	ds_load_b64 v[8:9], v6
	s_waitcnt lgkmcnt(0)
	ds_store_b64 v4, v[8:9] offset:24
.LBB187_44:
	s_or_b32 exec_lo, exec_lo, s4
	v_add_lshl_u32 v7, v7, v0, 3
	v_lshlrev_b32_e32 v3, 3, v3
	v_add_nc_u32_e32 v8, 0xfffffdf0, v6
	s_waitcnt lgkmcnt(0)
	s_barrier
	buffer_gl0_inv
	ds_load_b64 v[13:14], v7
	ds_load_b128 v[9:12], v3 offset:9088
	ds_load_2addr_b64 v[28:31], v8 offset1:33
	ds_load_b128 v[32:35], v3 offset:9104
	ds_load_b64 v[17:18], v6
	v_cmp_gt_u32_e64 s4, 32, v26
	s_waitcnt lgkmcnt(0)
	s_barrier
	buffer_gl0_inv
	v_dual_mul_f32 v15, v10, v14 :: v_dual_mul_f32 v24, v11, v29
	v_dual_mul_f32 v14, v9, v14 :: v_dual_mul_f32 v23, v12, v29
	v_mul_f32_e32 v29, v33, v31
	s_delay_alu instid0(VALU_DEP_3) | instskip(NEXT) | instid1(VALU_DEP_3)
	v_fma_f32 v9, v9, v13, -v15
	v_dual_mul_f32 v31, v32, v31 :: v_dual_fmac_f32 v14, v10, v13
	v_mul_f32_e32 v10, v35, v18
	v_fma_f32 v11, v11, v28, -v23
	s_delay_alu instid0(VALU_DEP_4) | instskip(NEXT) | instid1(VALU_DEP_4)
	v_dual_fmac_f32 v24, v12, v28 :: v_dual_add_f32 v9, 0, v9
	v_add_f32_e32 v12, 0, v14
	v_dual_mul_f32 v13, v34, v18 :: v_dual_mov_b32 v18, 0
	v_fma_f32 v14, v32, v30, -v29
	s_delay_alu instid0(VALU_DEP_4) | instskip(NEXT) | instid1(VALU_DEP_4)
	v_add_f32_e32 v9, v9, v11
	v_add_f32_e32 v11, v12, v24
	s_delay_alu instid0(VALU_DEP_4)
	v_fmac_f32_e32 v13, v35, v17
	v_fmac_f32_e32 v31, v33, v30
	v_fma_f32 v10, v34, v17, -v10
	v_add_f32_e32 v9, v9, v14
	v_add_lshl_u32 v28, v5, v27, 3
	v_mov_b32_e32 v17, 0
	v_add_f32_e32 v11, v11, v31
	s_delay_alu instid0(VALU_DEP_1)
	v_dual_add_f32 v9, v9, v10 :: v_dual_add_f32 v10, v11, v13
	ds_store_b64 v28, v[9:10]
	s_waitcnt lgkmcnt(0)
	s_barrier
	buffer_gl0_inv
	s_and_saveexec_b32 s13, s4
	s_cbranch_execz .LBB187_46
; %bb.45:
	v_lshlrev_b32_e32 v13, 3, v27
	ds_load_2addr_b64 v[9:12], v13 offset1:7
	ds_load_2addr_b64 v[29:32], v13 offset0:1 offset1:2
	ds_load_2addr_b64 v[33:36], v13 offset0:3 offset1:4
	;; [unrolled: 1-line block ×3, first 2 shown]
	s_waitcnt lgkmcnt(2)
	v_dual_add_f32 v10, v30, v10 :: v_dual_add_f32 v9, v29, v9
	s_delay_alu instid0(VALU_DEP_1) | instskip(SKIP_1) | instid1(VALU_DEP_1)
	v_dual_add_f32 v10, v10, v32 :: v_dual_add_f32 v9, v9, v31
	s_waitcnt lgkmcnt(1)
	v_dual_add_f32 v10, v10, v34 :: v_dual_add_f32 v9, v9, v33
	s_delay_alu instid0(VALU_DEP_1) | instskip(SKIP_1) | instid1(VALU_DEP_1)
	v_dual_add_f32 v10, v10, v36 :: v_dual_add_f32 v9, v9, v35
	s_waitcnt lgkmcnt(0)
	v_dual_add_f32 v10, v10, v38 :: v_dual_add_f32 v9, v9, v37
	s_delay_alu instid0(VALU_DEP_1) | instskip(NEXT) | instid1(VALU_DEP_1)
	v_dual_add_f32 v10, v10, v40 :: v_dual_add_f32 v9, v9, v39
	v_dual_add_f32 v18, v10, v12 :: v_dual_add_f32 v17, v9, v11
.LBB187_46:
	s_or_b32 exec_lo, exec_lo, s13
	s_lshl_b32 s22, s12, 5
	v_cndmask_b32_e64 v9, 0, 1, s9
	s_ashr_i32 s23, s22, 31
	s_delay_alu instid0(SALU_CYCLE_1)
	s_lshl_b64 s[22:23], s[22:23], 3
	s_barrier
	v_add_co_u32 v1, vcc_lo, v1, s22
	v_add_co_ci_u32_e32 v2, vcc_lo, s23, v2, vcc_lo
	buffer_gl0_inv
	v_add_co_u32 v10, vcc_lo, 0x100, v1
	v_add_co_ci_u32_e32 v11, vcc_lo, 0, v2, vcc_lo
	s_and_not1_b32 vcc_lo, exec_lo, s9
	s_cbranch_vccnz .LBB187_48
; %bb.47:
	flat_load_b64 v[12:13], v[1:2] offset:256
	s_lshl_b32 s24, s12, 3
	v_mul_u32_u24_e32 v14, 33, v5
	s_ashr_i32 s25, s24, 31
	s_ashr_i32 s13, s12, 31
	s_lshl_b64 s[24:25], s[24:25], 3
	s_delay_alu instid0(SALU_CYCLE_1)
	v_add_co_u32 v1, vcc_lo, v1, s24
	v_add_lshl_u32 v14, v14, v0, 3
	v_add_co_ci_u32_e32 v2, vcc_lo, s25, v2, vcc_lo
	s_lshl_b64 s[24:25], s[12:13], 6
	s_waitcnt vmcnt(0) lgkmcnt(0)
	ds_store_b64 v14, v[12:13]
	flat_load_b64 v[12:13], v[1:2] offset:256
	v_add_co_u32 v1, vcc_lo, v1, s24
	v_add_co_ci_u32_e32 v2, vcc_lo, s25, v2, vcc_lo
	s_waitcnt vmcnt(0) lgkmcnt(0)
	ds_store_b64 v14, v[12:13] offset:2112
	flat_load_b64 v[12:13], v[1:2] offset:256
	v_add_co_u32 v1, vcc_lo, v1, s24
	v_add_co_ci_u32_e32 v2, vcc_lo, s25, v2, vcc_lo
	s_waitcnt vmcnt(0) lgkmcnt(0)
	ds_store_b64 v14, v[12:13] offset:4224
	flat_load_b64 v[1:2], v[1:2] offset:256
	s_waitcnt vmcnt(0) lgkmcnt(0)
	ds_store_b64 v14, v[1:2] offset:6336
	s_cbranch_execz .LBB187_49
	s_branch .LBB187_66
.LBB187_48:
.LBB187_49:
	v_or_b32_e32 v1, 32, v0
	s_ashr_i32 s17, s16, 31
	v_mul_u32_u24_e32 v13, 33, v5
	s_lshl_b64 s[24:25], s[16:17], 3
	s_sub_i32 s13, s16, 32
	v_lshlrev_b32_e32 v2, 3, v1
	v_cmp_le_i32_e64 s9, s13, v5
	s_delay_alu instid0(VALU_DEP_2) | instskip(SKIP_1) | instid1(VALU_DEP_2)
	v_sub_co_u32 v2, vcc_lo, v10, v2
	v_subrev_co_ci_u32_e32 v12, vcc_lo, 0, v11, vcc_lo
	v_add_co_u32 v2, vcc_lo, v2, s24
	s_delay_alu instid0(VALU_DEP_2) | instskip(NEXT) | instid1(VALU_DEP_2)
	v_add_co_ci_u32_e32 v12, vcc_lo, s25, v12, vcc_lo
	v_add_co_u32 v14, vcc_lo, v2, -8
	s_delay_alu instid0(VALU_DEP_2) | instskip(SKIP_2) | instid1(VALU_DEP_4)
	v_add_co_ci_u32_e32 v2, vcc_lo, -1, v12, vcc_lo
	v_cmp_gt_i32_e32 vcc_lo, s16, v1
	v_add_lshl_u32 v12, v13, v0, 3
	v_cndmask_b32_e32 v1, v14, v10, vcc_lo
	s_delay_alu instid0(VALU_DEP_4) | instskip(SKIP_1) | instid1(SALU_CYCLE_1)
	v_cndmask_b32_e32 v2, v2, v11, vcc_lo
	s_and_saveexec_b32 s17, s9
	s_xor_b32 s9, exec_lo, s17
	s_cbranch_execz .LBB187_51
; %bb.50:
	v_mov_b32_e32 v13, 0
	s_delay_alu instid0(VALU_DEP_1)
	v_mov_b32_e32 v14, v13
	ds_store_b64 v12, v[13:14]
.LBB187_51:
	s_and_not1_saveexec_b32 s9, s9
	s_cbranch_execz .LBB187_53
; %bb.52:
	flat_load_b64 v[13:14], v[1:2]
	s_waitcnt vmcnt(0) lgkmcnt(0)
	ds_store_b64 v12, v[13:14]
.LBB187_53:
	s_or_b32 exec_lo, exec_lo, s9
	v_add_nc_u32_e32 v13, 8, v5
	s_delay_alu instid0(VALU_DEP_1) | instskip(NEXT) | instid1(VALU_DEP_1)
	v_cmp_le_i32_e64 s9, s13, v13
	s_and_saveexec_b32 s17, s9
	s_delay_alu instid0(SALU_CYCLE_1)
	s_xor_b32 s9, exec_lo, s17
	s_cbranch_execz .LBB187_55
; %bb.54:
	v_mul_u32_u24_e32 v14, 33, v13
	v_mov_b32_e32 v13, 0
	s_delay_alu instid0(VALU_DEP_2) | instskip(NEXT) | instid1(VALU_DEP_2)
	v_add_lshl_u32 v15, v14, v0, 3
	v_mov_b32_e32 v14, v13
	ds_store_b64 v15, v[13:14]
.LBB187_55:
	s_and_not1_saveexec_b32 s17, s9
	s_cbranch_execz .LBB187_57
; %bb.56:
	s_lshl_b32 s28, s12, 3
	s_delay_alu instid0(SALU_CYCLE_1) | instskip(NEXT) | instid1(SALU_CYCLE_1)
	s_ashr_i32 s29, s28, 31
	s_lshl_b64 s[28:29], s[28:29], 3
	s_delay_alu instid0(SALU_CYCLE_1) | instskip(NEXT) | instid1(VALU_DEP_1)
	v_add_co_u32 v13, s9, v1, s28
	v_add_co_ci_u32_e64 v14, s9, s29, v2, s9
	flat_load_b64 v[13:14], v[13:14]
	s_waitcnt vmcnt(0) lgkmcnt(0)
	ds_store_b64 v12, v[13:14] offset:2112
.LBB187_57:
	s_or_b32 exec_lo, exec_lo, s17
	v_add_nc_u32_e32 v13, 16, v5
	s_delay_alu instid0(VALU_DEP_1) | instskip(NEXT) | instid1(VALU_DEP_1)
	v_cmp_le_i32_e64 s9, s13, v13
	s_and_saveexec_b32 s17, s9
	s_delay_alu instid0(SALU_CYCLE_1)
	s_xor_b32 s9, exec_lo, s17
	s_cbranch_execz .LBB187_59
; %bb.58:
	v_mul_u32_u24_e32 v14, 33, v13
	v_mov_b32_e32 v13, 0
	s_delay_alu instid0(VALU_DEP_2) | instskip(NEXT) | instid1(VALU_DEP_2)
	v_add_lshl_u32 v15, v14, v0, 3
	v_mov_b32_e32 v14, v13
	ds_store_b64 v15, v[13:14]
.LBB187_59:
	s_and_not1_saveexec_b32 s17, s9
	s_cbranch_execz .LBB187_61
; %bb.60:
	s_lshl_b32 s28, s12, 4
	s_delay_alu instid0(SALU_CYCLE_1) | instskip(NEXT) | instid1(SALU_CYCLE_1)
	s_ashr_i32 s29, s28, 31
	s_lshl_b64 s[28:29], s[28:29], 3
	s_delay_alu instid0(SALU_CYCLE_1) | instskip(NEXT) | instid1(VALU_DEP_1)
	v_add_co_u32 v13, s9, v1, s28
	v_add_co_ci_u32_e64 v14, s9, s29, v2, s9
	flat_load_b64 v[13:14], v[13:14]
	s_waitcnt vmcnt(0) lgkmcnt(0)
	ds_store_b64 v12, v[13:14] offset:4224
.LBB187_61:
	s_or_b32 exec_lo, exec_lo, s17
	v_add_nc_u32_e32 v13, 24, v5
	s_delay_alu instid0(VALU_DEP_1) | instskip(NEXT) | instid1(VALU_DEP_1)
	v_cmp_le_i32_e64 s9, s13, v13
	s_and_saveexec_b32 s13, s9
	s_delay_alu instid0(SALU_CYCLE_1)
	s_xor_b32 s9, exec_lo, s13
	s_cbranch_execz .LBB187_63
; %bb.62:
	v_mov_b32_e32 v13, 0
	s_delay_alu instid0(VALU_DEP_1)
	v_mov_b32_e32 v14, v13
	ds_store_b64 v12, v[13:14] offset:6336
                                        ; implicit-def: $vgpr12
.LBB187_63:
	s_and_not1_saveexec_b32 s13, s9
	s_cbranch_execz .LBB187_65
; %bb.64:
	s_mul_i32 s28, s12, 24
	s_delay_alu instid0(SALU_CYCLE_1) | instskip(NEXT) | instid1(SALU_CYCLE_1)
	s_ashr_i32 s29, s28, 31
	s_lshl_b64 s[28:29], s[28:29], 3
	s_delay_alu instid0(SALU_CYCLE_1) | instskip(NEXT) | instid1(VALU_DEP_1)
	v_add_co_u32 v13, s9, v1, s28
	v_add_co_ci_u32_e64 v14, s9, s29, v2, s9
	flat_load_b64 v[13:14], v[13:14]
	s_waitcnt vmcnt(0) lgkmcnt(0)
	ds_store_b64 v12, v[13:14] offset:6336
.LBB187_65:
	s_or_b32 exec_lo, exec_lo, s13
	v_lshlrev_b32_e32 v12, 3, v0
	s_delay_alu instid0(VALU_DEP_1) | instskip(NEXT) | instid1(VALU_DEP_1)
	v_add_co_u32 v1, s9, v1, v12
	v_add_co_ci_u32_e64 v2, s9, 0, v2, s9
	s_delay_alu instid0(VALU_DEP_2) | instskip(NEXT) | instid1(VALU_DEP_1)
	v_sub_co_u32 v1, s9, v1, s24
	v_subrev_co_ci_u32_e64 v2, s9, s25, v2, s9
	s_delay_alu instid0(VALU_DEP_2) | instskip(NEXT) | instid1(VALU_DEP_1)
	v_add_co_u32 v1, s9, 0x108, v1
	v_add_co_ci_u32_e64 v2, s9, 0, v2, s9
	s_delay_alu instid0(VALU_DEP_1)
	v_dual_cndmask_b32 v10, v1, v10 :: v_dual_cndmask_b32 v11, v2, v11
.LBB187_66:
	v_add_nc_u32_e32 v3, 0x2380, v3
	s_waitcnt lgkmcnt(0)
	s_barrier
	buffer_gl0_inv
	s_and_saveexec_b32 s9, s5
	s_cbranch_execnz .LBB187_75
; %bb.67:
	s_or_b32 exec_lo, exec_lo, s9
	s_and_saveexec_b32 s5, s6
	s_cbranch_execnz .LBB187_76
.LBB187_68:
	s_or_b32 exec_lo, exec_lo, s5
	s_and_saveexec_b32 s5, s7
	s_cbranch_execnz .LBB187_77
.LBB187_69:
	s_or_b32 exec_lo, exec_lo, s5
	s_and_saveexec_b32 s5, s8
	s_cbranch_execz .LBB187_71
.LBB187_70:
	ds_load_b64 v[1:2], v6
	s_waitcnt lgkmcnt(0)
	ds_store_b64 v4, v[1:2] offset:24
.LBB187_71:
	s_or_b32 exec_lo, exec_lo, s5
	s_waitcnt lgkmcnt(0)
	s_barrier
	buffer_gl0_inv
	ds_load_b64 v[1:2], v7
	ds_load_b128 v[12:15], v3 offset:256
	ds_load_2addr_b64 v[29:32], v8 offset1:33
	ds_load_b128 v[33:36], v3 offset:272
	ds_load_b64 v[6:7], v6
	v_cmp_eq_u32_e64 s5, 1, v5
	s_waitcnt lgkmcnt(0)
	s_barrier
	buffer_gl0_inv
	v_mul_f32_e32 v8, v13, v2
	v_mul_f32_e32 v2, v12, v2
	;; [unrolled: 1-line block ×5, first 2 shown]
	v_fma_f32 v8, v12, v1, -v8
	v_dual_fmac_f32 v2, v13, v1 :: v_dual_mul_f32 v1, v36, v7
	v_fma_f32 v12, v14, v29, -v23
	v_fmac_f32_e32 v24, v15, v29
	v_dual_mul_f32 v7, v35, v7 :: v_dual_mul_f32 v32, v33, v32
	s_delay_alu instid0(VALU_DEP_4)
	v_add_f32_e32 v2, 0, v2
	v_fma_f32 v1, v35, v6, -v1
	v_add_f32_e32 v8, 0, v8
	v_fma_f32 v13, v33, v31, -v30
	v_dual_fmac_f32 v7, v36, v6 :: v_dual_fmac_f32 v32, v34, v31
	v_add_f32_e32 v2, v2, v24
	s_delay_alu instid0(VALU_DEP_4) | instskip(NEXT) | instid1(VALU_DEP_2)
	v_add_f32_e32 v8, v8, v12
	v_add_f32_e32 v2, v2, v32
	s_delay_alu instid0(VALU_DEP_2) | instskip(NEXT) | instid1(VALU_DEP_2)
	v_add_f32_e32 v6, v8, v13
	v_add_f32_e32 v2, v2, v7
	s_delay_alu instid0(VALU_DEP_2)
	v_add_f32_e32 v1, v6, v1
	ds_store_b64 v28, v[1:2]
	s_waitcnt lgkmcnt(0)
	s_barrier
	buffer_gl0_inv
	s_and_saveexec_b32 s6, s5
	s_cbranch_execz .LBB187_73
; %bb.72:
	v_lshlrev_b32_e32 v1, 3, v27
	ds_load_2addr_b64 v[12:15], v1 offset1:7
	ds_load_2addr_b64 v[29:32], v1 offset0:1 offset1:2
	ds_load_2addr_b64 v[33:36], v1 offset0:3 offset1:4
	;; [unrolled: 1-line block ×3, first 2 shown]
	s_waitcnt lgkmcnt(2)
	v_add_f32_e32 v2, v30, v13
	s_delay_alu instid0(VALU_DEP_1) | instskip(SKIP_1) | instid1(VALU_DEP_1)
	v_add_f32_e32 v2, v2, v32
	s_waitcnt lgkmcnt(1)
	v_dual_add_f32 v1, v29, v12 :: v_dual_add_f32 v2, v2, v34
	s_delay_alu instid0(VALU_DEP_1) | instskip(SKIP_1) | instid1(VALU_DEP_1)
	v_dual_add_f32 v1, v1, v31 :: v_dual_add_f32 v2, v2, v36
	s_waitcnt lgkmcnt(0)
	v_dual_add_f32 v1, v1, v33 :: v_dual_add_f32 v2, v2, v38
	s_delay_alu instid0(VALU_DEP_1) | instskip(NEXT) | instid1(VALU_DEP_1)
	v_dual_add_f32 v1, v1, v35 :: v_dual_add_f32 v2, v2, v40
	v_dual_add_f32 v1, v1, v37 :: v_dual_add_f32 v18, v2, v15
	s_delay_alu instid0(VALU_DEP_1) | instskip(NEXT) | instid1(VALU_DEP_1)
	v_add_f32_e32 v1, v1, v39
	v_add_f32_e32 v17, v1, v14
.LBB187_73:
	s_or_b32 exec_lo, exec_lo, s6
	v_cmp_ne_u32_e32 vcc_lo, 1, v9
	v_sub_co_u32 v23, s6, v10, s22
	s_delay_alu instid0(VALU_DEP_1)
	v_subrev_co_ci_u32_e64 v24, s6, s23, v11, s6
	s_barrier
	buffer_gl0_inv
	s_cbranch_vccnz .LBB187_78
; %bb.74:
	flat_load_b64 v[1:2], v[23:24]
	s_lshl_b32 s6, s12, 3
	v_mad_u32_u24 v6, v5, 33, v0
	s_ashr_i32 s7, s6, 31
	s_ashr_i32 s13, s12, 31
	s_lshl_b64 s[6:7], s[6:7], 3
	v_add_nc_u32_e32 v9, 24, v5
	v_add_co_u32 v7, vcc_lo, v23, s6
	v_lshlrev_b32_e32 v10, 3, v6
	v_add_co_ci_u32_e32 v8, vcc_lo, s7, v24, vcc_lo
	s_lshl_b64 s[6:7], s[12:13], 6
	v_add_nc_u32_e32 v11, 0x318, v6
	s_waitcnt vmcnt(0) lgkmcnt(0)
	ds_store_b64 v10, v[1:2]
	flat_load_b64 v[1:2], v[7:8]
	v_add_co_u32 v7, vcc_lo, v7, s6
	v_add_co_ci_u32_e32 v8, vcc_lo, s7, v8, vcc_lo
	s_waitcnt vmcnt(0) lgkmcnt(0)
	ds_store_b64 v10, v[1:2] offset:2112
	flat_load_b64 v[1:2], v[7:8]
	v_add_co_u32 v7, vcc_lo, v7, s6
	v_add_co_ci_u32_e32 v8, vcc_lo, s7, v8, vcc_lo
	s_waitcnt vmcnt(0) lgkmcnt(0)
	ds_store_b64 v10, v[1:2] offset:4224
	flat_load_b64 v[12:13], v[7:8]
	v_add_nc_u32_e32 v7, 8, v5
	v_add_nc_u32_e32 v1, 0x108, v6
	;; [unrolled: 1-line block ×4, first 2 shown]
	s_waitcnt vmcnt(0) lgkmcnt(0)
	ds_store_b64 v10, v[12:13] offset:6336
	s_cbranch_execz .LBB187_79
	s_branch .LBB187_96
.LBB187_75:
	ds_load_b64 v[1:2], v7
	s_waitcnt lgkmcnt(0)
	ds_store_b64 v4, v[1:2]
	s_or_b32 exec_lo, exec_lo, s9
	s_and_saveexec_b32 s5, s6
	s_cbranch_execz .LBB187_68
.LBB187_76:
	ds_load_b64 v[1:2], v8
	s_waitcnt lgkmcnt(0)
	ds_store_b64 v4, v[1:2] offset:8
	s_or_b32 exec_lo, exec_lo, s5
	s_and_saveexec_b32 s5, s7
	s_cbranch_execz .LBB187_69
.LBB187_77:
	ds_load_b64 v[1:2], v8 offset:264
	s_waitcnt lgkmcnt(0)
	ds_store_b64 v4, v[1:2] offset:16
	s_or_b32 exec_lo, exec_lo, s5
	s_and_saveexec_b32 s5, s8
	s_cbranch_execnz .LBB187_70
	s_branch .LBB187_71
.LBB187_78:
                                        ; implicit-def: $vgpr6
                                        ; implicit-def: $vgpr7
                                        ; implicit-def: $vgpr1
                                        ; implicit-def: $vgpr8
                                        ; implicit-def: $vgpr2
                                        ; implicit-def: $vgpr9
                                        ; implicit-def: $vgpr11
.LBB187_79:
	v_or_b32_e32 v1, 32, v0
	s_ashr_i32 s17, s16, 31
	v_cmp_le_i32_e64 s6, s16, v5
	s_lshl_b64 s[8:9], s[16:17], 3
	s_delay_alu instid0(VALU_DEP_2) | instskip(NEXT) | instid1(VALU_DEP_1)
	v_lshlrev_b32_e32 v2, 3, v1
	v_sub_co_u32 v2, vcc_lo, v23, v2
	v_subrev_co_ci_u32_e32 v6, vcc_lo, 0, v24, vcc_lo
	s_delay_alu instid0(VALU_DEP_2) | instskip(NEXT) | instid1(VALU_DEP_2)
	v_add_co_u32 v2, vcc_lo, v2, s8
	v_add_co_ci_u32_e32 v6, vcc_lo, s9, v6, vcc_lo
	s_delay_alu instid0(VALU_DEP_2) | instskip(NEXT) | instid1(VALU_DEP_2)
	v_add_co_u32 v7, vcc_lo, v2, -8
	v_add_co_ci_u32_e32 v2, vcc_lo, -1, v6, vcc_lo
	v_cmp_gt_i32_e32 vcc_lo, s16, v1
	v_mad_u32_u24 v6, v5, 33, v0
	s_delay_alu instid0(VALU_DEP_3) | instskip(NEXT) | instid1(VALU_DEP_2)
	v_dual_cndmask_b32 v1, v7, v23 :: v_dual_cndmask_b32 v2, v2, v24
	v_lshlrev_b32_e32 v10, 3, v6
	s_and_saveexec_b32 s7, s6
	s_delay_alu instid0(SALU_CYCLE_1)
	s_xor_b32 s6, exec_lo, s7
	s_cbranch_execz .LBB187_81
; %bb.80:
	v_mov_b32_e32 v7, 0
	s_delay_alu instid0(VALU_DEP_1)
	v_mov_b32_e32 v8, v7
	ds_store_b64 v10, v[7:8]
.LBB187_81:
	s_and_not1_saveexec_b32 s6, s6
	s_cbranch_execz .LBB187_83
; %bb.82:
	flat_load_b64 v[7:8], v[1:2]
	s_waitcnt vmcnt(0) lgkmcnt(0)
	ds_store_b64 v10, v[7:8]
.LBB187_83:
	s_or_b32 exec_lo, exec_lo, s6
	v_add_nc_u32_e32 v7, 8, v5
	s_delay_alu instid0(VALU_DEP_1) | instskip(NEXT) | instid1(VALU_DEP_1)
	v_cmp_le_i32_e64 s6, s16, v7
	s_and_saveexec_b32 s7, s6
	s_delay_alu instid0(SALU_CYCLE_1)
	s_xor_b32 s6, exec_lo, s7
	s_cbranch_execz .LBB187_85
; %bb.84:
	v_mul_u32_u24_e32 v9, 33, v7
	v_mov_b32_e32 v8, 0
	s_delay_alu instid0(VALU_DEP_2) | instskip(NEXT) | instid1(VALU_DEP_2)
	v_add_lshl_u32 v11, v9, v0, 3
	v_mov_b32_e32 v9, v8
	ds_store_b64 v11, v[8:9]
.LBB187_85:
	s_and_not1_saveexec_b32 s7, s6
	s_cbranch_execz .LBB187_87
; %bb.86:
	s_lshl_b32 s22, s12, 3
	s_delay_alu instid0(SALU_CYCLE_1) | instskip(NEXT) | instid1(SALU_CYCLE_1)
	s_ashr_i32 s23, s22, 31
	s_lshl_b64 s[22:23], s[22:23], 3
	s_delay_alu instid0(SALU_CYCLE_1) | instskip(NEXT) | instid1(VALU_DEP_1)
	v_add_co_u32 v8, s6, v1, s22
	v_add_co_ci_u32_e64 v9, s6, s23, v2, s6
	flat_load_b64 v[8:9], v[8:9]
	s_waitcnt vmcnt(0) lgkmcnt(0)
	ds_store_b64 v10, v[8:9] offset:2112
.LBB187_87:
	s_or_b32 exec_lo, exec_lo, s7
	v_add_nc_u32_e32 v8, 16, v5
	s_delay_alu instid0(VALU_DEP_1) | instskip(NEXT) | instid1(VALU_DEP_1)
	v_cmp_le_i32_e64 s6, s16, v8
	s_and_saveexec_b32 s7, s6
	s_delay_alu instid0(SALU_CYCLE_1)
	s_xor_b32 s6, exec_lo, s7
	s_cbranch_execz .LBB187_89
; %bb.88:
	v_mul_u32_u24_e32 v9, 33, v8
	v_mov_b32_e32 v11, 0
	s_delay_alu instid0(VALU_DEP_2) | instskip(NEXT) | instid1(VALU_DEP_2)
	v_add_lshl_u32 v9, v9, v0, 3
	v_mov_b32_e32 v12, v11
	ds_store_b64 v9, v[11:12]
.LBB187_89:
	s_and_not1_saveexec_b32 s7, s6
	s_cbranch_execz .LBB187_91
; %bb.90:
	s_lshl_b32 s22, s12, 4
	s_delay_alu instid0(SALU_CYCLE_1) | instskip(NEXT) | instid1(SALU_CYCLE_1)
	s_ashr_i32 s23, s22, 31
	s_lshl_b64 s[22:23], s[22:23], 3
	s_delay_alu instid0(SALU_CYCLE_1) | instskip(NEXT) | instid1(VALU_DEP_1)
	v_add_co_u32 v11, s6, v1, s22
	v_add_co_ci_u32_e64 v12, s6, s23, v2, s6
	flat_load_b64 v[11:12], v[11:12]
	s_waitcnt vmcnt(0) lgkmcnt(0)
	ds_store_b64 v10, v[11:12] offset:4224
.LBB187_91:
	s_or_b32 exec_lo, exec_lo, s7
	v_add_nc_u32_e32 v9, 24, v5
                                        ; implicit-def: $vgpr11
	s_delay_alu instid0(VALU_DEP_1) | instskip(NEXT) | instid1(VALU_DEP_1)
	v_cmp_le_i32_e64 s6, s16, v9
	s_and_saveexec_b32 s7, s6
	s_delay_alu instid0(SALU_CYCLE_1)
	s_xor_b32 s6, exec_lo, s7
	s_cbranch_execz .LBB187_93
; %bb.92:
	v_mad_u32_u24 v11, v9, 33, v0
	v_mov_b32_e32 v12, 0
	s_delay_alu instid0(VALU_DEP_1)
	v_dual_mov_b32 v13, v12 :: v_dual_lshlrev_b32 v10, 3, v11
	ds_store_b64 v10, v[12:13]
                                        ; implicit-def: $vgpr10
.LBB187_93:
	s_and_not1_saveexec_b32 s7, s6
	s_cbranch_execz .LBB187_95
; %bb.94:
	s_mul_i32 s22, s12, 24
	s_delay_alu instid0(SALU_CYCLE_1) | instskip(NEXT) | instid1(SALU_CYCLE_1)
	s_ashr_i32 s23, s22, 31
	s_lshl_b64 s[22:23], s[22:23], 3
	s_delay_alu instid0(SALU_CYCLE_1) | instskip(NEXT) | instid1(VALU_DEP_1)
	v_add_co_u32 v11, s6, v1, s22
	v_add_co_ci_u32_e64 v12, s6, s23, v2, s6
	flat_load_b64 v[12:13], v[11:12]
	v_add_nc_u32_e32 v11, 0x318, v6
	s_waitcnt vmcnt(0) lgkmcnt(0)
	ds_store_b64 v10, v[12:13] offset:6336
.LBB187_95:
	s_or_b32 exec_lo, exec_lo, s7
	v_lshlrev_b32_e32 v0, 3, v0
	s_delay_alu instid0(VALU_DEP_1) | instskip(NEXT) | instid1(VALU_DEP_1)
	v_add_co_u32 v0, s6, v1, v0
	v_add_co_ci_u32_e64 v1, s6, 0, v2, s6
	s_delay_alu instid0(VALU_DEP_2) | instskip(NEXT) | instid1(VALU_DEP_1)
	v_sub_co_u32 v0, s6, v0, s8
	v_subrev_co_ci_u32_e64 v1, s6, s9, v1, s6
	s_delay_alu instid0(VALU_DEP_2) | instskip(NEXT) | instid1(VALU_DEP_1)
	v_add_co_u32 v0, s6, 0x108, v0
	v_add_co_ci_u32_e64 v2, s6, 0, v1, s6
	v_add_nc_u32_e32 v1, 0x108, v6
	s_delay_alu instid0(VALU_DEP_2)
	v_dual_cndmask_b32 v23, v0, v23 :: v_dual_cndmask_b32 v24, v2, v24
	v_add_nc_u32_e32 v2, 0x210, v6
.LBB187_96:
	v_lshlrev_b32_e32 v0, 3, v6
	v_lshlrev_b32_e32 v5, 3, v5
	;; [unrolled: 1-line block ×8, first 2 shown]
	s_waitcnt lgkmcnt(0)
	s_barrier
	buffer_gl0_inv
	ds_load_b64 v[29:30], v0
	ds_load_b64 v[31:32], v5 offset:9088
	ds_load_b64 v[33:34], v1
	ds_load_b64 v[35:36], v6 offset:9088
	;; [unrolled: 2-line block ×4, first 2 shown]
	ds_load_b128 v[8:11], v3 offset:256
	ds_load_b128 v[0:3], v3 offset:272
	ds_load_2addr_b64 v[12:15], v4 offset1:1
	ds_load_2addr_b64 v[4:7], v4 offset0:2 offset1:3
	s_waitcnt lgkmcnt(0)
	s_barrier
	buffer_gl0_inv
	v_mul_f32_e32 v45, v32, v30
	v_mul_f32_e32 v30, v31, v30
	;; [unrolled: 1-line block ×5, first 2 shown]
	v_fma_f32 v31, v31, v29, -v45
	v_dual_fmac_f32 v30, v32, v29 :: v_dual_mul_f32 v29, v39, v38
	v_fma_f32 v32, v35, v33, -v46
	v_dual_fmac_f32 v34, v36, v33 :: v_dual_mul_f32 v33, v43, v42
	s_delay_alu instid0(VALU_DEP_3) | instskip(SKIP_3) | instid1(VALU_DEP_4)
	v_dual_add_f32 v31, 0, v31 :: v_dual_add_f32 v30, 0, v30
	v_mul_f32_e32 v48, v44, v42
	v_fma_f32 v35, v39, v37, -v47
	v_fmac_f32_e32 v29, v40, v37
	v_dual_add_f32 v31, v31, v32 :: v_dual_add_f32 v30, v30, v34
	v_fmac_f32_e32 v33, v44, v41
	v_fma_f32 v32, v43, v41, -v48
	s_delay_alu instid0(VALU_DEP_3) | instskip(NEXT) | instid1(VALU_DEP_1)
	v_dual_add_f32 v31, v31, v35 :: v_dual_add_f32 v30, v30, v29
	v_dual_add_f32 v29, v31, v32 :: v_dual_add_f32 v30, v30, v33
	ds_store_b64 v28, v[29:30]
	s_waitcnt lgkmcnt(0)
	s_barrier
	buffer_gl0_inv
	s_and_saveexec_b32 s6, s5
	s_cbranch_execz .LBB187_98
; %bb.97:
	v_lshlrev_b32_e32 v41, 3, v27
	ds_load_2addr_b64 v[29:32], v41 offset1:1
	ds_load_2addr_b64 v[33:36], v41 offset0:2 offset1:3
	s_waitcnt lgkmcnt(1)
	v_dual_add_f32 v18, v18, v30 :: v_dual_add_f32 v17, v17, v29
	ds_load_2addr_b64 v[37:40], v41 offset0:4 offset1:5
	v_dual_add_f32 v18, v18, v32 :: v_dual_add_f32 v17, v17, v31
	ds_load_2addr_b64 v[29:32], v41 offset0:6 offset1:7
	s_waitcnt lgkmcnt(2)
	v_dual_add_f32 v18, v18, v34 :: v_dual_add_f32 v17, v17, v33
	s_delay_alu instid0(VALU_DEP_1) | instskip(SKIP_1) | instid1(VALU_DEP_1)
	v_dual_add_f32 v18, v18, v36 :: v_dual_add_f32 v17, v17, v35
	s_waitcnt lgkmcnt(1)
	v_dual_add_f32 v18, v18, v38 :: v_dual_add_f32 v17, v17, v37
	s_delay_alu instid0(VALU_DEP_1) | instskip(SKIP_1) | instid1(VALU_DEP_1)
	v_dual_add_f32 v18, v18, v40 :: v_dual_add_f32 v17, v17, v39
	s_waitcnt lgkmcnt(0)
	v_dual_add_f32 v18, v18, v30 :: v_dual_add_f32 v17, v17, v29
	s_delay_alu instid0(VALU_DEP_1)
	v_dual_add_f32 v18, v18, v32 :: v_dual_add_f32 v17, v17, v31
.LBB187_98:
	s_or_b32 exec_lo, exec_lo, s6
	v_dual_mul_f32 v29, v9, v13 :: v_dual_mul_f32 v30, v11, v15
	v_mul_f32_e32 v13, v8, v13
	s_barrier
	s_delay_alu instid0(VALU_DEP_2) | instskip(SKIP_3) | instid1(VALU_DEP_1)
	v_fma_f32 v8, v8, v12, -v29
	buffer_gl0_inv
	v_dual_add_f32 v8, 0, v8 :: v_dual_mul_f32 v15, v10, v15
	v_fma_f32 v10, v10, v14, -v30
	v_dual_add_f32 v8, v8, v10 :: v_dual_mul_f32 v31, v1, v5
	v_mul_f32_e32 v5, v0, v5
	s_delay_alu instid0(VALU_DEP_4) | instskip(NEXT) | instid1(VALU_DEP_3)
	v_fmac_f32_e32 v15, v11, v14
	v_fma_f32 v0, v0, v4, -v31
	s_delay_alu instid0(VALU_DEP_3) | instskip(NEXT) | instid1(VALU_DEP_2)
	v_fmac_f32_e32 v5, v1, v4
	v_add_f32_e32 v0, v8, v0
	v_fmac_f32_e32 v13, v9, v12
	v_mul_f32_e32 v9, v3, v7
	v_mul_f32_e32 v7, v2, v7
	s_delay_alu instid0(VALU_DEP_2) | instskip(NEXT) | instid1(VALU_DEP_2)
	v_fma_f32 v2, v2, v6, -v9
	v_fmac_f32_e32 v7, v3, v6
	s_delay_alu instid0(VALU_DEP_2) | instskip(NEXT) | instid1(VALU_DEP_1)
	v_dual_add_f32 v0, v0, v2 :: v_dual_add_f32 v11, 0, v13
	v_add_f32_e32 v1, v11, v15
	s_delay_alu instid0(VALU_DEP_1) | instskip(NEXT) | instid1(VALU_DEP_1)
	v_add_f32_e32 v1, v1, v5
	v_add_f32_e32 v1, v1, v7
	ds_store_b64 v28, v[0:1]
	s_waitcnt lgkmcnt(0)
	s_barrier
	buffer_gl0_inv
	s_and_saveexec_b32 s5, s4
	s_cbranch_execz .LBB187_100
; %bb.99:
	v_lshlrev_b32_e32 v12, 3, v27
	ds_load_2addr_b64 v[0:3], v12 offset1:1
	ds_load_2addr_b64 v[4:7], v12 offset0:2 offset1:3
	s_waitcnt lgkmcnt(1)
	v_add_f32_e32 v1, v18, v1
	ds_load_2addr_b64 v[8:11], v12 offset0:4 offset1:5
	v_add_f32_e32 v14, v1, v3
	s_waitcnt lgkmcnt(1)
	s_delay_alu instid0(VALU_DEP_1) | instskip(NEXT) | instid1(VALU_DEP_1)
	v_dual_add_f32 v0, v17, v0 :: v_dual_add_f32 v5, v14, v5
	v_add_f32_e32 v13, v0, v2
	ds_load_2addr_b64 v[0:3], v12 offset0:6 offset1:7
	v_add_f32_e32 v5, v5, v7
	s_waitcnt lgkmcnt(1)
	s_delay_alu instid0(VALU_DEP_1) | instskip(NEXT) | instid1(VALU_DEP_1)
	v_add_f32_e32 v5, v5, v9
	v_add_f32_e32 v5, v5, v11
	s_waitcnt lgkmcnt(0)
	s_delay_alu instid0(VALU_DEP_1) | instskip(NEXT) | instid1(VALU_DEP_1)
	v_add_f32_e32 v1, v5, v1
	v_add_f32_e32 v18, v1, v3
	;; [unrolled: 1-line block ×3, first 2 shown]
	s_delay_alu instid0(VALU_DEP_1) | instskip(NEXT) | instid1(VALU_DEP_1)
	v_add_f32_e32 v4, v4, v6
	v_add_f32_e32 v4, v4, v8
	s_delay_alu instid0(VALU_DEP_1) | instskip(NEXT) | instid1(VALU_DEP_1)
	v_add_f32_e32 v4, v4, v10
	v_add_f32_e32 v0, v4, v0
	s_delay_alu instid0(VALU_DEP_1)
	v_add_f32_e32 v17, v0, v2
.LBB187_100:
	s_or_b32 exec_lo, exec_lo, s5
	s_load_b64 s[0:1], s[0:1], 0x68
	s_mul_hi_u32 s4, s15, s10
	s_mul_i32 s27, s27, s10
	s_mul_i32 s5, s15, s10
	s_add_i32 s4, s4, s27
	s_mul_hi_u32 s6, s5, s26
	s_mul_i32 s7, s4, s26
	s_mul_i32 s4, s5, s26
	s_add_i32 s5, s6, s7
	s_mul_i32 s6, s14, s15
	s_lshl_b64 s[4:5], s[4:5], 3
	v_cmp_le_i32_e32 vcc_lo, s16, v25
	v_lshlrev_b32_e32 v72, 3, v25
	s_waitcnt lgkmcnt(0)
	s_barrier
	buffer_gl0_inv
	s_add_u32 s4, s0, s4
	s_addc_u32 s5, s1, s5
	s_ashr_i32 s7, s6, 31
	s_delay_alu instid0(SALU_CYCLE_1) | instskip(NEXT) | instid1(SALU_CYCLE_1)
	s_lshl_b64 s[0:1], s[6:7], 3
	s_add_u32 s15, s4, s0
	s_addc_u32 s22, s5, s1
	s_and_b32 vcc_lo, s19, vcc_lo
	s_cmp_lt_i32 s14, 1
	s_cbranch_scc1 .LBB187_107
; %bb.101:
	v_mul_lo_u32 v0, v71, s12
	s_ashr_i32 s17, s16, 31
	v_dual_mov_b32 v1, 0 :: v_dual_and_b32 v4, 15, v25
	s_lshl_b64 s[6:7], s[16:17], 3
	v_lshrrev_b32_e32 v5, 4, v26
	v_and_b32_e32 v7, 48, v25
	s_mul_i32 s4, s18, s11
	s_delay_alu instid0(VALU_DEP_4) | instskip(SKIP_1) | instid1(VALU_DEP_1)
	v_lshl_add_u32 v2, v0, 2, v25
	v_sub_co_u32 v0, s0, v23, s20
	v_subrev_co_ci_u32_e64 v6, s0, s21, v24, s0
	s_delay_alu instid0(VALU_DEP_3) | instskip(NEXT) | instid1(VALU_DEP_3)
	v_ashrrev_i32_e32 v3, 31, v2
	v_sub_co_u32 v0, s0, v0, v21
	s_delay_alu instid0(VALU_DEP_1) | instskip(NEXT) | instid1(VALU_DEP_3)
	v_sub_co_ci_u32_e64 v6, s0, v6, v22, s0
	v_lshlrev_b64 v[2:3], 3, v[2:3]
	s_ashr_i32 s5, s4, 31
	v_lshlrev_b32_e32 v8, 3, v7
	s_lshl_b64 s[4:5], s[4:5], 3
	v_lshl_add_u32 v80, v71, 5, 0x2180
	v_mad_u32_u24 v81, 0x860, v71, v72
	v_add_co_u32 v0, s0, v0, v2
	s_delay_alu instid0(VALU_DEP_1) | instskip(SKIP_1) | instid1(VALU_DEP_3)
	v_add_co_ci_u32_e64 v2, s0, v6, v3, s0
	v_mad_u32_u24 v77, 0x218, v4, v8
	v_add_co_u32 v0, s0, 0xffffff00, v0
	s_delay_alu instid0(VALU_DEP_1) | instskip(SKIP_1) | instid1(VALU_DEP_2)
	v_add_co_ci_u32_e64 v2, s0, -1, v2, s0
	s_ashr_i32 s13, s12, 31
	v_sub_co_u32 v3, s0, v0, v72
	s_delay_alu instid0(VALU_DEP_1) | instskip(SKIP_1) | instid1(VALU_DEP_2)
	v_subrev_co_ci_u32_e64 v6, s0, 0, v2, s0
	s_lshl_b32 s18, s11, 6
	v_add_co_u32 v3, s0, v3, s6
	s_delay_alu instid0(VALU_DEP_1) | instskip(SKIP_1) | instid1(VALU_DEP_2)
	v_add_co_ci_u32_e64 v6, s0, s7, v6, s0
	s_lshl_b64 s[6:7], s[12:13], 4
	v_add_co_u32 v9, s0, v3, -8
	s_delay_alu instid0(VALU_DEP_1) | instskip(SKIP_3) | instid1(VALU_DEP_4)
	v_add_co_ci_u32_e64 v3, s0, -1, v6, s0
	v_add_nc_u32_e32 v73, 0x2180, v72
	v_lshlrev_b32_e32 v6, 5, v5
	v_sub_co_u32 v74, s0, v19, s4
	v_dual_cndmask_b32 v3, v2, v3 :: v_dual_add_nc_u32 v76, 0x2380, v72
	v_cndmask_b32_e32 v2, v0, v9, vcc_lo
	v_or_b32_e32 v0, 0x78, v72
	v_subrev_co_ci_u32_e64 v75, s0, s5, v20, s0
	v_cmp_gt_u32_e64 s0, 64, v26
	v_mad_u32_u24 v79, 0x218, v4, v6
	s_delay_alu instid0(VALU_DEP_4)
	v_mad_u32_u24 v78, 0x218, v4, v0
	v_lshlrev_b32_e32 v0, 3, v5
	s_lshl_b64 s[4:5], s[12:13], 3
	s_lshl_b64 s[8:9], s[12:13], 9
	s_mul_hi_i32 s19, s12, 24
	s_mul_i32 s20, s12, 24
	v_mad_u32_u24 v82, 0x218, v4, v0
	v_or_b32_e32 v0, v7, v4
	s_lshl_b64 s[10:11], s[12:13], 7
	s_mul_hi_i32 s21, s12, 0x90
	s_mul_i32 s23, s12, 0x90
	s_mul_hi_i32 s24, s12, 0x98
	s_mul_i32 s25, s12, 0x98
	s_lshl_b64 s[16:17], s[12:13], 8
	s_mul_hi_i32 s26, s12, 0x110
	s_mul_i32 s27, s12, 0x110
	s_mul_hi_i32 s28, s12, 0x118
	s_mul_i32 s29, s12, 0x118
	;; [unrolled: 2-line block ×8, first 2 shown]
	s_mov_b32 s12, 0
	s_branch .LBB187_103
.LBB187_102:                            ;   in Loop: Header=BB187_103 Depth=1
	s_or_b32 exec_lo, exec_lo, s13
	v_dual_mul_f32 v83, v13, v5 :: v_dual_mul_f32 v84, v30, v11
	v_dual_mul_f32 v13, v13, v4 :: v_dual_mul_f32 v30, v30, v10
	v_mul_f32_e32 v85, v28, v9
	s_delay_alu instid0(VALU_DEP_3) | instskip(SKIP_3) | instid1(VALU_DEP_4)
	v_fma_f32 v4, v12, v4, -v83
	v_dual_mul_f32 v28, v28, v8 :: v_dual_mul_f32 v83, v26, v7
	v_mul_f32_e32 v26, v26, v6
	v_fma_f32 v10, v29, v10, -v84
	v_dual_add_f32 v4, v17, v4 :: v_dual_fmac_f32 v13, v12, v5
	v_mul_f32_e32 v17, v42, v24
	v_fma_f32 v5, v27, v8, -v85
	v_fmac_f32_e32 v30, v29, v11
	s_delay_alu instid0(VALU_DEP_4)
	v_add_f32_e32 v4, v4, v10
	v_fmac_f32_e32 v26, v25, v7
	v_add_f32_e32 v10, v18, v13
	v_fma_f32 v6, v25, v6, -v83
	v_mul_f32_e32 v8, v46, v22
	v_add_f32_e32 v4, v4, v5
	v_mul_f32_e32 v5, v46, v21
	v_dual_fmac_f32 v28, v27, v9 :: v_dual_add_f32 v9, v10, v30
	v_fma_f32 v10, v41, v23, -v17
	v_add_co_u32 v2, s1, v2, s8
	s_delay_alu instid0(VALU_DEP_4) | instskip(NEXT) | instid1(VALU_DEP_4)
	v_dual_fmac_f32 v5, v45, v22 :: v_dual_mul_f32 v42, v42, v23
	v_add_f32_e32 v7, v9, v28
	v_mul_f32_e32 v9, v40, v15
	v_fma_f32 v8, v45, v21, -v8
	v_add_co_ci_u32_e64 v3, s1, s9, v3, s1
	s_delay_alu instid0(VALU_DEP_4) | instskip(NEXT) | instid1(VALU_DEP_4)
	v_dual_fmac_f32 v42, v41, v24 :: v_dual_add_f32 v7, v7, v26
	v_fma_f32 v9, v39, v14, -v9
	v_add_nc_u32_e32 v0, 64, v0
	s_add_i32 s14, s14, -1
	s_add_i32 s12, s12, s18
	v_add_f32_e32 v7, v7, v42
	v_add_f32_e32 v4, v4, v6
	s_cmp_eq_u32 s14, 0
	s_waitcnt_vscnt null, 0x0
	s_barrier
	s_delay_alu instid0(VALU_DEP_1)
	v_dual_add_f32 v5, v7, v5 :: v_dual_add_f32 v4, v4, v10
	v_mul_f32_e32 v7, v40, v14
	v_mul_f32_e32 v6, v44, v20
	buffer_gl0_inv
	v_mul_f32_e32 v10, v66, v47
	v_dual_fmac_f32 v7, v39, v15 :: v_dual_add_f32 v4, v4, v8
	v_mul_f32_e32 v8, v44, v19
	v_fma_f32 v6, v43, v19, -v6
	s_delay_alu instid0(VALU_DEP_4) | instskip(NEXT) | instid1(VALU_DEP_3)
	v_fmac_f32_e32 v10, v65, v48
	v_fmac_f32_e32 v8, v43, v20
	s_delay_alu instid0(VALU_DEP_1) | instskip(NEXT) | instid1(VALU_DEP_1)
	v_dual_add_f32 v5, v5, v8 :: v_dual_mul_f32 v8, v56, v37
	v_dual_add_f32 v5, v5, v7 :: v_dual_add_f32 v4, v4, v6
	s_delay_alu instid0(VALU_DEP_2) | instskip(SKIP_1) | instid1(VALU_DEP_2)
	v_dual_mul_f32 v7, v62, v35 :: v_dual_fmac_f32 v8, v55, v38
	v_mul_f32_e32 v6, v56, v38
	v_dual_add_f32 v4, v4, v9 :: v_dual_fmac_f32 v7, v61, v36
	v_mul_f32_e32 v9, v62, v36
	s_delay_alu instid0(VALU_DEP_4) | instskip(NEXT) | instid1(VALU_DEP_4)
	v_add_f32_e32 v5, v5, v8
	v_fma_f32 v6, v55, v37, -v6
	s_delay_alu instid0(VALU_DEP_2) | instskip(NEXT) | instid1(VALU_DEP_2)
	v_dual_mul_f32 v8, v60, v33 :: v_dual_add_f32 v5, v5, v7
	v_add_f32_e32 v4, v4, v6
	v_fma_f32 v6, v61, v35, -v9
	v_mul_f32_e32 v9, v60, v34
	s_delay_alu instid0(VALU_DEP_4) | instskip(SKIP_1) | instid1(VALU_DEP_4)
	v_fmac_f32_e32 v8, v59, v34
	v_mul_f32_e32 v7, v64, v54
	v_add_f32_e32 v4, v4, v6
	s_delay_alu instid0(VALU_DEP_4) | instskip(NEXT) | instid1(VALU_DEP_4)
	v_fma_f32 v6, v59, v33, -v9
	v_add_f32_e32 v5, v5, v8
	s_delay_alu instid0(VALU_DEP_2) | instskip(NEXT) | instid1(VALU_DEP_1)
	v_dual_mul_f32 v9, v58, v32 :: v_dual_add_f32 v4, v4, v6
	v_fma_f32 v6, v57, v31, -v9
	v_mul_f32_e32 v9, v58, v31
	s_delay_alu instid0(VALU_DEP_1) | instskip(SKIP_2) | instid1(VALU_DEP_3)
	v_dual_fmac_f32 v9, v57, v32 :: v_dual_add_f32 v4, v4, v6
	v_fma_f32 v6, v63, v53, -v7
	v_mul_f32_e32 v7, v70, v52
	v_add_f32_e32 v5, v5, v9
	v_mul_f32_e32 v9, v68, v50
	s_delay_alu instid0(VALU_DEP_4) | instskip(NEXT) | instid1(VALU_DEP_4)
	v_add_f32_e32 v4, v4, v6
	v_fma_f32 v6, v69, v51, -v7
	v_dual_mul_f32 v7, v70, v51 :: v_dual_mul_f32 v8, v64, v53
	s_delay_alu instid0(VALU_DEP_1) | instskip(NEXT) | instid1(VALU_DEP_1)
	v_dual_fmac_f32 v7, v69, v52 :: v_dual_fmac_f32 v8, v63, v54
	v_dual_add_f32 v5, v5, v8 :: v_dual_add_f32 v4, v4, v6
	v_mul_f32_e32 v6, v68, v49
	v_fma_f32 v8, v67, v49, -v9
	v_mul_f32_e32 v9, v66, v48
	s_delay_alu instid0(VALU_DEP_2) | instskip(NEXT) | instid1(VALU_DEP_2)
	v_dual_add_f32 v5, v5, v7 :: v_dual_add_f32 v4, v4, v8
	v_fma_f32 v7, v65, v47, -v9
	s_delay_alu instid0(VALU_DEP_1) | instskip(NEXT) | instid1(VALU_DEP_1)
	v_dual_fmac_f32 v6, v67, v50 :: v_dual_add_f32 v17, v4, v7
	v_add_f32_e32 v5, v5, v6
	s_delay_alu instid0(VALU_DEP_1)
	v_add_f32_e32 v18, v5, v10
	s_cbranch_scc1 .LBB187_107
.LBB187_103:                            ; =>This Inner Loop Header: Depth=1
	s_and_saveexec_b32 s43, s3
	s_cbranch_execz .LBB187_105
; %bb.104:                              ;   in Loop: Header=BB187_103 Depth=1
	s_ashr_i32 s13, s12, 31
	s_delay_alu instid0(SALU_CYCLE_1) | instskip(NEXT) | instid1(SALU_CYCLE_1)
	s_lshl_b64 s[44:45], s[12:13], 3
	v_add_co_u32 v4, s1, v74, s44
	s_delay_alu instid0(VALU_DEP_1)
	v_add_co_ci_u32_e64 v5, s1, s45, v75, s1
	flat_load_b64 v[4:5], v[4:5]
	s_waitcnt vmcnt(0) lgkmcnt(0)
	ds_store_b64 v73, v[4:5]
.LBB187_105:                            ;   in Loop: Header=BB187_103 Depth=1
	s_or_b32 exec_lo, exec_lo, s43
	v_add_co_u32 v6, s1, v2, s4
	s_delay_alu instid0(VALU_DEP_1) | instskip(SKIP_1) | instid1(VALU_DEP_1)
	v_add_co_ci_u32_e64 v7, s1, s5, v3, s1
	v_add_co_u32 v8, s1, v2, s6
	v_add_co_ci_u32_e64 v9, s1, s7, v3, s1
	v_add_co_u32 v12, s1, v2, s20
	s_delay_alu instid0(VALU_DEP_1)
	v_add_co_ci_u32_e64 v13, s1, s19, v3, s1
	s_waitcnt lgkmcnt(0)
	s_barrier
	buffer_gl0_inv
	s_clause 0x3
	flat_load_b64 v[4:5], v[2:3]
	flat_load_b64 v[10:11], v[6:7]
	;; [unrolled: 1-line block ×4, first 2 shown]
	ds_load_b64 v[14:15], v76
	ds_load_b64 v[12:13], v80
	v_add_co_u32 v19, s1, v2, s10
	s_delay_alu instid0(VALU_DEP_1) | instskip(SKIP_1) | instid1(VALU_DEP_1)
	v_add_co_ci_u32_e64 v20, s1, s11, v3, s1
	v_add_co_u32 v21, s1, v2, s42
	v_add_co_ci_u32_e64 v22, s1, s41, v3, s1
	v_add_co_u32 v31, s1, v2, s23
	s_delay_alu instid0(VALU_DEP_1)
	v_add_co_ci_u32_e64 v32, s1, s21, v3, s1
	s_waitcnt vmcnt(2) lgkmcnt(1)
	v_mul_f32_e32 v26, v15, v11
	s_waitcnt vmcnt(1)
	v_mul_f32_e32 v34, v15, v8
	s_waitcnt vmcnt(0)
	v_dual_mul_f32 v23, v15, v5 :: v_dual_mul_f32 v36, v14, v7
	v_mul_f32_e32 v25, v15, v10
	v_mul_f32_e32 v27, v15, v9
	v_fmac_f32_e32 v34, v14, v9
	v_mul_f32_e32 v24, v15, v4
	v_fma_f32 v23, v14, v4, -v23
	v_fmac_f32_e32 v25, v14, v11
	v_mul_f32_e32 v28, v15, v7
	v_fma_f32 v33, v14, v8, -v27
	v_fmac_f32_e32 v24, v14, v5
	v_fmac_f32_e32 v36, v15, v6
	s_delay_alu instid0(VALU_DEP_4) | instskip(SKIP_4) | instid1(VALU_DEP_1)
	v_fma_f32 v35, v14, v6, -v28
	ds_store_b64 v81, v[23:24]
	v_fma_f32 v24, v14, v10, -v26
	ds_load_b64 v[29:30], v80 offset:8
	v_add_co_u32 v14, s1, v2, s25
	v_add_co_ci_u32_e64 v15, s1, s24, v3, s1
	ds_store_b64 v81, v[24:25] offset:536
	ds_load_b64 v[27:28], v80 offset:16
	ds_store_b64 v81, v[33:34] offset:1072
	ds_load_b64 v[25:26], v80 offset:24
	ds_store_b64 v81, v[35:36] offset:1608
	s_waitcnt lgkmcnt(0)
	s_barrier
	buffer_gl0_inv
	ds_load_2addr_b64 v[83:86], v79 offset1:1
	ds_load_2addr_b64 v[87:90], v79 offset0:2 offset1:3
	s_waitcnt lgkmcnt(0)
	s_barrier
	buffer_gl0_inv
	s_clause 0x3
	flat_load_b64 v[23:24], v[19:20]
	flat_load_b64 v[21:22], v[21:22]
	;; [unrolled: 1-line block ×4, first 2 shown]
	ds_load_b64 v[31:32], v76
	ds_load_b64 v[41:42], v80 offset:128
	v_add_co_u32 v33, s1, v2, s16
	s_delay_alu instid0(VALU_DEP_1) | instskip(SKIP_1) | instid1(VALU_DEP_1)
	v_add_co_ci_u32_e64 v34, s1, s17, v3, s1
	v_add_co_u32 v35, s1, v2, s40
	v_add_co_ci_u32_e64 v36, s1, s39, v3, s1
	v_add_co_u32 v47, s1, v2, s27
	s_delay_alu instid0(VALU_DEP_1)
	v_add_co_ci_u32_e64 v48, s1, s26, v3, s1
	v_add_f32_e32 v111, 0, v83
	s_waitcnt vmcnt(2) lgkmcnt(1)
	v_mul_f32_e32 v39, v32, v22
	v_mul_f32_e32 v37, v32, v24
	v_mul_f32_e32 v38, v32, v23
	v_mul_f32_e32 v40, v32, v21
	s_waitcnt vmcnt(1)
	v_mul_f32_e32 v43, v32, v20
	v_mul_f32_e32 v50, v32, v19
	s_waitcnt vmcnt(0)
	v_mul_f32_e32 v44, v32, v15
	v_mul_f32_e32 v52, v31, v15
	v_fma_f32 v37, v31, v23, -v37
	v_fmac_f32_e32 v38, v31, v24
	v_fma_f32 v39, v31, v21, -v39
	v_fmac_f32_e32 v40, v31, v22
	;; [unrolled: 2-line block ×4, first 2 shown]
	ds_store_b64 v81, v[37:38]
	ds_load_b64 v[45:46], v80 offset:136
	ds_store_b64 v81, v[39:40] offset:536
	v_add_co_u32 v31, s1, v2, s29
	ds_load_b64 v[43:44], v80 offset:144
	ds_store_b64 v81, v[49:50] offset:1072
	ds_load_b64 v[39:40], v80 offset:152
	ds_store_b64 v81, v[51:52] offset:1608
	s_waitcnt lgkmcnt(0)
	s_barrier
	buffer_gl0_inv
	ds_load_2addr_b64 v[91:94], v79 offset1:1
	ds_load_2addr_b64 v[95:98], v79 offset0:2 offset1:3
	s_waitcnt lgkmcnt(0)
	s_barrier
	buffer_gl0_inv
	flat_load_b64 v[37:38], v[33:34]
	v_add_co_ci_u32_e64 v32, s1, s28, v3, s1
	s_clause 0x2
	flat_load_b64 v[35:36], v[35:36]
	flat_load_b64 v[33:34], v[47:48]
	;; [unrolled: 1-line block ×3, first 2 shown]
	ds_load_b64 v[47:48], v76
	ds_load_b64 v[55:56], v80 offset:256
	v_add_co_u32 v49, s1, v2, s31
	s_delay_alu instid0(VALU_DEP_1) | instskip(SKIP_1) | instid1(VALU_DEP_1)
	v_add_co_ci_u32_e64 v50, s1, s30, v3, s1
	v_add_co_u32 v51, s1, v2, s38
	v_add_co_ci_u32_e64 v52, s1, s37, v3, s1
	v_add_f32_e32 v91, 0, v91
	v_add_co_u32 v63, s1, v2, s34
	s_delay_alu instid0(VALU_DEP_1) | instskip(NEXT) | instid1(VALU_DEP_3)
	v_add_co_ci_u32_e64 v64, s1, s33, v3, s1
	v_dual_add_f32 v92, 0, v92 :: v_dual_add_f32 v91, v91, v93
	s_waitcnt vmcnt(3) lgkmcnt(1)
	v_mul_f32_e32 v53, v48, v38
	v_mul_f32_e32 v54, v48, v37
	s_waitcnt vmcnt(2)
	v_mul_f32_e32 v57, v48, v36
	v_mul_f32_e32 v58, v48, v35
	s_waitcnt vmcnt(1)
	;; [unrolled: 3-line block ×3, first 2 shown]
	v_mul_f32_e32 v60, v48, v32
	v_mul_f32_e32 v68, v47, v32
	v_fma_f32 v53, v47, v37, -v53
	v_fmac_f32_e32 v54, v47, v38
	v_fma_f32 v57, v47, v35, -v57
	v_fmac_f32_e32 v58, v47, v36
	;; [unrolled: 2-line block ×4, first 2 shown]
	ds_store_b64 v81, v[53:54]
	ds_load_b64 v[61:62], v80 offset:264
	ds_store_b64 v81, v[57:58] offset:536
	v_add_co_u32 v47, s1, v2, s36
	ds_load_b64 v[59:60], v80 offset:272
	ds_store_b64 v81, v[65:66] offset:1072
	ds_load_b64 v[57:58], v80 offset:280
	ds_store_b64 v81, v[67:68] offset:1608
	s_waitcnt lgkmcnt(0)
	s_barrier
	buffer_gl0_inv
	ds_load_2addr_b64 v[99:102], v79 offset1:1
	ds_load_2addr_b64 v[103:106], v79 offset0:2 offset1:3
	s_waitcnt lgkmcnt(0)
	s_barrier
	buffer_gl0_inv
	flat_load_b64 v[53:54], v[49:50]
	v_add_co_ci_u32_e64 v48, s1, s35, v3, s1
	s_clause 0x2
	flat_load_b64 v[51:52], v[51:52]
	flat_load_b64 v[49:50], v[63:64]
	;; [unrolled: 1-line block ×3, first 2 shown]
	ds_load_b64 v[65:66], v76
	ds_load_b64 v[63:64], v80 offset:384
	s_waitcnt vmcnt(3) lgkmcnt(1)
	v_dual_add_f32 v112, 0, v84 :: v_dual_mul_f32 v67, v66, v54
	v_mul_f32_e32 v68, v66, v53
	s_waitcnt vmcnt(2)
	v_mul_f32_e32 v69, v66, v52
	v_mul_f32_e32 v84, v66, v51
	s_waitcnt vmcnt(1)
	v_mul_f32_e32 v70, v66, v50
	v_mul_f32_e32 v108, v66, v49
	s_waitcnt vmcnt(0)
	v_mul_f32_e32 v109, v66, v48
	v_mul_f32_e32 v110, v65, v48
	v_fma_f32 v67, v65, v53, -v67
	v_fmac_f32_e32 v68, v65, v54
	v_fma_f32 v83, v65, v51, -v69
	v_fmac_f32_e32 v84, v65, v52
	;; [unrolled: 2-line block ×4, first 2 shown]
	ds_store_b64 v81, v[67:68]
	ds_load_b64 v[69:70], v80 offset:392
	ds_store_b64 v81, v[83:84] offset:536
	ds_load_b64 v[67:68], v80 offset:400
	ds_store_b64 v81, v[107:108] offset:1072
	;; [unrolled: 2-line block ×3, first 2 shown]
	s_waitcnt lgkmcnt(0)
	s_barrier
	buffer_gl0_inv
	ds_load_2addr_b64 v[107:110], v79 offset1:1
	v_dual_add_f32 v83, v111, v85 :: v_dual_add_f32 v84, v112, v86
	s_delay_alu instid0(VALU_DEP_1)
	v_dual_add_f32 v87, v83, v87 :: v_dual_add_f32 v88, v84, v88
	ds_load_2addr_b64 v[83:86], v79 offset0:2 offset1:3
	s_waitcnt lgkmcnt(0)
	s_barrier
	v_dual_add_f32 v87, v87, v89 :: v_dual_add_f32 v88, v88, v90
	v_dual_add_f32 v89, v92, v94 :: v_dual_add_f32 v90, v91, v95
	;; [unrolled: 1-line block ×3, first 2 shown]
	buffer_gl0_inv
	v_add_f32_e32 v95, v89, v96
	v_add_f32_e32 v89, v90, v97
	v_dual_add_f32 v93, 0, v107 :: v_dual_add_f32 v94, 0, v108
	v_dual_add_f32 v91, v91, v101 :: v_dual_add_f32 v92, v92, v102
	s_delay_alu instid0(VALU_DEP_2) | instskip(NEXT) | instid1(VALU_DEP_2)
	v_dual_add_f32 v90, v95, v98 :: v_dual_add_f32 v93, v93, v109
	v_dual_add_f32 v94, v94, v110 :: v_dual_add_f32 v91, v91, v103
	s_delay_alu instid0(VALU_DEP_2) | instskip(NEXT) | instid1(VALU_DEP_2)
	;; [unrolled: 3-line block ×3, first 2 shown]
	v_dual_add_f32 v84, v92, v106 :: v_dual_add_f32 v85, v93, v85
	v_add_f32_e32 v86, v94, v86
	ds_store_2addr_b64 v82, v[87:88], v[89:90] offset1:16
	ds_store_2addr_b64 v82, v[83:84], v[85:86] offset0:32 offset1:48
	s_waitcnt lgkmcnt(0)
	s_barrier
	buffer_gl0_inv
	s_and_saveexec_b32 s13, s0
	s_cbranch_execz .LBB187_102
; %bb.106:                              ;   in Loop: Header=BB187_103 Depth=1
	ds_load_b64 v[94:95], v77
	ds_load_2addr_b64 v[83:86], v77 offset0:1 offset1:2
	ds_load_2addr_b64 v[87:90], v77 offset0:3 offset1:4
	s_waitcnt lgkmcnt(1)
	v_dual_add_f32 v83, v83, v94 :: v_dual_add_f32 v84, v84, v95
	ds_load_2addr_b64 v[91:94], v77 offset0:5 offset1:6
	v_add_f32_e32 v83, v83, v85
	v_add_f32_e32 v95, v84, v86
	s_waitcnt lgkmcnt(1)
	s_delay_alu instid0(VALU_DEP_2) | instskip(SKIP_3) | instid1(VALU_DEP_2)
	v_add_f32_e32 v87, v83, v87
	ds_load_2addr_b64 v[83:86], v77 offset0:7 offset1:8
	v_add_f32_e32 v88, v95, v88
	v_add_f32_e32 v87, v87, v89
	;; [unrolled: 1-line block ×3, first 2 shown]
	s_waitcnt lgkmcnt(1)
	s_delay_alu instid0(VALU_DEP_2) | instskip(SKIP_3) | instid1(VALU_DEP_2)
	v_add_f32_e32 v91, v87, v91
	ds_load_2addr_b64 v[87:90], v77 offset0:9 offset1:10
	v_add_f32_e32 v92, v95, v92
	v_add_f32_e32 v91, v91, v93
	;; [unrolled: 1-line block ×3, first 2 shown]
	s_waitcnt lgkmcnt(1)
	s_delay_alu instid0(VALU_DEP_2) | instskip(SKIP_4) | instid1(VALU_DEP_1)
	v_add_f32_e32 v83, v91, v83
	ds_load_2addr_b64 v[91:94], v77 offset0:11 offset1:12
	v_add_f32_e32 v84, v95, v84
	v_add_f32_e32 v95, v83, v85
	s_waitcnt lgkmcnt(1)
	v_add_f32_e32 v87, v95, v87
	s_delay_alu instid0(VALU_DEP_1) | instskip(SKIP_1) | instid1(VALU_DEP_1)
	v_add_f32_e32 v89, v87, v89
	s_waitcnt lgkmcnt(0)
	v_add_f32_e32 v89, v89, v91
	s_delay_alu instid0(VALU_DEP_1) | instskip(SKIP_2) | instid1(VALU_DEP_1)
	v_dual_add_f32 v89, v89, v93 :: v_dual_add_f32 v96, v84, v86
	ds_load_2addr_b64 v[83:86], v77 offset0:13 offset1:14
	v_add_f32_e32 v88, v96, v88
	v_add_f32_e32 v90, v88, v90
	ds_load_b64 v[87:88], v78
	v_add_f32_e32 v90, v90, v92
	s_waitcnt lgkmcnt(1)
	s_delay_alu instid0(VALU_DEP_1) | instskip(NEXT) | instid1(VALU_DEP_1)
	v_dual_add_f32 v90, v90, v94 :: v_dual_add_f32 v83, v89, v83
	v_dual_add_f32 v84, v90, v84 :: v_dual_add_f32 v85, v83, v85
	s_delay_alu instid0(VALU_DEP_1) | instskip(SKIP_2) | instid1(VALU_DEP_2)
	v_add_f32_e32 v86, v84, v86
	v_lshlrev_b64 v[83:84], 3, v[0:1]
	s_waitcnt lgkmcnt(0)
	v_dual_add_f32 v85, v85, v87 :: v_dual_add_f32 v86, v86, v88
	s_delay_alu instid0(VALU_DEP_2) | instskip(NEXT) | instid1(VALU_DEP_1)
	v_add_co_u32 v83, s1, s15, v83
	v_add_co_ci_u32_e64 v84, s1, s22, v84, s1
	global_store_b64 v[83:84], v[85:86], off
	s_branch .LBB187_102
.LBB187_107:
	v_mad_u32_u24 v0, 0x218, v71, v72
	s_or_b32 s0, s2, vcc_lo
	s_delay_alu instid0(SALU_CYCLE_1)
	s_xor_b32 s0, s0, -1
	ds_store_b64 v0, v[17:18]
	s_waitcnt lgkmcnt(0)
	s_barrier
	buffer_gl0_inv
	s_and_saveexec_b32 s1, s0
	s_cbranch_execz .LBB187_109
; %bb.108:
	ds_load_2addr_b64 v[0:3], v72 offset1:67
	ds_load_2addr_b64 v[4:7], v72 offset0:134 offset1:201
	v_ashrrev_i32_e32 v17, 31, v16
	s_waitcnt lgkmcnt(1)
	v_dual_add_f32 v0, v2, v0 :: v_dual_add_f32 v1, v3, v1
	s_waitcnt lgkmcnt(0)
	s_delay_alu instid0(VALU_DEP_1) | instskip(SKIP_1) | instid1(VALU_DEP_2)
	v_dual_add_f32 v2, v0, v4 :: v_dual_add_f32 v3, v1, v5
	v_lshlrev_b64 v[0:1], 3, v[16:17]
	v_dual_add_f32 v2, v2, v6 :: v_dual_add_f32 v3, v3, v7
	s_delay_alu instid0(VALU_DEP_2) | instskip(NEXT) | instid1(VALU_DEP_3)
	v_add_co_u32 v0, vcc_lo, s15, v0
	v_add_co_ci_u32_e32 v1, vcc_lo, s22, v1, vcc_lo
	global_store_b64 v[0:1], v[2:3], off
.LBB187_109:
	s_nop 0
	s_sendmsg sendmsg(MSG_DEALLOC_VGPRS)
	s_endpgm
	.section	.rodata,"a",@progbits
	.p2align	6, 0x0
	.amdhsa_kernel _ZL26rocblas_hemvn_kernel_lowerILb0ELi64ELi4ELi33ELi32ELi16Ei19rocblas_complex_numIfEPKPKS1_PS1_EviT6_lT7_lT5_lS8_lS9_lS7_lT8_i
		.amdhsa_group_segment_fixed_size 9600
		.amdhsa_private_segment_fixed_size 0
		.amdhsa_kernarg_size 376
		.amdhsa_user_sgpr_count 14
		.amdhsa_user_sgpr_dispatch_ptr 0
		.amdhsa_user_sgpr_queue_ptr 0
		.amdhsa_user_sgpr_kernarg_segment_ptr 1
		.amdhsa_user_sgpr_dispatch_id 0
		.amdhsa_user_sgpr_private_segment_size 0
		.amdhsa_wavefront_size32 1
		.amdhsa_uses_dynamic_stack 0
		.amdhsa_enable_private_segment 0
		.amdhsa_system_sgpr_workgroup_id_x 1
		.amdhsa_system_sgpr_workgroup_id_y 0
		.amdhsa_system_sgpr_workgroup_id_z 1
		.amdhsa_system_sgpr_workgroup_info 0
		.amdhsa_system_vgpr_workitem_id 1
		.amdhsa_next_free_vgpr 113
		.amdhsa_next_free_sgpr 46
		.amdhsa_reserve_vcc 1
		.amdhsa_float_round_mode_32 0
		.amdhsa_float_round_mode_16_64 0
		.amdhsa_float_denorm_mode_32 3
		.amdhsa_float_denorm_mode_16_64 3
		.amdhsa_dx10_clamp 1
		.amdhsa_ieee_mode 1
		.amdhsa_fp16_overflow 0
		.amdhsa_workgroup_processor_mode 1
		.amdhsa_memory_ordered 1
		.amdhsa_forward_progress 0
		.amdhsa_shared_vgpr_count 0
		.amdhsa_exception_fp_ieee_invalid_op 0
		.amdhsa_exception_fp_denorm_src 0
		.amdhsa_exception_fp_ieee_div_zero 0
		.amdhsa_exception_fp_ieee_overflow 0
		.amdhsa_exception_fp_ieee_underflow 0
		.amdhsa_exception_fp_ieee_inexact 0
		.amdhsa_exception_int_div_zero 0
	.end_amdhsa_kernel
	.section	.text._ZL26rocblas_hemvn_kernel_lowerILb0ELi64ELi4ELi33ELi32ELi16Ei19rocblas_complex_numIfEPKPKS1_PS1_EviT6_lT7_lT5_lS8_lS9_lS7_lT8_i,"axG",@progbits,_ZL26rocblas_hemvn_kernel_lowerILb0ELi64ELi4ELi33ELi32ELi16Ei19rocblas_complex_numIfEPKPKS1_PS1_EviT6_lT7_lT5_lS8_lS9_lS7_lT8_i,comdat
.Lfunc_end187:
	.size	_ZL26rocblas_hemvn_kernel_lowerILb0ELi64ELi4ELi33ELi32ELi16Ei19rocblas_complex_numIfEPKPKS1_PS1_EviT6_lT7_lT5_lS8_lS9_lS7_lT8_i, .Lfunc_end187-_ZL26rocblas_hemvn_kernel_lowerILb0ELi64ELi4ELi33ELi32ELi16Ei19rocblas_complex_numIfEPKPKS1_PS1_EviT6_lT7_lT5_lS8_lS9_lS7_lT8_i
                                        ; -- End function
	.section	.AMDGPU.csdata,"",@progbits
; Kernel info:
; codeLenInByte = 8524
; NumSgprs: 48
; NumVgprs: 113
; ScratchSize: 0
; MemoryBound: 1
; FloatMode: 240
; IeeeMode: 1
; LDSByteSize: 9600 bytes/workgroup (compile time only)
; SGPRBlocks: 5
; VGPRBlocks: 14
; NumSGPRsForWavesPerEU: 48
; NumVGPRsForWavesPerEU: 113
; Occupancy: 12
; WaveLimiterHint : 1
; COMPUTE_PGM_RSRC2:SCRATCH_EN: 0
; COMPUTE_PGM_RSRC2:USER_SGPR: 14
; COMPUTE_PGM_RSRC2:TRAP_HANDLER: 0
; COMPUTE_PGM_RSRC2:TGID_X_EN: 1
; COMPUTE_PGM_RSRC2:TGID_Y_EN: 0
; COMPUTE_PGM_RSRC2:TGID_Z_EN: 1
; COMPUTE_PGM_RSRC2:TIDIG_COMP_CNT: 1
	.section	.text._ZL26rocblas_hemvn_kernel_upperILb0ELi64ELi4ELi33ELi32ELi16ElPK19rocblas_complex_numIdEPKS3_PS1_EviT6_lT7_lT5_lS8_lS9_lS7_lT8_i,"axG",@progbits,_ZL26rocblas_hemvn_kernel_upperILb0ELi64ELi4ELi33ELi32ELi16ElPK19rocblas_complex_numIdEPKS3_PS1_EviT6_lT7_lT5_lS8_lS9_lS7_lT8_i,comdat
	.globl	_ZL26rocblas_hemvn_kernel_upperILb0ELi64ELi4ELi33ELi32ELi16ElPK19rocblas_complex_numIdEPKS3_PS1_EviT6_lT7_lT5_lS8_lS9_lS7_lT8_i ; -- Begin function _ZL26rocblas_hemvn_kernel_upperILb0ELi64ELi4ELi33ELi32ELi16ElPK19rocblas_complex_numIdEPKS3_PS1_EviT6_lT7_lT5_lS8_lS9_lS7_lT8_i
	.p2align	8
	.type	_ZL26rocblas_hemvn_kernel_upperILb0ELi64ELi4ELi33ELi32ELi16ElPK19rocblas_complex_numIdEPKS3_PS1_EviT6_lT7_lT5_lS8_lS9_lS7_lT8_i,@function
_ZL26rocblas_hemvn_kernel_upperILb0ELi64ELi4ELi33ELi32ELi16ElPK19rocblas_complex_numIdEPKS3_PS1_EviT6_lT7_lT5_lS8_lS9_lS7_lT8_i: ; @_ZL26rocblas_hemvn_kernel_upperILb0ELi64ELi4ELi33ELi32ELi16ElPK19rocblas_complex_numIdEPKS3_PS1_EviT6_lT7_lT5_lS8_lS9_lS7_lT8_i
; %bb.0:
	s_load_b64 s[2:3], s[0:1], 0x84
	s_add_u32 s22, s0, 0x78
	s_addc_u32 s23, s1, 0
	s_waitcnt lgkmcnt(0)
	s_lshr_b32 s4, s2, 16
	s_and_b32 s2, s2, 0xffff
	s_and_b32 s3, s3, 0xffff
	s_mul_i32 s2, s4, s2
	s_delay_alu instid0(SALU_CYCLE_1) | instskip(NEXT) | instid1(SALU_CYCLE_1)
	s_mul_i32 s2, s2, s3
	s_cmpk_lg_i32 s2, 0x100
	s_cbranch_scc1 .LBB188_158
; %bb.1:
	s_load_b256 s[4:11], s[0:1], 0x8
	s_mov_b32 s18, s15
	s_mov_b32 s19, 0
	s_waitcnt lgkmcnt(0)
	s_mul_i32 s3, s15, s7
	s_mul_hi_u32 s7, s15, s6
	s_mul_i32 s2, s15, s6
	s_add_i32 s3, s7, s3
	s_delay_alu instid0(SALU_CYCLE_1) | instskip(NEXT) | instid1(SALU_CYCLE_1)
	s_lshl_b64 s[2:3], s[2:3], 4
	s_add_u32 s2, s4, s2
	s_addc_u32 s3, s5, s3
	s_load_b128 s[4:7], s[2:3], 0x0
	s_waitcnt lgkmcnt(0)
	v_cmp_neq_f64_e64 s2, s[4:5], 0
	v_cmp_neq_f64_e64 s3, s[6:7], 0
	s_clause 0x2
	s_load_b64 s[20:21], s[0:1], 0x68
	s_load_b64 s[12:13], s[0:1], 0x28
	s_load_b128 s[4:7], s[0:1], 0x58
	s_delay_alu instid0(VALU_DEP_1)
	s_or_b32 s15, s2, s3
	s_mov_b64 s[2:3], 0
	s_and_b32 vcc_lo, exec_lo, s15
	s_cbranch_vccnz .LBB188_3
; %bb.2:
	s_waitcnt lgkmcnt(0)
	s_mul_i32 s7, s18, s7
	s_mul_hi_u32 s16, s18, s6
	s_mul_i32 s6, s18, s6
	s_add_i32 s7, s16, s7
	s_delay_alu instid0(SALU_CYCLE_1) | instskip(NEXT) | instid1(SALU_CYCLE_1)
	s_lshl_b64 s[6:7], s[6:7], 4
	s_add_u32 s4, s4, s6
	s_addc_u32 s5, s5, s7
	s_load_b128 s[4:7], s[4:5], 0x0
	s_waitcnt lgkmcnt(0)
	v_cmp_neq_f64_e64 s4, s[4:5], 1.0
	v_cmp_neq_f64_e64 s5, s[6:7], 0
	s_delay_alu instid0(VALU_DEP_1)
	s_or_b32 s4, s4, s5
	s_cbranch_execz .LBB188_4
	s_branch .LBB188_5
.LBB188_3:
	s_waitcnt lgkmcnt(0)
	s_mov_b32 s4, s19
                                        ; implicit-def: $sgpr2_sgpr3
.LBB188_4:
	s_lshl_b64 s[2:3], s[18:19], 3
	s_delay_alu instid0(SALU_CYCLE_1)
	s_add_u32 s2, s8, s2
	s_addc_u32 s3, s9, s3
	s_lshl_b64 s[4:5], s[10:11], 4
	s_load_b64 s[2:3], s[2:3], 0x0
	s_waitcnt lgkmcnt(0)
	s_add_u32 s2, s2, s4
	s_addc_u32 s3, s3, s5
	s_mov_b32 s4, -1
.LBB188_5:
	s_delay_alu instid0(SALU_CYCLE_1)
	s_and_not1_b32 vcc_lo, exec_lo, s4
	s_cbranch_vccnz .LBB188_158
; %bb.6:
	s_clause 0x1
	s_load_b128 s[4:7], s[0:1], 0x38
	s_load_b64 s[8:9], s[0:1], 0x48
	v_cndmask_b32_e64 v1, 0, 1, s15
	s_and_not1_b32 vcc_lo, exec_lo, s15
	s_mov_b64 s[10:11], 0
	s_cbranch_vccnz .LBB188_8
; %bb.7:
	s_lshl_b64 s[10:11], s[18:19], 3
	s_waitcnt lgkmcnt(0)
	s_add_u32 s4, s4, s10
	s_addc_u32 s5, s5, s11
	s_lshl_b64 s[6:7], s[6:7], 4
	s_load_b64 s[4:5], s[4:5], 0x0
	s_waitcnt lgkmcnt(0)
	s_add_u32 s10, s4, s6
	s_addc_u32 s11, s5, s7
.LBB188_8:
	s_delay_alu instid0(VALU_DEP_1)
	v_cmp_ne_u32_e32 vcc_lo, 1, v1
	s_cbranch_vccnz .LBB188_158
; %bb.9:
	v_and_b32_e32 v183, 0x3ff, v0
	s_lshl_b32 s16, s14, 6
	s_load_b32 s24, s[0:1], 0x0
	s_waitcnt lgkmcnt(0)
	s_load_b32 s7, s[22:23], 0x0
	v_bfe_u32 v0, v0, 10, 10
	v_add_nc_u32_e32 v4, s16, v183
	s_mov_b32 s4, -1
	scratch_store_b32 off, v0, off offset:4 ; 4-byte Folded Spill
	v_ashrrev_i32_e32 v5, 31, v4
	v_mul_lo_u32 v3, v4, s9
	v_mad_u64_u32 v[1:2], null, v4, s8, 0
	scratch_store_b64 off, v[4:5], off offset:8 ; 8-byte Folded Spill
	v_mul_lo_u32 v4, v5, s8
	s_ashr_i32 s25, s24, 31
	s_waitcnt lgkmcnt(0)
	s_add_i32 s1, s7, -1
	s_delay_alu instid0(VALU_DEP_1) | instskip(SKIP_1) | instid1(SALU_CYCLE_1)
	v_add3_u32 v2, v2, v3, v4
	s_lshr_b32 s0, s25, 26
	s_add_i32 s0, s24, s0
	s_delay_alu instid0(VALU_DEP_1) | instskip(SKIP_1) | instid1(SALU_CYCLE_1)
	v_lshlrev_b64 v[1:2], 4, v[1:2]
	s_and_not1_b32 s0, s0, 63
	s_sub_i32 s15, s24, s0
	v_cmp_eq_u32_e64 s0, 0, v0
	s_cmp_eq_u32 s14, s1
	s_delay_alu instid0(VALU_DEP_2)
	v_add_co_u32 v38, vcc_lo, s10, v1
	v_add_co_ci_u32_e32 v39, vcc_lo, s11, v2, vcc_lo
	s_cselect_b32 s10, s15, 0
	s_and_saveexec_b32 s1, s0
	s_cbranch_execz .LBB188_14
; %bb.10:
	v_cmp_le_i32_e32 vcc_lo, s10, v183
	s_cmp_lg_u32 s10, 0
	v_lshl_add_u32 v0, v183, 4, 0x4700
	s_cselect_b32 s5, -1, 0
	s_delay_alu instid0(SALU_CYCLE_1) | instskip(NEXT) | instid1(SALU_CYCLE_1)
	s_and_b32 s5, s5, vcc_lo
	s_and_saveexec_b32 s6, s5
	s_delay_alu instid0(SALU_CYCLE_1)
	s_xor_b32 s5, exec_lo, s6
	s_cbranch_execz .LBB188_12
; %bb.11:
	v_mov_b32_e32 v1, 0
	s_delay_alu instid0(VALU_DEP_1)
	v_mov_b32_e32 v2, v1
	v_mov_b32_e32 v3, v1
	v_mov_b32_e32 v4, v1
	ds_store_b128 v0, v[1:4]
                                        ; implicit-def: $vgpr0
.LBB188_12:
	s_and_not1_saveexec_b32 s5, s5
	s_cbranch_execz .LBB188_14
; %bb.13:
	flat_load_b128 v[1:4], v[38:39]
	s_waitcnt vmcnt(0) lgkmcnt(0)
	ds_store_2addr_b64 v0, v[1:2], v[3:4] offset1:1
.LBB188_14:
	s_or_b32 exec_lo, exec_lo, s1
	scratch_load_b32 v0, off, off offset:4  ; 4-byte Folded Reload
	v_dual_mov_b32 v5, 0 :: v_dual_and_b32 v4, 31, v183
	s_ashr_i32 s17, s16, 31
	s_mul_i32 s1, s16, s13
	s_lshl_b64 s[22:23], s[16:17], 4
	s_mul_hi_u32 s5, s16, s12
	s_add_u32 s11, s2, s22
	s_mul_i32 s6, s17, s12
	s_addc_u32 s19, s3, s23
	s_add_i32 s1, s5, s1
	s_mul_i32 s2, s16, s12
	s_add_i32 s3, s1, s6
	v_cmp_gt_i32_e64 s1, s10, v4
	s_lshl_b64 s[2:3], s[2:3], 4
	v_lshlrev_b32_e32 v13, 4, v4
	s_add_u32 s2, s2, s11
	s_addc_u32 s3, s3, s19
	s_cmp_eq_u32 s10, 0
	s_cselect_b32 s19, -1, 0
	s_cmp_lg_u32 s10, 0
	s_cselect_b32 s26, -1, 0
	s_delay_alu instid0(SALU_CYCLE_1) | instskip(SKIP_2) | instid1(VALU_DEP_1)
	s_and_b32 vcc_lo, exec_lo, s26
	s_waitcnt vmcnt(0)
	v_lshl_add_u32 v42, v0, 6, v183
	v_lshrrev_b32_e32 v11, 5, v42
	s_delay_alu instid0(VALU_DEP_1) | instskip(SKIP_1) | instid1(VALU_DEP_2)
	v_mad_u64_u32 v[0:1], null, v11, s12, v[4:5]
	v_mul_u32_u24_e32 v12, 33, v11
	v_mad_u64_u32 v[2:3], null, v11, s13, v[1:2]
	s_delay_alu instid0(VALU_DEP_1) | instskip(NEXT) | instid1(VALU_DEP_1)
	v_mov_b32_e32 v1, v2
	v_lshlrev_b64 v[36:37], 4, v[0:1]
	s_delay_alu instid0(VALU_DEP_1) | instskip(NEXT) | instid1(VALU_DEP_1)
	v_add_co_u32 v0, s2, s2, v36
	v_add_co_ci_u32_e64 v1, s2, s3, v37, s2
	s_cbranch_vccz .LBB188_32
; %bb.15:
	s_delay_alu instid0(VALU_DEP_2) | instskip(SKIP_1) | instid1(VALU_DEP_2)
	v_sub_co_u32 v2, vcc_lo, v0, v13
	s_ashr_i32 s11, s10, 31
	v_subrev_co_ci_u32_e32 v3, vcc_lo, 0, v1, vcc_lo
	s_lshl_b64 s[2:3], s[10:11], 4
	v_add_lshl_u32 v5, v12, v4, 4
	v_add_co_u32 v2, vcc_lo, v2, s2
	s_delay_alu instid0(VALU_DEP_3) | instskip(SKIP_1) | instid1(VALU_DEP_2)
	v_add_co_ci_u32_e32 v3, vcc_lo, s3, v3, vcc_lo
	s_mov_b32 s4, exec_lo
	v_add_co_u32 v2, vcc_lo, v2, -16
	s_delay_alu instid0(VALU_DEP_2) | instskip(NEXT) | instid1(VALU_DEP_2)
	v_add_co_ci_u32_e32 v3, vcc_lo, -1, v3, vcc_lo
	v_cndmask_b32_e64 v2, v2, v0, s1
	s_delay_alu instid0(VALU_DEP_2)
	v_cndmask_b32_e64 v3, v3, v1, s1
	v_cmpx_le_i32_e64 s10, v11
	s_xor_b32 s4, exec_lo, s4
	s_cbranch_execz .LBB188_17
; %bb.16:
	v_mov_b32_e32 v6, 0
	s_delay_alu instid0(VALU_DEP_1)
	v_mov_b32_e32 v7, v6
	v_mov_b32_e32 v8, v6
	;; [unrolled: 1-line block ×3, first 2 shown]
	ds_store_b128 v5, v[6:9]
.LBB188_17:
	s_and_not1_saveexec_b32 s4, s4
	s_cbranch_execz .LBB188_19
; %bb.18:
	flat_load_b128 v[6:9], v[2:3]
	s_waitcnt vmcnt(0) lgkmcnt(0)
	ds_store_2addr_b64 v5, v[6:7], v[8:9] offset1:1
.LBB188_19:
	s_or_b32 exec_lo, exec_lo, s4
	v_add_nc_u32_e32 v6, 8, v11
	s_mov_b32 s4, exec_lo
	s_delay_alu instid0(VALU_DEP_1)
	v_cmpx_le_i32_e64 s10, v6
	s_xor_b32 s4, exec_lo, s4
	s_cbranch_execz .LBB188_21
; %bb.20:
	v_mul_u32_u24_e32 v7, 33, v6
	v_mov_b32_e32 v6, 0
	s_delay_alu instid0(VALU_DEP_2) | instskip(NEXT) | instid1(VALU_DEP_2)
	v_add_lshl_u32 v10, v7, v4, 4
	v_mov_b32_e32 v7, v6
	v_mov_b32_e32 v8, v6
	v_mov_b32_e32 v9, v6
	ds_store_b128 v10, v[6:9]
.LBB188_21:
	s_and_not1_saveexec_b32 s4, s4
	s_cbranch_execz .LBB188_23
; %bb.22:
	s_lshl_b64 s[22:23], s[12:13], 7
	v_add_nc_u32_e32 v10, 0x1080, v5
	v_add_co_u32 v6, vcc_lo, v2, s22
	v_add_co_ci_u32_e32 v7, vcc_lo, s23, v3, vcc_lo
	flat_load_b128 v[6:9], v[6:7]
	s_waitcnt vmcnt(0) lgkmcnt(0)
	ds_store_2addr_b64 v10, v[6:7], v[8:9] offset1:1
.LBB188_23:
	s_or_b32 exec_lo, exec_lo, s4
	v_add_nc_u32_e32 v6, 16, v11
	s_mov_b32 s4, exec_lo
	s_delay_alu instid0(VALU_DEP_1)
	v_cmpx_le_i32_e64 s10, v6
	s_xor_b32 s4, exec_lo, s4
	s_cbranch_execz .LBB188_25
; %bb.24:
	v_mov_b32_e32 v6, 0
	s_delay_alu instid0(VALU_DEP_1)
	v_mov_b32_e32 v7, v6
	v_mov_b32_e32 v8, v6
	;; [unrolled: 1-line block ×3, first 2 shown]
	ds_store_b128 v5, v[6:9] offset:8448
.LBB188_25:
	s_and_not1_saveexec_b32 s4, s4
	s_cbranch_execz .LBB188_27
; %bb.26:
	s_lshl_b64 s[22:23], s[12:13], 8
	v_add_nc_u32_e32 v10, 0x2100, v5
	v_add_co_u32 v6, vcc_lo, v2, s22
	v_add_co_ci_u32_e32 v7, vcc_lo, s23, v3, vcc_lo
	flat_load_b128 v[6:9], v[6:7]
	s_waitcnt vmcnt(0) lgkmcnt(0)
	ds_store_2addr_b64 v10, v[6:7], v[8:9] offset1:1
.LBB188_27:
	s_or_b32 exec_lo, exec_lo, s4
	v_add_nc_u32_e32 v6, 24, v11
	s_mov_b32 s4, exec_lo
	s_delay_alu instid0(VALU_DEP_1)
	v_cmpx_le_i32_e64 s10, v6
	s_xor_b32 s4, exec_lo, s4
	s_cbranch_execz .LBB188_29
; %bb.28:
	v_mov_b32_e32 v6, 0
	s_delay_alu instid0(VALU_DEP_1)
	v_mov_b32_e32 v7, v6
	v_mov_b32_e32 v8, v6
	;; [unrolled: 1-line block ×3, first 2 shown]
	ds_store_b128 v5, v[6:9] offset:12672
                                        ; implicit-def: $vgpr5
.LBB188_29:
	s_and_not1_saveexec_b32 s4, s4
	s_cbranch_execz .LBB188_31
; %bb.30:
	v_mad_u64_u32 v[6:7], null, 0x180, s12, v[2:3]
	v_add_nc_u32_e32 v5, 0x3180, v5
	s_delay_alu instid0(VALU_DEP_2) | instskip(NEXT) | instid1(VALU_DEP_1)
	v_mad_u64_u32 v[8:9], null, 0x180, s13, v[7:8]
	v_mov_b32_e32 v7, v8
	flat_load_b128 v[6:9], v[6:7]
	s_waitcnt vmcnt(0) lgkmcnt(0)
	ds_store_2addr_b64 v5, v[6:7], v[8:9] offset1:1
.LBB188_31:
	s_or_b32 exec_lo, exec_lo, s4
	v_add_co_u32 v2, vcc_lo, v2, v13
	v_add_co_ci_u32_e32 v3, vcc_lo, 0, v3, vcc_lo
	s_delay_alu instid0(VALU_DEP_2) | instskip(NEXT) | instid1(VALU_DEP_2)
	v_sub_co_u32 v2, vcc_lo, v2, s2
	v_subrev_co_ci_u32_e32 v3, vcc_lo, s3, v3, vcc_lo
	s_delay_alu instid0(VALU_DEP_2) | instskip(NEXT) | instid1(VALU_DEP_2)
	v_add_co_u32 v2, vcc_lo, v2, 16
	v_add_co_ci_u32_e32 v3, vcc_lo, 0, v3, vcc_lo
	s_delay_alu instid0(VALU_DEP_2) | instskip(NEXT) | instid1(VALU_DEP_2)
	v_cndmask_b32_e64 v5, v2, v0, s1
	v_cndmask_b32_e64 v6, v3, v1, s1
	s_branch .LBB188_34
.LBB188_32:
                                        ; implicit-def: $vgpr5_vgpr6
	s_and_b32 vcc_lo, exec_lo, s4
	s_cbranch_vccz .LBB188_34
; %bb.33:
	flat_load_b128 v[5:8], v[0:1]
	s_lshl_b64 s[2:3], s[12:13], 7
	v_add_lshl_u32 v14, v12, v4, 4
	v_add_co_u32 v2, vcc_lo, v0, s2
	v_add_co_ci_u32_e32 v3, vcc_lo, s3, v1, vcc_lo
	s_delay_alu instid0(VALU_DEP_3)
	v_add_nc_u32_e32 v9, 0x1080, v14
	s_waitcnt vmcnt(0) lgkmcnt(0)
	ds_store_2addr_b64 v14, v[5:6], v[7:8] offset1:1
	flat_load_b128 v[5:8], v[2:3]
	v_add_co_u32 v2, vcc_lo, v2, s2
	v_add_co_ci_u32_e32 v3, vcc_lo, s3, v3, vcc_lo
	s_waitcnt vmcnt(0) lgkmcnt(0)
	ds_store_2addr_b64 v9, v[5:6], v[7:8] offset1:1
	flat_load_b128 v[5:8], v[2:3]
	v_mad_u64_u32 v[2:3], null, 0x180, s12, v[0:1]
	s_delay_alu instid0(VALU_DEP_1) | instskip(NEXT) | instid1(VALU_DEP_1)
	v_mad_u64_u32 v[9:10], null, 0x180, s13, v[3:4]
	v_dual_mov_b32 v3, v9 :: v_dual_add_nc_u32 v10, 0x2100, v14
	s_waitcnt vmcnt(0) lgkmcnt(0)
	ds_store_2addr_b64 v10, v[5:6], v[7:8] offset1:1
	flat_load_b128 v[7:10], v[2:3]
	v_mov_b32_e32 v6, v1
	v_dual_mov_b32 v5, v0 :: v_dual_add_nc_u32 v2, 0x3180, v14
	s_waitcnt vmcnt(0) lgkmcnt(0)
	ds_store_2addr_b64 v2, v[7:8], v[9:10] offset1:1
.LBB188_34:
	v_lshlrev_b32_e32 v0, 2, v11
	v_mul_u32_u24_e32 v14, 33, v4
	v_mul_u32_u24_e32 v1, 0x84, v11
	s_waitcnt lgkmcnt(0)
	s_waitcnt_vscnt null, 0x0
	s_barrier
	v_cmp_gt_u32_e64 s2, v0, v4
	v_add_lshl_u32 v17, v0, v14, 4
	buffer_gl0_inv
	s_and_saveexec_b32 s1, s2
	s_cbranch_execz .LBB188_36
; %bb.35:
	v_add_lshl_u32 v2, v1, v4, 4
	ds_load_b128 v[7:10], v2
	s_waitcnt lgkmcnt(0)
	ds_store_b128 v17, v[7:10]
.LBB188_36:
	s_or_b32 exec_lo, exec_lo, s1
	v_cmp_ge_u32_e64 s3, v0, v4
	s_delay_alu instid0(VALU_DEP_1)
	s_and_saveexec_b32 s1, s3
	s_cbranch_execz .LBB188_38
; %bb.37:
	v_or_b32_e32 v2, 1, v0
	s_delay_alu instid0(VALU_DEP_1) | instskip(NEXT) | instid1(VALU_DEP_1)
	v_mul_u32_u24_e32 v2, 33, v2
	v_add_lshl_u32 v2, v2, v4, 4
	ds_load_b128 v[7:10], v2
	s_waitcnt lgkmcnt(0)
	ds_store_b128 v17, v[7:10] offset:16
.LBB188_38:
	s_or_b32 exec_lo, exec_lo, s1
	v_or_b32_e32 v2, 2, v0
	s_delay_alu instid0(VALU_DEP_1) | instskip(NEXT) | instid1(VALU_DEP_1)
	v_cmp_gt_u32_e64 s4, v2, v4
	s_and_saveexec_b32 s1, s4
	s_cbranch_execz .LBB188_40
; %bb.39:
	v_mul_u32_u24_e32 v2, 33, v2
	s_delay_alu instid0(VALU_DEP_1)
	v_add_lshl_u32 v2, v2, v4, 4
	ds_load_b128 v[7:10], v2
	s_waitcnt lgkmcnt(0)
	ds_store_b128 v17, v[7:10] offset:32
.LBB188_40:
	s_or_b32 exec_lo, exec_lo, s1
	v_or_b32_e32 v2, 3, v0
	s_delay_alu instid0(VALU_DEP_1) | instskip(SKIP_1) | instid1(VALU_DEP_2)
	v_mad_u32_u24 v3, v2, 33, v4
	v_cmp_gt_u32_e64 s5, v2, v4
	v_lshlrev_b32_e32 v16, 4, v3
	s_delay_alu instid0(VALU_DEP_2)
	s_and_saveexec_b32 s1, s5
	s_cbranch_execz .LBB188_42
; %bb.41:
	ds_load_b128 v[7:10], v16
	s_waitcnt lgkmcnt(0)
	ds_store_b128 v17, v[7:10] offset:48
.LBB188_42:
	s_or_b32 exec_lo, exec_lo, s1
	v_lshlrev_b32_e32 v18, 4, v0
	v_add_lshl_u32 v15, v1, v4, 4
	s_waitcnt lgkmcnt(0)
	s_barrier
	buffer_gl0_inv
	ds_load_b128 v[0:3], v18 offset:18176
	ds_load_b128 v[7:10], v15
	v_add_nc_u32_e32 v24, 0xfffffbe0, v16
	ds_load_b128 v[19:22], v24
	ds_load_b128 v[25:28], v24 offset:528
	ds_load_b128 v[29:32], v18 offset:18192
	;; [unrolled: 1-line block ×3, first 2 shown]
	v_cmp_gt_u32_e64 s1, 32, v42
	s_waitcnt lgkmcnt(4)
	v_mul_f64 v[33:34], v[2:3], v[9:10]
	v_mul_f64 v[9:10], v[0:1], v[9:10]
	s_waitcnt lgkmcnt(1)
	v_mul_f64 v[40:41], v[31:32], v[21:22]
	v_mul_f64 v[21:22], v[29:30], v[21:22]
	s_delay_alu instid0(VALU_DEP_4) | instskip(NEXT) | instid1(VALU_DEP_4)
	v_fma_f64 v[0:1], v[0:1], v[7:8], -v[33:34]
	v_fma_f64 v[2:3], v[2:3], v[7:8], v[9:10]
	s_waitcnt lgkmcnt(0)
	v_mul_f64 v[33:34], v[45:46], v[27:28]
	v_mul_f64 v[27:28], v[43:44], v[27:28]
	v_fma_f64 v[29:30], v[29:30], v[19:20], -v[40:41]
	v_fma_f64 v[19:20], v[31:32], v[19:20], v[21:22]
	v_add_f64 v[21:22], v[0:1], 0
	v_add_f64 v[31:32], v[2:3], 0
	ds_load_b128 v[0:3], v18 offset:18224
	ds_load_b128 v[7:10], v16
	v_fma_f64 v[33:34], v[43:44], v[25:26], -v[33:34]
	v_fma_f64 v[25:26], v[45:46], v[25:26], v[27:28]
	v_add_lshl_u32 v44, v11, v14, 4
	s_waitcnt lgkmcnt(0)
	s_barrier
	buffer_gl0_inv
	v_lshlrev_b32_e32 v43, 4, v14
	v_mul_f64 v[40:41], v[2:3], v[9:10]
	v_mul_f64 v[9:10], v[0:1], v[9:10]
	v_add_f64 v[21:22], v[21:22], v[29:30]
	v_add_f64 v[19:20], v[31:32], v[19:20]
	s_delay_alu instid0(VALU_DEP_4) | instskip(NEXT) | instid1(VALU_DEP_4)
	v_fma_f64 v[0:1], v[0:1], v[7:8], -v[40:41]
	v_fma_f64 v[2:3], v[2:3], v[7:8], v[9:10]
	s_delay_alu instid0(VALU_DEP_4) | instskip(NEXT) | instid1(VALU_DEP_4)
	v_add_f64 v[7:8], v[21:22], v[33:34]
	v_add_f64 v[9:10], v[19:20], v[25:26]
	s_delay_alu instid0(VALU_DEP_2) | instskip(NEXT) | instid1(VALU_DEP_2)
	v_add_f64 v[7:8], v[7:8], v[0:1]
	v_add_f64 v[9:10], v[9:10], v[2:3]
	v_mov_b32_e32 v0, 0
	v_mov_b32_e32 v1, 0
	s_delay_alu instid0(VALU_DEP_1)
	v_dual_mov_b32 v3, v1 :: v_dual_mov_b32 v2, v0
	ds_store_b128 v44, v[7:10]
	s_waitcnt lgkmcnt(0)
	s_barrier
	buffer_gl0_inv
	s_and_saveexec_b32 s6, s1
	s_cbranch_execz .LBB188_44
; %bb.43:
	ds_load_b128 v[0:3], v43
	ds_load_b128 v[7:10], v43 offset:16
	s_waitcnt lgkmcnt(0)
	v_add_f64 v[19:20], v[7:8], v[0:1]
	v_add_f64 v[21:22], v[9:10], v[2:3]
	ds_load_b128 v[0:3], v43 offset:32
	ds_load_b128 v[7:10], v43 offset:48
	s_waitcnt lgkmcnt(1)
	v_add_f64 v[0:1], v[19:20], v[0:1]
	v_add_f64 v[2:3], v[21:22], v[2:3]
	s_waitcnt lgkmcnt(0)
	s_delay_alu instid0(VALU_DEP_2) | instskip(NEXT) | instid1(VALU_DEP_2)
	v_add_f64 v[19:20], v[0:1], v[7:8]
	v_add_f64 v[21:22], v[2:3], v[9:10]
	ds_load_b128 v[0:3], v43 offset:64
	ds_load_b128 v[7:10], v43 offset:80
	s_waitcnt lgkmcnt(1)
	v_add_f64 v[0:1], v[19:20], v[0:1]
	v_add_f64 v[2:3], v[21:22], v[2:3]
	s_waitcnt lgkmcnt(0)
	s_delay_alu instid0(VALU_DEP_2) | instskip(NEXT) | instid1(VALU_DEP_2)
	;; [unrolled: 9-line block ×3, first 2 shown]
	v_add_f64 v[0:1], v[0:1], v[7:8]
	v_add_f64 v[2:3], v[2:3], v[9:10]
.LBB188_44:
	s_or_b32 exec_lo, exec_lo, s6
	s_lshl_b64 s[22:23], s[12:13], 9
	s_delay_alu instid0(SALU_CYCLE_1) | instskip(SKIP_2) | instid1(VALU_DEP_2)
	v_add_co_u32 v9, vcc_lo, v5, s22
	v_add_co_ci_u32_e32 v10, vcc_lo, s23, v6, vcc_lo
	s_barrier
	v_add_co_u32 v7, vcc_lo, 0x200, v9
	s_delay_alu instid0(VALU_DEP_2)
	v_add_co_ci_u32_e32 v8, vcc_lo, 0, v10, vcc_lo
	s_and_b32 vcc_lo, exec_lo, s26
	buffer_gl0_inv
	s_cbranch_vccz .LBB188_62
; %bb.45:
	v_or_b32_e32 v5, 32, v4
	s_ashr_i32 s11, s10, 31
	s_delay_alu instid0(SALU_CYCLE_1) | instskip(SKIP_1) | instid1(VALU_DEP_1)
	s_lshl_b64 s[22:23], s[10:11], 4
	s_sub_i32 s11, s10, 32
	v_lshlrev_b32_e32 v6, 4, v5
	v_cmp_le_i32_e64 s6, s11, v11
	s_delay_alu instid0(VALU_DEP_2) | instskip(SKIP_1) | instid1(VALU_DEP_2)
	v_sub_co_u32 v6, vcc_lo, v7, v6
	v_subrev_co_ci_u32_e32 v19, vcc_lo, 0, v8, vcc_lo
	v_add_co_u32 v6, vcc_lo, v6, s22
	s_delay_alu instid0(VALU_DEP_2) | instskip(NEXT) | instid1(VALU_DEP_2)
	v_add_co_ci_u32_e32 v19, vcc_lo, s23, v19, vcc_lo
	v_add_co_u32 v20, vcc_lo, v6, -16
	s_delay_alu instid0(VALU_DEP_2) | instskip(SKIP_2) | instid1(VALU_DEP_3)
	v_add_co_ci_u32_e32 v6, vcc_lo, -1, v19, vcc_lo
	v_cmp_gt_i32_e32 vcc_lo, s10, v5
	v_add_lshl_u32 v19, v12, v4, 4
	v_dual_cndmask_b32 v5, v20, v7 :: v_dual_cndmask_b32 v6, v6, v8
	s_and_saveexec_b32 s27, s6
	s_delay_alu instid0(SALU_CYCLE_1)
	s_xor_b32 s6, exec_lo, s27
	s_cbranch_execz .LBB188_47
; %bb.46:
	v_mov_b32_e32 v20, 0
	s_delay_alu instid0(VALU_DEP_1)
	v_mov_b32_e32 v21, v20
	v_mov_b32_e32 v22, v20
	;; [unrolled: 1-line block ×3, first 2 shown]
	ds_store_b128 v19, v[20:23]
.LBB188_47:
	s_and_not1_saveexec_b32 s6, s6
	s_cbranch_execz .LBB188_49
; %bb.48:
	flat_load_b128 v[20:23], v[5:6]
	s_waitcnt vmcnt(0) lgkmcnt(0)
	ds_store_2addr_b64 v19, v[20:21], v[22:23] offset1:1
.LBB188_49:
	s_or_b32 exec_lo, exec_lo, s6
	v_add_nc_u32_e32 v20, 8, v11
	s_delay_alu instid0(VALU_DEP_1) | instskip(NEXT) | instid1(VALU_DEP_1)
	v_cmp_le_i32_e64 s6, s11, v20
	s_and_saveexec_b32 s27, s6
	s_delay_alu instid0(SALU_CYCLE_1)
	s_xor_b32 s6, exec_lo, s27
	s_cbranch_execz .LBB188_51
; %bb.50:
	v_mul_u32_u24_e32 v21, 33, v20
	v_mov_b32_e32 v20, 0
	s_delay_alu instid0(VALU_DEP_2) | instskip(NEXT) | instid1(VALU_DEP_2)
	v_add_lshl_u32 v25, v21, v4, 4
	v_mov_b32_e32 v21, v20
	v_mov_b32_e32 v22, v20
	;; [unrolled: 1-line block ×3, first 2 shown]
	ds_store_b128 v25, v[20:23]
.LBB188_51:
	s_and_not1_saveexec_b32 s27, s6
	s_cbranch_execz .LBB188_53
; %bb.52:
	s_lshl_b64 s[28:29], s[12:13], 7
	v_add_nc_u32_e32 v25, 0x1080, v19
	v_add_co_u32 v20, s6, v5, s28
	s_delay_alu instid0(VALU_DEP_1)
	v_add_co_ci_u32_e64 v21, s6, s29, v6, s6
	flat_load_b128 v[20:23], v[20:21]
	s_waitcnt vmcnt(0) lgkmcnt(0)
	ds_store_2addr_b64 v25, v[20:21], v[22:23] offset1:1
.LBB188_53:
	s_or_b32 exec_lo, exec_lo, s27
	v_add_nc_u32_e32 v20, 16, v11
	s_delay_alu instid0(VALU_DEP_1) | instskip(NEXT) | instid1(VALU_DEP_1)
	v_cmp_le_i32_e64 s6, s11, v20
	s_and_saveexec_b32 s27, s6
	s_delay_alu instid0(SALU_CYCLE_1)
	s_xor_b32 s6, exec_lo, s27
	s_cbranch_execz .LBB188_55
; %bb.54:
	v_mov_b32_e32 v20, 0
	s_delay_alu instid0(VALU_DEP_1)
	v_mov_b32_e32 v21, v20
	v_mov_b32_e32 v22, v20
	;; [unrolled: 1-line block ×3, first 2 shown]
	ds_store_b128 v19, v[20:23] offset:8448
.LBB188_55:
	s_and_not1_saveexec_b32 s27, s6
	s_cbranch_execz .LBB188_57
; %bb.56:
	s_lshl_b64 s[28:29], s[12:13], 8
	v_add_nc_u32_e32 v25, 0x2100, v19
	v_add_co_u32 v20, s6, v5, s28
	s_delay_alu instid0(VALU_DEP_1)
	v_add_co_ci_u32_e64 v21, s6, s29, v6, s6
	flat_load_b128 v[20:23], v[20:21]
	s_waitcnt vmcnt(0) lgkmcnt(0)
	ds_store_2addr_b64 v25, v[20:21], v[22:23] offset1:1
.LBB188_57:
	s_or_b32 exec_lo, exec_lo, s27
	v_add_nc_u32_e32 v20, 24, v11
	s_delay_alu instid0(VALU_DEP_1) | instskip(NEXT) | instid1(VALU_DEP_1)
	v_cmp_le_i32_e64 s6, s11, v20
	s_and_saveexec_b32 s11, s6
	s_delay_alu instid0(SALU_CYCLE_1)
	s_xor_b32 s6, exec_lo, s11
	s_cbranch_execz .LBB188_59
; %bb.58:
	v_mov_b32_e32 v20, 0
	s_delay_alu instid0(VALU_DEP_1)
	v_mov_b32_e32 v21, v20
	v_mov_b32_e32 v22, v20
	;; [unrolled: 1-line block ×3, first 2 shown]
	ds_store_b128 v19, v[20:23] offset:12672
                                        ; implicit-def: $vgpr19
.LBB188_59:
	s_and_not1_saveexec_b32 s6, s6
	s_cbranch_execz .LBB188_61
; %bb.60:
	v_mad_u64_u32 v[20:21], null, 0x180, s12, v[5:6]
	v_add_nc_u32_e32 v19, 0x3180, v19
	s_delay_alu instid0(VALU_DEP_2) | instskip(NEXT) | instid1(VALU_DEP_1)
	v_mad_u64_u32 v[22:23], null, 0x180, s13, v[21:22]
	v_mov_b32_e32 v21, v22
	flat_load_b128 v[20:23], v[20:21]
	s_waitcnt vmcnt(0) lgkmcnt(0)
	ds_store_2addr_b64 v19, v[20:21], v[22:23] offset1:1
.LBB188_61:
	s_or_b32 exec_lo, exec_lo, s6
	v_add_co_u32 v5, s6, v5, v13
	s_delay_alu instid0(VALU_DEP_1) | instskip(NEXT) | instid1(VALU_DEP_2)
	v_add_co_ci_u32_e64 v6, s6, 0, v6, s6
	v_sub_co_u32 v5, s6, v5, s22
	s_delay_alu instid0(VALU_DEP_1) | instskip(NEXT) | instid1(VALU_DEP_2)
	v_subrev_co_ci_u32_e64 v6, s6, s23, v6, s6
	v_add_co_u32 v5, s6, 0x210, v5
	s_delay_alu instid0(VALU_DEP_1) | instskip(NEXT) | instid1(VALU_DEP_1)
	v_add_co_ci_u32_e64 v6, s6, 0, v6, s6
	v_dual_cndmask_b32 v5, v5, v7 :: v_dual_cndmask_b32 v6, v6, v8
	s_branch .LBB188_64
.LBB188_62:
                                        ; implicit-def: $vgpr5_vgpr6
	s_cbranch_execz .LBB188_64
; %bb.63:
	flat_load_b128 v[19:22], v[7:8]
	s_lshl_b64 s[22:23], s[12:13], 7
	v_add_lshl_u32 v23, v12, v4, 4
	v_add_co_u32 v5, vcc_lo, v9, s22
	v_add_co_ci_u32_e32 v6, vcc_lo, s23, v10, vcc_lo
	s_delay_alu instid0(VALU_DEP_3)
	v_add_nc_u32_e32 v25, 0x1080, v23
	s_waitcnt vmcnt(0) lgkmcnt(0)
	ds_store_2addr_b64 v23, v[19:20], v[21:22] offset1:1
	flat_load_b128 v[19:22], v[5:6] offset:512
	v_add_co_u32 v5, vcc_lo, v5, s22
	v_add_co_ci_u32_e32 v6, vcc_lo, s23, v6, vcc_lo
	s_waitcnt vmcnt(0) lgkmcnt(0)
	ds_store_2addr_b64 v25, v[19:20], v[21:22] offset1:1
	flat_load_b128 v[19:22], v[5:6] offset:512
	v_mad_u64_u32 v[5:6], null, 0x180, s12, v[9:10]
	s_delay_alu instid0(VALU_DEP_1) | instskip(SKIP_1) | instid1(VALU_DEP_2)
	v_mad_u64_u32 v[9:10], null, 0x180, s13, v[6:7]
	v_add_nc_u32_e32 v10, 0x2100, v23
	v_dual_mov_b32 v6, v9 :: v_dual_add_nc_u32 v9, 0x3180, v23
	s_waitcnt vmcnt(0) lgkmcnt(0)
	ds_store_2addr_b64 v10, v[19:20], v[21:22] offset1:1
	flat_load_b128 v[19:22], v[5:6] offset:512
	v_dual_mov_b32 v5, v7 :: v_dual_mov_b32 v6, v8
	s_waitcnt vmcnt(0) lgkmcnt(0)
	ds_store_2addr_b64 v9, v[19:20], v[21:22] offset1:1
.LBB188_64:
	s_waitcnt lgkmcnt(0)
	s_barrier
	buffer_gl0_inv
	s_and_saveexec_b32 s6, s2
	s_cbranch_execnz .LBB188_89
; %bb.65:
	s_or_b32 exec_lo, exec_lo, s6
	s_and_saveexec_b32 s2, s3
	s_cbranch_execnz .LBB188_90
.LBB188_66:
	s_or_b32 exec_lo, exec_lo, s2
	s_and_saveexec_b32 s2, s4
	s_cbranch_execnz .LBB188_91
.LBB188_67:
	s_or_b32 exec_lo, exec_lo, s2
	v_add_nc_u32_e32 v25, 0x4700, v18
	s_and_saveexec_b32 s2, s5
	s_cbranch_execz .LBB188_69
.LBB188_68:
	ds_load_b128 v[7:10], v16
	s_waitcnt lgkmcnt(0)
	ds_store_b128 v17, v[7:10] offset:48
.LBB188_69:
	s_or_b32 exec_lo, exec_lo, s2
	s_waitcnt lgkmcnt(0)
	s_barrier
	buffer_gl0_inv
	ds_load_b128 v[7:10], v25 offset:512
	ds_load_b128 v[17:20], v15
	v_cmp_eq_u32_e64 s2, 1, v11
	s_waitcnt lgkmcnt(0)
	v_mul_f64 v[34:35], v[9:10], v[19:20]
	v_mul_f64 v[40:41], v[7:8], v[19:20]
	ds_load_b128 v[19:22], v24
	ds_load_b128 v[26:29], v25 offset:528
	ds_load_b128 v[30:33], v25 offset:544
	s_waitcnt lgkmcnt(1)
	v_mul_f64 v[49:50], v[28:29], v[21:22]
	v_mul_f64 v[21:22], v[26:27], v[21:22]
	v_fma_f64 v[34:35], v[7:8], v[17:18], -v[34:35]
	v_fma_f64 v[17:18], v[9:10], v[17:18], v[40:41]
	ds_load_b128 v[7:10], v24 offset:528
	ds_load_b128 v[45:48], v16
	s_waitcnt lgkmcnt(1)
	v_mul_f64 v[40:41], v[32:33], v[9:10]
	v_mul_f64 v[9:10], v[30:31], v[9:10]
	v_fma_f64 v[26:27], v[26:27], v[19:20], -v[49:50]
	v_fma_f64 v[21:22], v[28:29], v[19:20], v[21:22]
	v_add_f64 v[28:29], v[34:35], 0
	v_add_f64 v[34:35], v[17:18], 0
	ds_load_b128 v[17:20], v25 offset:560
	s_waitcnt lgkmcnt(0)
	s_barrier
	buffer_gl0_inv
	v_fma_f64 v[30:31], v[30:31], v[7:8], -v[40:41]
	v_mul_f64 v[49:50], v[19:20], v[47:48]
	v_mul_f64 v[47:48], v[17:18], v[47:48]
	v_fma_f64 v[7:8], v[32:33], v[7:8], v[9:10]
	v_add_f64 v[9:10], v[28:29], v[26:27]
	v_add_f64 v[21:22], v[34:35], v[21:22]
	v_fma_f64 v[17:18], v[17:18], v[45:46], -v[49:50]
	v_fma_f64 v[19:20], v[19:20], v[45:46], v[47:48]
	s_delay_alu instid0(VALU_DEP_4) | instskip(NEXT) | instid1(VALU_DEP_4)
	v_add_f64 v[9:10], v[9:10], v[30:31]
	v_add_f64 v[21:22], v[21:22], v[7:8]
	s_delay_alu instid0(VALU_DEP_2) | instskip(NEXT) | instid1(VALU_DEP_2)
	v_add_f64 v[7:8], v[9:10], v[17:18]
	v_add_f64 v[9:10], v[21:22], v[19:20]
	ds_store_b128 v44, v[7:10]
	s_waitcnt lgkmcnt(0)
	s_barrier
	buffer_gl0_inv
	s_and_saveexec_b32 s3, s2
	s_cbranch_execz .LBB188_71
; %bb.70:
	ds_load_b128 v[0:3], v43
	ds_load_b128 v[7:10], v43 offset:16
	s_waitcnt lgkmcnt(0)
	v_add_f64 v[17:18], v[7:8], v[0:1]
	v_add_f64 v[19:20], v[9:10], v[2:3]
	ds_load_b128 v[0:3], v43 offset:32
	ds_load_b128 v[7:10], v43 offset:48
	s_waitcnt lgkmcnt(1)
	v_add_f64 v[0:1], v[17:18], v[0:1]
	v_add_f64 v[2:3], v[19:20], v[2:3]
	s_waitcnt lgkmcnt(0)
	s_delay_alu instid0(VALU_DEP_2) | instskip(NEXT) | instid1(VALU_DEP_2)
	v_add_f64 v[17:18], v[0:1], v[7:8]
	v_add_f64 v[19:20], v[2:3], v[9:10]
	ds_load_b128 v[0:3], v43 offset:64
	ds_load_b128 v[7:10], v43 offset:80
	s_waitcnt lgkmcnt(1)
	v_add_f64 v[0:1], v[17:18], v[0:1]
	v_add_f64 v[2:3], v[19:20], v[2:3]
	s_waitcnt lgkmcnt(0)
	s_delay_alu instid0(VALU_DEP_2) | instskip(NEXT) | instid1(VALU_DEP_2)
	;; [unrolled: 9-line block ×3, first 2 shown]
	v_add_f64 v[0:1], v[0:1], v[7:8]
	v_add_f64 v[2:3], v[2:3], v[9:10]
.LBB188_71:
	s_or_b32 exec_lo, exec_lo, s3
	v_add_co_u32 v5, vcc_lo, 0xfffffe00, v5
	v_add_co_ci_u32_e32 v6, vcc_lo, -1, v6, vcc_lo
	s_and_b32 vcc_lo, exec_lo, s26
	s_barrier
	buffer_gl0_inv
	s_cbranch_vccz .LBB188_92
; %bb.72:
	v_sub_co_u32 v7, vcc_lo, v5, v13
	s_ashr_i32 s11, s10, 31
	v_subrev_co_ci_u32_e32 v8, vcc_lo, 0, v6, vcc_lo
	s_lshl_b64 s[4:5], s[10:11], 4
	s_sub_i32 s6, s10, 32
	v_add_co_u32 v7, vcc_lo, v7, s4
	s_delay_alu instid0(VALU_DEP_2) | instskip(SKIP_1) | instid1(VALU_DEP_3)
	v_add_co_ci_u32_e32 v8, vcc_lo, s5, v8, vcc_lo
	v_cmp_le_i32_e64 s3, s6, v11
	v_add_co_u32 v7, vcc_lo, v7, -16
	s_delay_alu instid0(VALU_DEP_3) | instskip(SKIP_2) | instid1(VALU_DEP_3)
	v_add_co_ci_u32_e32 v8, vcc_lo, -1, v8, vcc_lo
	v_cmp_gt_i32_e32 vcc_lo, s10, v4
	v_add_lshl_u32 v18, v12, v4, 4
	v_dual_cndmask_b32 v8, v8, v6 :: v_dual_cndmask_b32 v7, v7, v5
	s_and_saveexec_b32 s11, s3
	s_delay_alu instid0(SALU_CYCLE_1)
	s_xor_b32 s3, exec_lo, s11
	s_cbranch_execz .LBB188_74
; %bb.73:
	v_mov_b32_e32 v19, 0
	s_delay_alu instid0(VALU_DEP_1)
	v_mov_b32_e32 v20, v19
	v_mov_b32_e32 v21, v19
	v_mov_b32_e32 v22, v19
	ds_store_b128 v18, v[19:22]
.LBB188_74:
	s_and_not1_saveexec_b32 s3, s3
	s_cbranch_execz .LBB188_76
; %bb.75:
	flat_load_b128 v[19:22], v[7:8]
	s_waitcnt vmcnt(0) lgkmcnt(0)
	ds_store_2addr_b64 v18, v[19:20], v[21:22] offset1:1
.LBB188_76:
	s_or_b32 exec_lo, exec_lo, s3
	v_add_nc_u32_e32 v9, 8, v11
	s_delay_alu instid0(VALU_DEP_1) | instskip(NEXT) | instid1(VALU_DEP_1)
	v_cmp_le_i32_e64 s3, s6, v9
	s_and_saveexec_b32 s11, s3
	s_delay_alu instid0(SALU_CYCLE_1)
	s_xor_b32 s3, exec_lo, s11
	s_cbranch_execz .LBB188_78
; %bb.77:
	v_mul_u32_u24_e32 v10, 33, v9
	v_mov_b32_e32 v19, 0
	s_delay_alu instid0(VALU_DEP_2) | instskip(NEXT) | instid1(VALU_DEP_2)
	v_add_lshl_u32 v10, v10, v4, 4
	v_mov_b32_e32 v20, v19
	v_mov_b32_e32 v21, v19
	;; [unrolled: 1-line block ×3, first 2 shown]
	ds_store_b128 v10, v[19:22]
.LBB188_78:
	s_and_not1_saveexec_b32 s11, s3
	s_cbranch_execz .LBB188_80
; %bb.79:
	s_lshl_b64 s[22:23], s[12:13], 7
	v_add_nc_u32_e32 v10, 0x1080, v18
	v_add_co_u32 v19, s3, v7, s22
	s_delay_alu instid0(VALU_DEP_1)
	v_add_co_ci_u32_e64 v20, s3, s23, v8, s3
	flat_load_b128 v[19:22], v[19:20]
	s_waitcnt vmcnt(0) lgkmcnt(0)
	ds_store_2addr_b64 v10, v[19:20], v[21:22] offset1:1
.LBB188_80:
	s_or_b32 exec_lo, exec_lo, s11
	v_add_nc_u32_e32 v10, 16, v11
	s_delay_alu instid0(VALU_DEP_1) | instskip(NEXT) | instid1(VALU_DEP_1)
	v_cmp_le_i32_e64 s3, s6, v10
	s_and_saveexec_b32 s11, s3
	s_delay_alu instid0(SALU_CYCLE_1)
	s_xor_b32 s3, exec_lo, s11
	s_cbranch_execz .LBB188_82
; %bb.81:
	v_mov_b32_e32 v19, 0
	s_delay_alu instid0(VALU_DEP_1)
	v_mov_b32_e32 v20, v19
	v_mov_b32_e32 v21, v19
	;; [unrolled: 1-line block ×3, first 2 shown]
	ds_store_b128 v18, v[19:22] offset:8448
.LBB188_82:
	s_and_not1_saveexec_b32 s11, s3
	s_cbranch_execz .LBB188_84
; %bb.83:
	s_lshl_b64 s[22:23], s[12:13], 8
	v_add_nc_u32_e32 v17, 0x2100, v18
	v_add_co_u32 v19, s3, v7, s22
	s_delay_alu instid0(VALU_DEP_1)
	v_add_co_ci_u32_e64 v20, s3, s23, v8, s3
	flat_load_b128 v[19:22], v[19:20]
	s_waitcnt vmcnt(0) lgkmcnt(0)
	ds_store_2addr_b64 v17, v[19:20], v[21:22] offset1:1
.LBB188_84:
	s_or_b32 exec_lo, exec_lo, s11
	v_add_nc_u32_e32 v17, 24, v11
	s_delay_alu instid0(VALU_DEP_1) | instskip(NEXT) | instid1(VALU_DEP_1)
	v_cmp_le_i32_e64 s3, s6, v17
	s_and_saveexec_b32 s6, s3
	s_delay_alu instid0(SALU_CYCLE_1)
	s_xor_b32 s3, exec_lo, s6
	s_cbranch_execz .LBB188_86
; %bb.85:
	v_mov_b32_e32 v19, 0
	s_delay_alu instid0(VALU_DEP_1)
	v_mov_b32_e32 v20, v19
	v_mov_b32_e32 v21, v19
	;; [unrolled: 1-line block ×3, first 2 shown]
	ds_store_b128 v18, v[19:22] offset:12672
                                        ; implicit-def: $vgpr18
.LBB188_86:
	s_and_not1_saveexec_b32 s3, s3
	s_cbranch_execz .LBB188_88
; %bb.87:
	v_mad_u64_u32 v[19:20], null, 0x180, s12, v[7:8]
	v_add_nc_u32_e32 v18, 0x3180, v18
	s_delay_alu instid0(VALU_DEP_2) | instskip(NEXT) | instid1(VALU_DEP_1)
	v_mad_u64_u32 v[21:22], null, 0x180, s13, v[20:21]
	v_mov_b32_e32 v20, v21
	flat_load_b128 v[19:22], v[19:20]
	s_waitcnt vmcnt(0) lgkmcnt(0)
	ds_store_2addr_b64 v18, v[19:20], v[21:22] offset1:1
.LBB188_88:
	s_or_b32 exec_lo, exec_lo, s3
	v_add_co_u32 v7, s3, v7, v13
	s_delay_alu instid0(VALU_DEP_1) | instskip(NEXT) | instid1(VALU_DEP_2)
	v_add_co_ci_u32_e64 v8, s3, 0, v8, s3
	v_sub_co_u32 v7, s3, v7, s4
	s_delay_alu instid0(VALU_DEP_1) | instskip(NEXT) | instid1(VALU_DEP_2)
	v_subrev_co_ci_u32_e64 v8, s3, s5, v8, s3
	v_add_co_u32 v7, s3, v7, 16
	s_delay_alu instid0(VALU_DEP_1) | instskip(NEXT) | instid1(VALU_DEP_1)
	v_add_co_ci_u32_e64 v8, s3, 0, v8, s3
	v_dual_cndmask_b32 v40, v7, v5 :: v_dual_cndmask_b32 v41, v8, v6
	s_branch .LBB188_94
.LBB188_89:
	ds_load_b128 v[7:10], v15
	s_waitcnt lgkmcnt(0)
	ds_store_b128 v17, v[7:10]
	s_or_b32 exec_lo, exec_lo, s6
	s_and_saveexec_b32 s2, s3
	s_cbranch_execz .LBB188_66
.LBB188_90:
	ds_load_b128 v[7:10], v24
	s_waitcnt lgkmcnt(0)
	ds_store_b128 v17, v[7:10] offset:16
	s_or_b32 exec_lo, exec_lo, s2
	s_and_saveexec_b32 s2, s4
	s_cbranch_execz .LBB188_67
.LBB188_91:
	v_add_nc_u32_e32 v7, 0x210, v24
	ds_load_b128 v[7:10], v7
	s_waitcnt lgkmcnt(0)
	ds_store_b128 v17, v[7:10] offset:32
	s_or_b32 exec_lo, exec_lo, s2
	v_add_nc_u32_e32 v25, 0x4700, v18
	s_and_saveexec_b32 s2, s5
	s_cbranch_execnz .LBB188_68
	s_branch .LBB188_69
.LBB188_92:
                                        ; implicit-def: $vgpr40_vgpr41
                                        ; implicit-def: $vgpr9
                                        ; implicit-def: $vgpr10
                                        ; implicit-def: $vgpr17
	s_cbranch_execz .LBB188_94
; %bb.93:
	flat_load_b128 v[7:10], v[5:6]
	s_lshl_b64 s[4:5], s[12:13], 7
	v_add_lshl_u32 v22, v12, v4, 4
	v_add_co_u32 v12, vcc_lo, v5, s4
	v_add_co_ci_u32_e32 v13, vcc_lo, s5, v6, vcc_lo
	s_delay_alu instid0(VALU_DEP_3)
	v_dual_mov_b32 v41, v6 :: v_dual_add_nc_u32 v4, 0x1080, v22
	v_mov_b32_e32 v40, v5
	s_waitcnt vmcnt(0) lgkmcnt(0)
	ds_store_2addr_b64 v22, v[7:8], v[9:10] offset1:1
	flat_load_b128 v[7:10], v[12:13]
	v_add_co_u32 v12, vcc_lo, v12, s4
	v_add_co_ci_u32_e32 v13, vcc_lo, s5, v13, vcc_lo
	s_waitcnt vmcnt(0) lgkmcnt(0)
	ds_store_2addr_b64 v4, v[7:8], v[9:10] offset1:1
	flat_load_b128 v[7:10], v[12:13]
	v_mad_u64_u32 v[12:13], null, 0x180, s12, v[5:6]
	s_delay_alu instid0(VALU_DEP_1) | instskip(NEXT) | instid1(VALU_DEP_1)
	v_mov_b32_e32 v4, v13
	v_mad_u64_u32 v[17:18], null, 0x180, s13, v[4:5]
	s_delay_alu instid0(VALU_DEP_1)
	v_dual_mov_b32 v13, v17 :: v_dual_add_nc_u32 v4, 0x2100, v22
	v_add_nc_u32_e32 v17, 24, v11
	s_waitcnt vmcnt(0) lgkmcnt(0)
	ds_store_2addr_b64 v4, v[7:8], v[9:10] offset1:1
	flat_load_b128 v[18:21], v[12:13]
	v_add_nc_u32_e32 v9, 8, v11
	v_add_nc_u32_e32 v10, 16, v11
	;; [unrolled: 1-line block ×3, first 2 shown]
	s_waitcnt vmcnt(0) lgkmcnt(0)
	ds_store_2addr_b64 v4, v[18:19], v[20:21] offset1:1
.LBB188_94:
	v_lshlrev_b32_e32 v4, 4, v11
	s_waitcnt lgkmcnt(0)
	s_barrier
	buffer_gl0_inv
	v_add_lshl_u32 v8, v9, v14, 4
	ds_load_b128 v[18:21], v4 offset:18176
	ds_load_b128 v[26:29], v44
	ds_load_b128 v[4:7], v24 offset:528
	ds_load_b128 v[30:33], v8
	v_lshlrev_b32_e32 v8, 4, v9
	s_waitcnt lgkmcnt(2)
	v_mul_f64 v[11:12], v[28:29], v[20:21]
	v_mul_f64 v[34:35], v[26:27], v[20:21]
	ds_load_b128 v[20:23], v8 offset:18176
	v_add_lshl_u32 v8, v10, v14, 4
	v_lshlrev_b32_e32 v10, 4, v10
	ds_load_b128 v[45:48], v8
	v_fma_f64 v[11:12], v[26:27], v[18:19], -v[11:12]
	v_fma_f64 v[18:19], v[28:29], v[18:19], v[34:35]
	ds_load_b128 v[26:29], v10 offset:18176
	v_add_lshl_u32 v10, v17, v14, 4
	ds_load_b128 v[49:52], v10
	s_waitcnt lgkmcnt(3)
	v_mul_f64 v[8:9], v[32:33], v[22:23]
	v_mul_f64 v[22:23], v[30:31], v[22:23]
	s_waitcnt lgkmcnt(1)
	v_mul_f64 v[13:14], v[47:48], v[28:29]
	v_mul_f64 v[28:29], v[45:46], v[28:29]
	v_add_f64 v[34:35], v[18:19], 0
	v_fma_f64 v[30:31], v[30:31], v[20:21], -v[8:9]
	v_fma_f64 v[21:22], v[32:33], v[20:21], v[22:23]
	v_add_f64 v[32:33], v[11:12], 0
	v_lshlrev_b32_e32 v8, 4, v17
	ds_load_b128 v[17:20], v8 offset:18176
	ds_load_b128 v[8:11], v16
	v_fma_f64 v[12:13], v[45:46], v[26:27], -v[13:14]
	v_fma_f64 v[26:27], v[47:48], v[26:27], v[28:29]
	s_waitcnt lgkmcnt(1)
	v_mul_f64 v[53:54], v[51:52], v[19:20]
	v_mul_f64 v[19:20], v[49:50], v[19:20]
	v_add_f64 v[21:22], v[34:35], v[21:22]
	v_add_f64 v[28:29], v[32:33], v[30:31]
	s_delay_alu instid0(VALU_DEP_4) | instskip(NEXT) | instid1(VALU_DEP_4)
	v_fma_f64 v[30:31], v[49:50], v[17:18], -v[53:54]
	v_fma_f64 v[16:17], v[51:52], v[17:18], v[19:20]
	s_delay_alu instid0(VALU_DEP_4) | instskip(NEXT) | instid1(VALU_DEP_4)
	v_add_f64 v[18:19], v[21:22], v[26:27]
	v_add_f64 v[12:13], v[28:29], v[12:13]
	s_delay_alu instid0(VALU_DEP_2) | instskip(NEXT) | instid1(VALU_DEP_2)
	v_add_f64 v[47:48], v[18:19], v[16:17]
	v_add_f64 v[45:46], v[12:13], v[30:31]
	ds_load_b128 v[20:23], v25 offset:528
	ds_load_b128 v[16:19], v25 offset:544
	;; [unrolled: 1-line block ×3, first 2 shown]
	ds_load_b128 v[32:35], v15
	ds_load_b128 v[12:15], v25 offset:560
	ds_load_b128 v[24:27], v24
	s_waitcnt lgkmcnt(0)
	s_barrier
	buffer_gl0_inv
	ds_store_b128 v44, v[45:48]
	s_waitcnt lgkmcnt(0)
	s_barrier
	buffer_gl0_inv
	s_and_saveexec_b32 s3, s2
	s_cbranch_execz .LBB188_96
; %bb.95:
	ds_load_b128 v[45:48], v43
	ds_load_b128 v[49:52], v43 offset:16
	s_waitcnt lgkmcnt(1)
	v_add_f64 v[0:1], v[0:1], v[45:46]
	v_add_f64 v[2:3], v[2:3], v[47:48]
	s_waitcnt lgkmcnt(0)
	s_delay_alu instid0(VALU_DEP_2) | instskip(NEXT) | instid1(VALU_DEP_2)
	v_add_f64 v[49:50], v[0:1], v[49:50]
	v_add_f64 v[51:52], v[2:3], v[51:52]
	ds_load_b128 v[0:3], v43 offset:32
	ds_load_b128 v[45:48], v43 offset:48
	s_waitcnt lgkmcnt(1)
	v_add_f64 v[0:1], v[49:50], v[0:1]
	v_add_f64 v[2:3], v[51:52], v[2:3]
	s_waitcnt lgkmcnt(0)
	s_delay_alu instid0(VALU_DEP_2) | instskip(NEXT) | instid1(VALU_DEP_2)
	v_add_f64 v[49:50], v[0:1], v[45:46]
	v_add_f64 v[51:52], v[2:3], v[47:48]
	ds_load_b128 v[0:3], v43 offset:64
	;; [unrolled: 9-line block ×3, first 2 shown]
	ds_load_b128 v[45:48], v43 offset:112
	s_waitcnt lgkmcnt(1)
	v_add_f64 v[0:1], v[49:50], v[0:1]
	v_add_f64 v[2:3], v[51:52], v[2:3]
	s_waitcnt lgkmcnt(0)
	s_delay_alu instid0(VALU_DEP_2) | instskip(NEXT) | instid1(VALU_DEP_2)
	v_add_f64 v[0:1], v[0:1], v[45:46]
	v_add_f64 v[2:3], v[2:3], v[47:48]
.LBB188_96:
	s_or_b32 exec_lo, exec_lo, s3
	v_mul_f64 v[45:46], v[30:31], v[34:35]
	v_mul_f64 v[34:35], v[28:29], v[34:35]
	;; [unrolled: 1-line block ×4, first 2 shown]
	s_barrier
	buffer_gl0_inv
	v_fma_f64 v[28:29], v[28:29], v[32:33], -v[45:46]
	v_fma_f64 v[30:31], v[30:31], v[32:33], v[34:35]
	v_mul_f64 v[32:33], v[18:19], v[6:7]
	v_mul_f64 v[6:7], v[16:17], v[6:7]
	v_fma_f64 v[20:21], v[20:21], v[24:25], -v[47:48]
	v_fma_f64 v[22:23], v[22:23], v[24:25], v[26:27]
	v_add_f64 v[24:25], v[28:29], 0
	v_add_f64 v[26:27], v[30:31], 0
	v_mul_f64 v[28:29], v[14:15], v[10:11]
	v_mul_f64 v[10:11], v[12:13], v[10:11]
	v_fma_f64 v[16:17], v[16:17], v[4:5], -v[32:33]
	v_fma_f64 v[4:5], v[18:19], v[4:5], v[6:7]
	v_add_f64 v[6:7], v[24:25], v[20:21]
	v_add_f64 v[18:19], v[26:27], v[22:23]
	v_fma_f64 v[12:13], v[12:13], v[8:9], -v[28:29]
	v_fma_f64 v[8:9], v[14:15], v[8:9], v[10:11]
	s_delay_alu instid0(VALU_DEP_4) | instskip(NEXT) | instid1(VALU_DEP_4)
	v_add_f64 v[6:7], v[6:7], v[16:17]
	v_add_f64 v[10:11], v[18:19], v[4:5]
	s_delay_alu instid0(VALU_DEP_2) | instskip(NEXT) | instid1(VALU_DEP_2)
	v_add_f64 v[4:5], v[6:7], v[12:13]
	v_add_f64 v[6:7], v[10:11], v[8:9]
	ds_store_b128 v44, v[4:7]
	s_waitcnt lgkmcnt(0)
	s_barrier
	buffer_gl0_inv
	s_and_saveexec_b32 s2, s1
	s_cbranch_execz .LBB188_98
; %bb.97:
	ds_load_b128 v[4:7], v43
	ds_load_b128 v[8:11], v43 offset:16
	s_waitcnt lgkmcnt(1)
	v_add_f64 v[0:1], v[0:1], v[4:5]
	v_add_f64 v[2:3], v[2:3], v[6:7]
	s_waitcnt lgkmcnt(0)
	s_delay_alu instid0(VALU_DEP_2) | instskip(NEXT) | instid1(VALU_DEP_2)
	v_add_f64 v[8:9], v[0:1], v[8:9]
	v_add_f64 v[10:11], v[2:3], v[10:11]
	ds_load_b128 v[0:3], v43 offset:32
	ds_load_b128 v[4:7], v43 offset:48
	s_waitcnt lgkmcnt(1)
	v_add_f64 v[0:1], v[8:9], v[0:1]
	v_add_f64 v[2:3], v[10:11], v[2:3]
	s_waitcnt lgkmcnt(0)
	s_delay_alu instid0(VALU_DEP_2) | instskip(NEXT) | instid1(VALU_DEP_2)
	v_add_f64 v[8:9], v[0:1], v[4:5]
	v_add_f64 v[10:11], v[2:3], v[6:7]
	ds_load_b128 v[0:3], v43 offset:64
	;; [unrolled: 9-line block ×3, first 2 shown]
	ds_load_b128 v[4:7], v43 offset:112
	s_waitcnt lgkmcnt(1)
	v_add_f64 v[0:1], v[8:9], v[0:1]
	v_add_f64 v[2:3], v[10:11], v[2:3]
	s_waitcnt lgkmcnt(0)
	s_delay_alu instid0(VALU_DEP_2) | instskip(NEXT) | instid1(VALU_DEP_2)
	v_add_f64 v[0:1], v[0:1], v[4:5]
	v_add_f64 v[2:3], v[2:3], v[6:7]
.LBB188_98:
	s_or_b32 exec_lo, exec_lo, s2
	s_mul_hi_u32 s1, s24, s18
	s_mul_i32 s25, s25, s18
	s_mul_i32 s2, s24, s18
	s_add_i32 s1, s1, s25
	s_mul_hi_u32 s3, s2, s7
	s_mul_i32 s1, s1, s7
	s_mul_i32 s2, s2, s7
	s_add_i32 s3, s3, s1
	s_mul_hi_i32 s5, s24, s14
	s_lshl_b64 s[2:3], s[2:3], 4
	s_mul_i32 s4, s24, s14
	s_add_u32 s1, s20, s2
	s_addc_u32 s11, s21, s3
	s_lshl_b64 s[2:3], s[4:5], 4
	v_lshlrev_b32_e32 v185, 4, v183
	s_add_u32 s6, s1, s2
	s_addc_u32 s11, s11, s3
	s_add_i32 s1, s14, 1
	s_delay_alu instid0(SALU_CYCLE_1)
	s_cmp_ge_u32 s1, s7
	s_barrier
	buffer_gl0_inv
	s_cbranch_scc1 .LBB188_156
; %bb.99:
	scratch_load_b32 v7, off, off offset:4  ; 4-byte Folded Reload
	v_and_b32_e32 v10, 48, v183
	v_lshrrev_b32_e32 v12, 4, v42
	v_and_b32_e32 v11, 15, v183
	v_or_b32_e32 v5, 0xf0, v185
	s_mul_i32 s1, s16, s9
	v_lshlrev_b32_e32 v4, 4, v10
	v_lshlrev_b32_e32 v6, 6, v12
	s_mul_hi_u32 s2, s16, s8
	s_mul_i32 s3, s17, s8
	s_add_i32 s1, s2, s1
	v_mad_u32_u24 v191, 0x430, v11, v4
	v_mad_u32_u24 v4, 0x430, v11, v5
	;; [unrolled: 1-line block ×3, first 2 shown]
	s_add_i32 s3, s1, s3
	s_mul_i32 s2, s16, s8
	v_mul_i32_i24_e32 v16, 0xffffffd0, v12
	scratch_store_b32 off, v4, off          ; 4-byte Folded Spill
	s_lshl_b64 s[2:3], s[2:3], 4
	v_cmp_gt_u32_e64 s1, 64, v42
	v_sub_co_u32 v187, vcc_lo, v38, s2
	v_subrev_co_ci_u32_e32 v188, vcc_lo, s3, v39, vcc_lo
	v_add_nc_u32_e32 v244, v193, v16
	s_add_i32 s17, s7, -2
	s_add_i32 s16, s16, 64
	s_lshl_b64 s[4:5], s[12:13], 10
	s_waitcnt vmcnt(0)
	v_lshlrev_b32_e32 v15, 6, v7
	v_mad_u32_u24 v198, 0x10c0, v7, v185
	s_delay_alu instid0(VALU_DEP_2) | instskip(NEXT) | instid1(VALU_DEP_1)
	v_add_nc_u32_e32 v13, 0x220, v15
	v_mad_u64_u32 v[5:6], null, s12, v13, 0
	s_delay_alu instid0(VALU_DEP_1) | instskip(SKIP_1) | instid1(VALU_DEP_2)
	v_mov_b32_e32 v4, v6
	v_or_b32_e32 v211, v10, v11
	v_mad_u64_u32 v[8:9], null, s13, v13, v[4:5]
	v_mov_b32_e32 v4, 0
	v_add_nc_u32_e32 v14, 0x530, v15
	v_add_nc_u32_e32 v13, 0x210, v15
	;; [unrolled: 1-line block ×5, first 2 shown]
	s_delay_alu instid0(VALU_DEP_4) | instskip(SKIP_2) | instid1(VALU_DEP_1)
	v_mad_u64_u32 v[9:10], null, s12, v13, 0
	v_lshlrev_b32_e32 v186, 2, v7
	v_mad_u64_u32 v[6:7], null, s12, v14, 0
	v_mad_u64_u32 v[11:12], null, s13, v14, v[7:8]
	v_sub_co_u32 v7, vcc_lo, v5, v36
	v_mov_b32_e32 v5, v10
	v_sub_co_ci_u32_e32 v8, vcc_lo, v8, v37, vcc_lo
	s_delay_alu instid0(VALU_DEP_4) | instskip(NEXT) | instid1(VALU_DEP_4)
	v_dual_mov_b32 v14, v11 :: v_dual_add_nc_u32 v197, 0x4300, v15
	v_add_co_u32 v212, vcc_lo, v40, v7
	v_add_nc_u32_e32 v12, 0x500, v15
	s_delay_alu instid0(VALU_DEP_4) | instskip(SKIP_2) | instid1(VALU_DEP_4)
	v_add_co_ci_u32_e32 v213, vcc_lo, v41, v8, vcc_lo
	v_mad_u64_u32 v[7:8], null, s13, v13, v[5:6]
	v_sub_co_u32 v5, vcc_lo, v6, v36
	v_mad_u64_u32 v[10:11], null, s12, v12, 0
	v_sub_co_ci_u32_e32 v6, vcc_lo, v14, v37, vcc_lo
	s_delay_alu instid0(VALU_DEP_3) | instskip(SKIP_1) | instid1(VALU_DEP_3)
	v_add_co_u32 v214, vcc_lo, v40, v5
	v_dual_mov_b32 v8, v7 :: v_dual_add_nc_u32 v253, 16, v186
	v_add_co_ci_u32_e32 v215, vcc_lo, v41, v6, vcc_lo
	v_mad_u64_u32 v[6:7], null, s12, v17, 0
	v_mov_b32_e32 v5, v11
	v_sub_co_u32 v13, vcc_lo, v9, v36
	v_sub_co_ci_u32_e32 v14, vcc_lo, v8, v37, vcc_lo
	v_or_b32_e32 v189, 1, v186
	s_delay_alu instid0(VALU_DEP_4) | instskip(SKIP_3) | instid1(VALU_DEP_4)
	v_mad_u64_u32 v[8:9], null, s13, v12, v[5:6]
	v_mad_u64_u32 v[11:12], null, s12, v18, 0
	v_mov_b32_e32 v5, v7
	v_add_co_u32 v216, vcc_lo, v40, v13
	v_dual_mov_b32 v7, v8 :: v_dual_add_nc_u32 v190, 0x4700, v185
	v_add_co_ci_u32_e32 v217, vcc_lo, v41, v14, vcc_lo
	s_delay_alu instid0(VALU_DEP_4) | instskip(SKIP_3) | instid1(VALU_DEP_3)
	v_mad_u64_u32 v[13:14], null, s13, v17, v[5:6]
	v_dual_mov_b32 v5, v12 :: v_dual_add_nc_u32 v14, 0x230, v15
	v_sub_co_u32 v10, vcc_lo, v10, v36
	v_sub_co_ci_u32_e32 v12, vcc_lo, v7, v37, vcc_lo
	v_mad_u64_u32 v[7:8], null, s13, v18, v[5:6]
	s_delay_alu instid0(VALU_DEP_4) | instskip(NEXT) | instid1(VALU_DEP_4)
	v_mad_u64_u32 v[8:9], null, s12, v14, 0
	v_add_co_u32 v218, vcc_lo, v40, v10
	s_delay_alu instid0(VALU_DEP_4)
	v_add_co_ci_u32_e32 v219, vcc_lo, v41, v12, vcc_lo
	v_sub_co_u32 v12, vcc_lo, v6, v36
	v_mov_b32_e32 v6, v7
	v_dual_mov_b32 v5, v9 :: v_dual_add_nc_u32 v254, 17, v186
	v_sub_co_ci_u32_e32 v13, vcc_lo, v13, v37, vcc_lo
	v_sub_co_u32 v11, vcc_lo, v11, v36
	v_add_nc_u32_e32 v17, 0x320, v15
	v_sub_co_ci_u32_e32 v18, vcc_lo, v6, v37, vcc_lo
	v_mad_u64_u32 v[6:7], null, s13, v14, v[5:6]
	v_add_co_u32 v220, vcc_lo, v40, v12
	v_add_co_ci_u32_e32 v221, vcc_lo, v41, v13, vcc_lo
	v_mad_u64_u32 v[9:10], null, s12, v17, 0
	v_add_co_u32 v222, vcc_lo, v40, v11
	v_add_nc_u32_e32 v12, 0x520, v15
	v_add_co_ci_u32_e32 v223, vcc_lo, v41, v18, vcc_lo
	v_sub_co_u32 v8, vcc_lo, v8, v36
	v_sub_co_ci_u32_e32 v13, vcc_lo, v6, v37, vcc_lo
	s_delay_alu instid0(VALU_DEP_4) | instskip(SKIP_4) | instid1(VALU_DEP_4)
	v_mad_u64_u32 v[6:7], null, s12, v12, 0
	v_dual_mov_b32 v5, v10 :: v_dual_add_nc_u32 v184, 19, v186
	v_add_nc_u32_e32 v14, 0x430, v15
	v_add_nc_u32_e32 v204, 33, v186
	v_add_co_u32 v224, vcc_lo, v40, v8
	v_mad_u64_u32 v[10:11], null, s13, v17, v[5:6]
	v_mov_b32_e32 v5, v7
	v_mad_u64_u32 v[7:8], null, s12, v14, 0
	v_add_nc_u32_e32 v206, 35, v186
	v_add_co_ci_u32_e32 v225, vcc_lo, v41, v13, vcc_lo
	v_mov_b32_e32 v13, v10
	v_mad_u64_u32 v[10:11], null, s13, v12, v[5:6]
	v_sub_co_u32 v9, vcc_lo, v9, v36
	s_delay_alu instid0(VALU_DEP_3) | instskip(SKIP_1) | instid1(VALU_DEP_3)
	v_sub_co_ci_u32_e32 v11, vcc_lo, v13, v37, vcc_lo
	v_dual_mov_b32 v5, v8 :: v_dual_add_nc_u32 v12, 0x310, v15
	v_add_co_u32 v226, vcc_lo, v40, v9
	v_add_nc_u32_e32 v208, 49, v186
	s_delay_alu instid0(VALU_DEP_4) | instskip(SKIP_4) | instid1(VALU_DEP_4)
	v_add_co_ci_u32_e32 v227, vcc_lo, v41, v11, vcc_lo
	v_mov_b32_e32 v11, v10
	v_mad_u64_u32 v[8:9], null, s13, v14, v[5:6]
	v_mad_u64_u32 v[9:10], null, s12, v12, 0
	v_sub_co_u32 v5, vcc_lo, v6, v36
	v_sub_co_ci_u32_e32 v6, vcc_lo, v11, v37, vcc_lo
	v_add_nc_u32_e32 v13, 0x400, v15
	s_delay_alu instid0(VALU_DEP_3)
	v_add_co_u32 v228, vcc_lo, v40, v5
	v_add_nc_u32_e32 v255, 18, v186
	v_dual_mov_b32 v5, v10 :: v_dual_add_nc_u32 v210, 51, v186
	v_add_co_ci_u32_e32 v229, vcc_lo, v41, v6, vcc_lo
	v_mov_b32_e32 v6, v8
	v_mad_u64_u32 v[10:11], null, s12, v13, 0
	v_add_nc_u32_e32 v18, 0x300, v15
	v_sub_co_u32 v14, vcc_lo, v7, v36
	s_delay_alu instid0(VALU_DEP_4) | instskip(SKIP_1) | instid1(VALU_DEP_4)
	v_sub_co_ci_u32_e32 v17, vcc_lo, v6, v37, vcc_lo
	v_mad_u64_u32 v[6:7], null, s13, v12, v[5:6]
	v_mad_u64_u32 v[7:8], null, s12, v18, 0
	v_mov_b32_e32 v5, v11
	v_add_co_u32 v230, vcc_lo, v40, v14
	v_add_nc_u32_e32 v14, 0x410, v15
	v_add_co_ci_u32_e32 v231, vcc_lo, v41, v17, vcc_lo
	s_delay_alu instid0(VALU_DEP_4) | instskip(SKIP_3) | instid1(VALU_DEP_3)
	v_mad_u64_u32 v[11:12], null, s13, v13, v[5:6]
	v_mov_b32_e32 v5, v8
	v_sub_co_u32 v12, vcc_lo, v9, v36
	v_sub_co_ci_u32_e32 v13, vcc_lo, v6, v37, vcc_lo
	v_mad_u64_u32 v[8:9], null, s13, v18, v[5:6]
	v_mad_u64_u32 v[5:6], null, s12, v14, 0
	s_delay_alu instid0(VALU_DEP_4)
	v_add_co_u32 v232, vcc_lo, v40, v12
	v_add_nc_u32_e32 v15, 0x420, v15
	v_add_co_ci_u32_e32 v233, vcc_lo, v41, v13, vcc_lo
	v_sub_co_u32 v13, vcc_lo, v10, v36
	v_dual_mov_b32 v18, v8 :: v_dual_add_nc_u32 v203, 32, v186
	v_mad_u64_u32 v[8:9], null, s13, v14, v[6:7]
	v_sub_co_ci_u32_e32 v17, vcc_lo, v11, v37, vcc_lo
	v_mad_u64_u32 v[9:10], null, s12, v19, 0
	v_mad_u64_u32 v[11:12], null, s12, v15, 0
	v_add_co_u32 v234, vcc_lo, v40, v13
	s_delay_alu instid0(VALU_DEP_4) | instskip(NEXT) | instid1(VALU_DEP_4)
	v_add_co_ci_u32_e32 v235, vcc_lo, v41, v17, vcc_lo
	v_dual_mov_b32 v6, v10 :: v_dual_add_nc_u32 v205, 34, v186
	v_sub_co_u32 v14, vcc_lo, v7, v36
	v_mov_b32_e32 v7, v12
	v_sub_co_ci_u32_e32 v17, vcc_lo, v18, v37, vcc_lo
	v_sub_co_u32 v10, vcc_lo, v5, v36
	s_delay_alu instid0(VALU_DEP_3) | instskip(SKIP_3) | instid1(VALU_DEP_3)
	v_mad_u64_u32 v[12:13], null, s13, v19, v[6:7]
	v_sub_co_ci_u32_e32 v8, vcc_lo, v8, v37, vcc_lo
	v_add_co_u32 v236, vcc_lo, v40, v14
	v_add_co_ci_u32_e32 v237, vcc_lo, v41, v17, vcc_lo
	v_mad_u64_u32 v[5:6], null, s13, v15, v[7:8]
	v_dual_mov_b32 v6, v12 :: v_dual_add_nc_u32 v207, 48, v186
	v_add_co_u32 v238, vcc_lo, v40, v10
	v_add_co_ci_u32_e32 v239, vcc_lo, v41, v8, vcc_lo
	v_sub_co_u32 v7, vcc_lo, v9, v36
	s_delay_alu instid0(VALU_DEP_4) | instskip(SKIP_2) | instid1(VALU_DEP_4)
	v_sub_co_ci_u32_e32 v6, vcc_lo, v6, v37, vcc_lo
	v_sub_co_u32 v8, vcc_lo, v11, v36
	v_sub_co_ci_u32_e32 v5, vcc_lo, v5, v37, vcc_lo
	v_add_co_u32 v240, vcc_lo, v40, v7
	s_delay_alu instid0(VALU_DEP_4) | instskip(NEXT) | instid1(VALU_DEP_4)
	v_add_co_ci_u32_e32 v241, vcc_lo, v41, v6, vcc_lo
	v_add_co_u32 v242, vcc_lo, v40, v8
	v_or_b32_e32 v192, 2, v186
	v_or_b32_e32 v196, 3, v186
	v_add_nc_u32_e32 v209, 50, v186
	v_add_co_ci_u32_e32 v243, vcc_lo, v41, v5, vcc_lo
	s_cmp_eq_u32 s17, s14
	s_cselect_b32 s12, s15, 0
	s_and_saveexec_b32 s2, s0
	s_cbranch_execz .LBB188_104
.LBB188_100:
	v_cmp_le_i32_e32 vcc_lo, s12, v183
	s_cmp_lg_u32 s12, 0
	s_cselect_b32 s3, -1, 0
	s_delay_alu instid0(SALU_CYCLE_1) | instskip(NEXT) | instid1(SALU_CYCLE_1)
	s_and_b32 s3, s3, vcc_lo
	s_and_saveexec_b32 s13, s3
	s_delay_alu instid0(SALU_CYCLE_1)
	s_xor_b32 s3, exec_lo, s13
	s_cbranch_execz .LBB188_102
; %bb.101:
	v_dual_mov_b32 v5, v4 :: v_dual_add_nc_u32 v8, 0x4300, v185
	v_mov_b32_e32 v6, v4
	v_mov_b32_e32 v7, v4
	ds_store_b128 v8, v[4:7]
.LBB188_102:
	s_and_not1_saveexec_b32 s3, s3
	s_cbranch_execz .LBB188_104
; %bb.103:
	s_mul_i32 s3, s16, s9
	s_mul_hi_u32 s13, s16, s8
	s_ashr_i32 s18, s16, 31
	s_add_i32 s3, s13, s3
	s_mul_i32 s18, s18, s8
	s_mul_i32 s20, s16, s8
	s_add_i32 s21, s3, s18
	v_add_nc_u32_e32 v9, 0x4300, v185
	s_lshl_b64 s[20:21], s[20:21], 4
	s_delay_alu instid0(SALU_CYCLE_1)
	v_add_co_u32 v5, vcc_lo, v187, s20
	v_add_co_ci_u32_e32 v6, vcc_lo, s21, v188, vcc_lo
	flat_load_b128 v[5:8], v[5:6]
	s_waitcnt vmcnt(0) lgkmcnt(0)
	ds_store_2addr_b64 v9, v[5:6], v[7:8] offset1:1
.LBB188_104:                            ; =>This Inner Loop Header: Depth=1
	s_or_b32 exec_lo, exec_lo, s2
	s_cmp_eq_u32 s12, 0
	v_add_co_u32 v17, vcc_lo, v220, v185
	s_cselect_b32 s13, -1, 0
	s_cmp_lg_u32 s12, 0
	v_add_co_ci_u32_e32 v18, vcc_lo, 0, v221, vcc_lo
	s_cselect_b32 s18, -1, 0
	s_waitcnt lgkmcnt(0)
	s_waitcnt_vscnt null, 0x0
	s_and_b32 vcc_lo, exec_lo, s18
	s_barrier
	buffer_gl0_inv
	s_cbranch_vccz .LBB188_112
; %bb.105:                              ;   in Loop: Header=BB188_104 Depth=1
	v_mov_b32_e32 v5, 0
	v_mov_b32_e32 v6, 0
	s_mov_b32 s2, exec_lo
	s_delay_alu instid0(VALU_DEP_1)
	v_dual_mov_b32 v10, v6 :: v_dual_mov_b32 v9, v5
	v_dual_mov_b32 v12, v6 :: v_dual_mov_b32 v11, v5
	v_cmpx_gt_i32_e64 s12, v186
	s_cbranch_execz .LBB188_107
; %bb.106:                              ;   in Loop: Header=BB188_104 Depth=1
	flat_load_b128 v[9:12], v[17:18]
.LBB188_107:                            ;   in Loop: Header=BB188_104 Depth=1
	s_or_b32 exec_lo, exec_lo, s2
	v_dual_mov_b32 v8, v6 :: v_dual_mov_b32 v7, v5
	s_mov_b32 s2, exec_lo
	v_cmpx_gt_i32_e64 s12, v189
	s_cbranch_execz .LBB188_109
; %bb.108:                              ;   in Loop: Header=BB188_104 Depth=1
	v_add_co_u32 v5, vcc_lo, v216, v185
	v_add_co_ci_u32_e32 v6, vcc_lo, 0, v217, vcc_lo
	flat_load_b128 v[5:8], v[5:6]
.LBB188_109:                            ;   in Loop: Header=BB188_104 Depth=1
	s_or_b32 exec_lo, exec_lo, s2
	v_mov_b32_e32 v13, 0
	v_mov_b32_e32 v14, 0
	s_mov_b64 s[2:3], 0
	s_mov_b32 s20, exec_lo
	s_delay_alu instid0(VALU_DEP_1)
	v_dual_mov_b32 v16, v14 :: v_dual_mov_b32 v15, v13
	v_cmpx_gt_i32_e64 s12, v192
	s_cbranch_execz .LBB188_111
; %bb.110:                              ;   in Loop: Header=BB188_104 Depth=1
	v_add_co_u32 v13, vcc_lo, v212, v185
	v_add_co_ci_u32_e32 v14, vcc_lo, 0, v213, vcc_lo
	flat_load_b128 v[13:16], v[13:14]
.LBB188_111:                            ;   in Loop: Header=BB188_104 Depth=1
	s_or_b32 exec_lo, exec_lo, s20
	v_cmp_gt_i32_e64 s20, s12, v196
	s_branch .LBB188_114
.LBB188_112:                            ;   in Loop: Header=BB188_104 Depth=1
	s_mov_b32 s20, 0
                                        ; implicit-def: $sgpr2_sgpr3
                                        ; implicit-def: $vgpr15_vgpr16
                                        ; implicit-def: $vgpr7_vgpr8
                                        ; implicit-def: $vgpr11_vgpr12
	s_cbranch_execz .LBB188_114
; %bb.113:                              ;   in Loop: Header=BB188_104 Depth=1
	s_waitcnt vmcnt(0) lgkmcnt(0)
	v_add_co_u32 v5, vcc_lo, v216, v185
	v_add_co_ci_u32_e32 v6, vcc_lo, 0, v217, vcc_lo
	v_add_co_u32 v13, vcc_lo, v212, v185
	v_add_co_ci_u32_e32 v14, vcc_lo, 0, v213, vcc_lo
	flat_load_b128 v[9:12], v[17:18]
	flat_load_b128 v[5:8], v[5:6]
	;; [unrolled: 1-line block ×3, first 2 shown]
	s_or_b32 s20, s20, exec_lo
                                        ; implicit-def: $sgpr2_sgpr3
.LBB188_114:                            ;   in Loop: Header=BB188_104 Depth=1
	v_dual_mov_b32 v18, s3 :: v_dual_mov_b32 v17, s2
	v_dual_mov_b32 v20, s3 :: v_dual_mov_b32 v19, s2
	s_delay_alu instid0(VALU_DEP_3)
	s_and_saveexec_b32 s2, s20
	s_cbranch_execz .LBB188_116
; %bb.115:                              ;   in Loop: Header=BB188_104 Depth=1
	v_add_co_u32 v17, vcc_lo, v224, v185
	v_add_co_ci_u32_e32 v18, vcc_lo, 0, v225, vcc_lo
	flat_load_b128 v[17:20], v[17:18]
.LBB188_116:                            ;   in Loop: Header=BB188_104 Depth=1
	s_or_b32 exec_lo, exec_lo, s2
	ds_load_b128 v[25:28], v190
	ds_load_b128 v[21:24], v197
	v_add_co_u32 v49, vcc_lo, v236, v185
	v_cndmask_b32_e64 v117, 0, 1, s18
	v_add_co_ci_u32_e32 v50, vcc_lo, 0, v237, vcc_lo
	s_and_not1_b32 vcc_lo, exec_lo, s18
	s_waitcnt vmcnt(0) lgkmcnt(1)
	v_mul_f64 v[29:30], v[11:12], v[27:28]
	v_mul_f64 v[31:32], v[9:10], v[27:28]
	;; [unrolled: 1-line block ×8, first 2 shown]
	v_fma_f64 v[27:28], v[9:10], v[25:26], -v[29:30]
	v_fma_f64 v[29:30], v[11:12], v[25:26], v[31:32]
	v_fma_f64 v[37:38], v[5:6], v[25:26], -v[33:34]
	v_fma_f64 v[39:40], v[7:8], v[25:26], v[35:36]
	;; [unrolled: 2-line block ×4, first 2 shown]
	ds_store_b128 v198, v[27:30]
	ds_load_b128 v[33:36], v197 offset:16
	ds_store_b128 v198, v[37:40] offset:1072
	ds_load_b128 v[29:32], v197 offset:32
	ds_store_b128 v198, v[41:44] offset:2144
	;; [unrolled: 2-line block ×3, first 2 shown]
	s_waitcnt lgkmcnt(0)
	s_barrier
	buffer_gl0_inv
	ds_load_b128 v[93:96], v193
	ds_load_b128 v[89:92], v193 offset:16
	ds_load_b128 v[81:84], v193 offset:32
	;; [unrolled: 1-line block ×3, first 2 shown]
	s_waitcnt lgkmcnt(0)
	s_barrier
	buffer_gl0_inv
	s_cbranch_vccnz .LBB188_124
; %bb.117:                              ;   in Loop: Header=BB188_104 Depth=1
	v_mov_b32_e32 v37, 0
	v_mov_b32_e32 v38, 0
	s_mov_b32 s2, exec_lo
	s_delay_alu instid0(VALU_DEP_1)
	v_dual_mov_b32 v42, v38 :: v_dual_mov_b32 v41, v37
	v_dual_mov_b32 v44, v38 :: v_dual_mov_b32 v43, v37
	v_cmpx_gt_i32_e64 s12, v253
	s_cbranch_execz .LBB188_119
; %bb.118:                              ;   in Loop: Header=BB188_104 Depth=1
	flat_load_b128 v[41:44], v[49:50]
.LBB188_119:                            ;   in Loop: Header=BB188_104 Depth=1
	s_or_b32 exec_lo, exec_lo, s2
	v_dual_mov_b32 v40, v38 :: v_dual_mov_b32 v39, v37
	s_mov_b32 s2, exec_lo
	v_cmpx_gt_i32_e64 s12, v254
	s_cbranch_execz .LBB188_121
; %bb.120:                              ;   in Loop: Header=BB188_104 Depth=1
	v_add_co_u32 v37, vcc_lo, v232, v185
	v_add_co_ci_u32_e32 v38, vcc_lo, 0, v233, vcc_lo
	flat_load_b128 v[37:40], v[37:38]
.LBB188_121:                            ;   in Loop: Header=BB188_104 Depth=1
	s_or_b32 exec_lo, exec_lo, s2
	v_mov_b32_e32 v45, 0
	v_mov_b32_e32 v46, 0
	s_mov_b64 s[2:3], 0
	s_mov_b32 s18, exec_lo
	s_delay_alu instid0(VALU_DEP_1)
	v_dual_mov_b32 v48, v46 :: v_dual_mov_b32 v47, v45
	v_cmpx_gt_i32_e64 s12, v255
	s_cbranch_execz .LBB188_123
; %bb.122:                              ;   in Loop: Header=BB188_104 Depth=1
	v_add_co_u32 v45, vcc_lo, v226, v185
	v_add_co_ci_u32_e32 v46, vcc_lo, 0, v227, vcc_lo
	flat_load_b128 v[45:48], v[45:46]
.LBB188_123:                            ;   in Loop: Header=BB188_104 Depth=1
	s_or_b32 exec_lo, exec_lo, s18
	v_cmp_gt_i32_e64 s18, s12, v184
	s_branch .LBB188_126
.LBB188_124:                            ;   in Loop: Header=BB188_104 Depth=1
	s_mov_b32 s18, 0
                                        ; implicit-def: $sgpr2_sgpr3
                                        ; implicit-def: $vgpr47_vgpr48
                                        ; implicit-def: $vgpr39_vgpr40
                                        ; implicit-def: $vgpr43_vgpr44
	s_cbranch_execz .LBB188_126
; %bb.125:                              ;   in Loop: Header=BB188_104 Depth=1
	s_waitcnt vmcnt(0) lgkmcnt(0)
	v_add_co_u32 v37, vcc_lo, v232, v185
	v_add_co_ci_u32_e32 v38, vcc_lo, 0, v233, vcc_lo
	v_add_co_u32 v45, vcc_lo, v226, v185
	v_add_co_ci_u32_e32 v46, vcc_lo, 0, v227, vcc_lo
	flat_load_b128 v[41:44], v[49:50]
	flat_load_b128 v[37:40], v[37:38]
	;; [unrolled: 1-line block ×3, first 2 shown]
	s_or_b32 s18, s18, exec_lo
                                        ; implicit-def: $sgpr2_sgpr3
.LBB188_126:                            ;   in Loop: Header=BB188_104 Depth=1
	v_dual_mov_b32 v50, s3 :: v_dual_mov_b32 v49, s2
	v_dual_mov_b32 v52, s3 :: v_dual_mov_b32 v51, s2
	s_delay_alu instid0(VALU_DEP_3)
	s_and_saveexec_b32 s2, s18
	s_cbranch_execz .LBB188_128
; %bb.127:                              ;   in Loop: Header=BB188_104 Depth=1
	v_add_co_u32 v49, vcc_lo, v240, v185
	v_add_co_ci_u32_e32 v50, vcc_lo, 0, v241, vcc_lo
	flat_load_b128 v[49:52], v[49:50]
.LBB188_128:                            ;   in Loop: Header=BB188_104 Depth=1
	s_or_b32 exec_lo, exec_lo, s2
	ds_load_b128 v[57:60], v190
	ds_load_b128 v[53:56], v197 offset:256
	v_cmp_ne_u32_e32 vcc_lo, 1, v117
	v_add_co_u32 v97, s2, v234, v185
	s_delay_alu instid0(VALU_DEP_1)
	v_add_co_ci_u32_e64 v98, s2, 0, v235, s2
	s_and_b32 vcc_lo, exec_lo, vcc_lo
	s_waitcnt vmcnt(0) lgkmcnt(1)
	v_mul_f64 v[61:62], v[43:44], v[59:60]
	v_mul_f64 v[63:64], v[41:42], v[59:60]
	;; [unrolled: 1-line block ×8, first 2 shown]
	v_fma_f64 v[59:60], v[41:42], v[57:58], -v[61:62]
	v_fma_f64 v[61:62], v[43:44], v[57:58], v[63:64]
	v_fma_f64 v[69:70], v[37:38], v[57:58], -v[65:66]
	v_fma_f64 v[71:72], v[39:40], v[57:58], v[67:68]
	;; [unrolled: 2-line block ×4, first 2 shown]
	ds_store_b128 v198, v[59:62]
	ds_load_b128 v[65:68], v197 offset:272
	ds_store_b128 v198, v[69:72] offset:1072
	ds_load_b128 v[61:64], v197 offset:288
	ds_store_b128 v198, v[73:76] offset:2144
	;; [unrolled: 2-line block ×3, first 2 shown]
	s_waitcnt lgkmcnt(0)
	s_barrier
	buffer_gl0_inv
	ds_load_b128 v[141:144], v193
	ds_load_b128 v[137:140], v193 offset:16
	ds_load_b128 v[133:136], v193 offset:32
	;; [unrolled: 1-line block ×3, first 2 shown]
	s_waitcnt lgkmcnt(0)
	s_barrier
	buffer_gl0_inv
	s_cbranch_vccnz .LBB188_136
; %bb.129:                              ;   in Loop: Header=BB188_104 Depth=1
	v_mov_b32_e32 v69, 0
	v_mov_b32_e32 v70, 0
	s_mov_b32 s2, exec_lo
	s_delay_alu instid0(VALU_DEP_1)
	v_dual_mov_b32 v74, v70 :: v_dual_mov_b32 v73, v69
	v_dual_mov_b32 v76, v70 :: v_dual_mov_b32 v75, v69
	v_cmpx_gt_i32_e64 s12, v203
	s_cbranch_execz .LBB188_131
; %bb.130:                              ;   in Loop: Header=BB188_104 Depth=1
	flat_load_b128 v[73:76], v[97:98]
.LBB188_131:                            ;   in Loop: Header=BB188_104 Depth=1
	s_or_b32 exec_lo, exec_lo, s2
	v_dual_mov_b32 v72, v70 :: v_dual_mov_b32 v71, v69
	s_mov_b32 s2, exec_lo
	v_cmpx_gt_i32_e64 s12, v204
	s_cbranch_execz .LBB188_133
; %bb.132:                              ;   in Loop: Header=BB188_104 Depth=1
	v_add_co_u32 v69, vcc_lo, v238, v185
	v_add_co_ci_u32_e32 v70, vcc_lo, 0, v239, vcc_lo
	flat_load_b128 v[69:72], v[69:70]
.LBB188_133:                            ;   in Loop: Header=BB188_104 Depth=1
	s_or_b32 exec_lo, exec_lo, s2
	v_mov_b32_e32 v85, 0
	v_mov_b32_e32 v86, 0
	s_mov_b64 s[2:3], 0
	s_mov_b32 s18, exec_lo
	s_delay_alu instid0(VALU_DEP_1)
	v_dual_mov_b32 v88, v86 :: v_dual_mov_b32 v87, v85
	v_cmpx_gt_i32_e64 s12, v205
	s_cbranch_execz .LBB188_135
; %bb.134:                              ;   in Loop: Header=BB188_104 Depth=1
	v_add_co_u32 v85, vcc_lo, v242, v185
	v_add_co_ci_u32_e32 v86, vcc_lo, 0, v243, vcc_lo
	flat_load_b128 v[85:88], v[85:86]
.LBB188_135:                            ;   in Loop: Header=BB188_104 Depth=1
	s_or_b32 exec_lo, exec_lo, s18
	v_cmp_gt_i32_e64 s18, s12, v206
	s_branch .LBB188_138
.LBB188_136:                            ;   in Loop: Header=BB188_104 Depth=1
	s_mov_b32 s18, 0
                                        ; implicit-def: $sgpr2_sgpr3
                                        ; implicit-def: $vgpr87_vgpr88
                                        ; implicit-def: $vgpr71_vgpr72
                                        ; implicit-def: $vgpr75_vgpr76
	s_cbranch_execz .LBB188_138
; %bb.137:                              ;   in Loop: Header=BB188_104 Depth=1
	s_waitcnt vmcnt(0) lgkmcnt(0)
	v_add_co_u32 v69, vcc_lo, v238, v185
	v_add_co_ci_u32_e32 v70, vcc_lo, 0, v239, vcc_lo
	v_add_co_u32 v85, vcc_lo, v242, v185
	v_add_co_ci_u32_e32 v86, vcc_lo, 0, v243, vcc_lo
	flat_load_b128 v[73:76], v[97:98]
	flat_load_b128 v[69:72], v[69:70]
	;; [unrolled: 1-line block ×3, first 2 shown]
	s_or_b32 s18, s18, exec_lo
                                        ; implicit-def: $sgpr2_sgpr3
.LBB188_138:                            ;   in Loop: Header=BB188_104 Depth=1
	v_dual_mov_b32 v98, s3 :: v_dual_mov_b32 v97, s2
	v_dual_mov_b32 v100, s3 :: v_dual_mov_b32 v99, s2
	s_delay_alu instid0(VALU_DEP_3)
	s_and_saveexec_b32 s2, s18
	s_cbranch_execz .LBB188_140
; %bb.139:                              ;   in Loop: Header=BB188_104 Depth=1
	v_add_co_u32 v97, vcc_lo, v230, v185
	v_add_co_ci_u32_e32 v98, vcc_lo, 0, v231, vcc_lo
	flat_load_b128 v[97:100], v[97:98]
.LBB188_140:                            ;   in Loop: Header=BB188_104 Depth=1
	s_or_b32 exec_lo, exec_lo, s2
	ds_load_b128 v[105:108], v190
	ds_load_b128 v[101:104], v197 offset:512
	v_cmp_ne_u32_e32 vcc_lo, 1, v117
	s_and_b32 vcc_lo, exec_lo, vcc_lo
	s_waitcnt vmcnt(0) lgkmcnt(1)
	v_mul_f64 v[109:110], v[75:76], v[107:108]
	v_mul_f64 v[111:112], v[73:74], v[107:108]
	;; [unrolled: 1-line block ×8, first 2 shown]
	v_fma_f64 v[107:108], v[73:74], v[105:106], -v[109:110]
	v_fma_f64 v[109:110], v[75:76], v[105:106], v[111:112]
	v_fma_f64 v[118:119], v[69:70], v[105:106], -v[113:114]
	v_fma_f64 v[120:121], v[71:72], v[105:106], v[115:116]
	;; [unrolled: 2-line block ×4, first 2 shown]
	ds_store_b128 v198, v[107:110]
	ds_load_b128 v[113:116], v197 offset:528
	ds_store_b128 v198, v[118:121] offset:1072
	ds_load_b128 v[109:112], v197 offset:544
	ds_store_b128 v198, v[122:125] offset:2144
	;; [unrolled: 2-line block ×3, first 2 shown]
	s_waitcnt lgkmcnt(0)
	s_barrier
	buffer_gl0_inv
	ds_load_b128 v[177:180], v193
	ds_load_b128 v[173:176], v193 offset:16
	ds_load_b128 v[169:172], v193 offset:32
	;; [unrolled: 1-line block ×3, first 2 shown]
	v_add_co_u32 v145, s2, v218, v185
	s_delay_alu instid0(VALU_DEP_1)
	v_add_co_ci_u32_e64 v146, s2, 0, v219, s2
	s_waitcnt lgkmcnt(0)
	s_barrier
	buffer_gl0_inv
	s_cbranch_vccnz .LBB188_148
; %bb.141:                              ;   in Loop: Header=BB188_104 Depth=1
	v_mov_b32_e32 v117, 0
	v_mov_b32_e32 v118, 0
	s_mov_b32 s2, exec_lo
	s_delay_alu instid0(VALU_DEP_1)
	v_dual_mov_b32 v122, v118 :: v_dual_mov_b32 v121, v117
	v_dual_mov_b32 v124, v118 :: v_dual_mov_b32 v123, v117
	v_cmpx_gt_i32_e64 s12, v207
	s_cbranch_execz .LBB188_143
; %bb.142:                              ;   in Loop: Header=BB188_104 Depth=1
	flat_load_b128 v[121:124], v[145:146]
.LBB188_143:                            ;   in Loop: Header=BB188_104 Depth=1
	s_or_b32 exec_lo, exec_lo, s2
	v_dual_mov_b32 v120, v118 :: v_dual_mov_b32 v119, v117
	s_mov_b32 s2, exec_lo
	v_cmpx_gt_i32_e64 s12, v208
	s_cbranch_execz .LBB188_145
; %bb.144:                              ;   in Loop: Header=BB188_104 Depth=1
	v_add_co_u32 v117, vcc_lo, v222, v185
	v_add_co_ci_u32_e32 v118, vcc_lo, 0, v223, vcc_lo
	flat_load_b128 v[117:120], v[117:118]
.LBB188_145:                            ;   in Loop: Header=BB188_104 Depth=1
	s_or_b32 exec_lo, exec_lo, s2
	v_mov_b32_e32 v125, 0
	v_mov_b32_e32 v126, 0
	s_mov_b64 s[2:3], 0
	s_mov_b32 s18, exec_lo
	s_delay_alu instid0(VALU_DEP_1)
	v_dual_mov_b32 v128, v126 :: v_dual_mov_b32 v127, v125
	v_cmpx_gt_i32_e64 s12, v209
	s_cbranch_execz .LBB188_147
; %bb.146:                              ;   in Loop: Header=BB188_104 Depth=1
	v_add_co_u32 v125, vcc_lo, v228, v185
	v_add_co_ci_u32_e32 v126, vcc_lo, 0, v229, vcc_lo
	flat_load_b128 v[125:128], v[125:126]
.LBB188_147:                            ;   in Loop: Header=BB188_104 Depth=1
	s_or_b32 exec_lo, exec_lo, s18
	v_cmp_gt_i32_e64 s18, s12, v210
	s_branch .LBB188_150
.LBB188_148:                            ;   in Loop: Header=BB188_104 Depth=1
	s_mov_b32 s18, 0
                                        ; implicit-def: $sgpr2_sgpr3
                                        ; implicit-def: $vgpr127_vgpr128
                                        ; implicit-def: $vgpr119_vgpr120
                                        ; implicit-def: $vgpr123_vgpr124
	s_cbranch_execz .LBB188_150
; %bb.149:                              ;   in Loop: Header=BB188_104 Depth=1
	s_waitcnt vmcnt(0) lgkmcnt(0)
	v_add_co_u32 v117, vcc_lo, v222, v185
	v_add_co_ci_u32_e32 v118, vcc_lo, 0, v223, vcc_lo
	v_add_co_u32 v125, vcc_lo, v228, v185
	v_add_co_ci_u32_e32 v126, vcc_lo, 0, v229, vcc_lo
	flat_load_b128 v[121:124], v[145:146]
	flat_load_b128 v[117:120], v[117:118]
	;; [unrolled: 1-line block ×3, first 2 shown]
	s_or_b32 s18, s18, exec_lo
                                        ; implicit-def: $sgpr2_sgpr3
.LBB188_150:                            ;   in Loop: Header=BB188_104 Depth=1
	v_dual_mov_b32 v146, s3 :: v_dual_mov_b32 v145, s2
	v_dual_mov_b32 v148, s3 :: v_dual_mov_b32 v147, s2
	s_delay_alu instid0(VALU_DEP_3)
	s_and_saveexec_b32 s2, s18
	s_cbranch_execz .LBB188_152
; %bb.151:                              ;   in Loop: Header=BB188_104 Depth=1
	v_add_co_u32 v145, vcc_lo, v214, v185
	v_add_co_ci_u32_e32 v146, vcc_lo, 0, v215, vcc_lo
	flat_load_b128 v[145:148], v[145:146]
.LBB188_152:                            ;   in Loop: Header=BB188_104 Depth=1
	s_or_b32 exec_lo, exec_lo, s2
	ds_load_b128 v[153:156], v190
	ds_load_b128 v[149:152], v197 offset:768
	v_add_f64 v[141:142], v[141:142], 0
	v_add_f64 v[143:144], v[143:144], 0
	;; [unrolled: 1-line block ×4, first 2 shown]
	v_cmp_gt_i32_e32 vcc_lo, s12, v183
	s_or_b32 s2, s13, vcc_lo
	s_delay_alu instid0(SALU_CYCLE_1)
	s_and_b32 s3, s1, s2
	s_waitcnt vmcnt(0) lgkmcnt(1)
	v_mul_f64 v[157:158], v[123:124], v[155:156]
	v_mul_f64 v[159:160], v[121:122], v[155:156]
	;; [unrolled: 1-line block ×8, first 2 shown]
	v_add_f64 v[137:138], v[141:142], v[137:138]
	v_add_f64 v[139:140], v[143:144], v[139:140]
	;; [unrolled: 1-line block ×4, first 2 shown]
	v_fma_f64 v[155:156], v[121:122], v[153:154], -v[157:158]
	v_fma_f64 v[157:158], v[123:124], v[153:154], v[159:160]
	v_fma_f64 v[245:246], v[117:118], v[153:154], -v[161:162]
	v_fma_f64 v[247:248], v[119:120], v[153:154], v[163:164]
	;; [unrolled: 2-line block ×4, first 2 shown]
	v_add_f64 v[181:182], v[93:94], 0
	v_add_f64 v[194:195], v[95:96], 0
	;; [unrolled: 1-line block ×6, first 2 shown]
	ds_store_b128 v198, v[155:158]
	ds_load_b128 v[161:164], v197 offset:784
	ds_store_b128 v198, v[245:248] offset:1072
	ds_load_b128 v[157:160], v197 offset:800
	ds_store_b128 v198, v[249:252] offset:2144
	;; [unrolled: 2-line block ×3, first 2 shown]
	s_waitcnt lgkmcnt(0)
	s_barrier
	buffer_gl0_inv
	ds_load_b128 v[199:202], v193
	ds_load_b128 v[93:96], v193 offset:16
	v_add_f64 v[141:142], v[181:182], v[89:90]
	v_add_f64 v[143:144], v[194:195], v[91:92]
	ds_load_b128 v[89:92], v193 offset:32
	s_waitcnt lgkmcnt(2)
	v_add_f64 v[199:200], v[199:200], 0
	v_add_f64 v[201:202], v[201:202], 0
	;; [unrolled: 1-line block ×4, first 2 shown]
	ds_load_b128 v[81:84], v193 offset:48
	s_waitcnt lgkmcnt(0)
	s_barrier
	buffer_gl0_inv
	v_add_f64 v[93:94], v[199:200], v[93:94]
	v_add_f64 v[95:96], v[201:202], v[95:96]
	;; [unrolled: 1-line block ×4, first 2 shown]
	s_delay_alu instid0(VALU_DEP_4) | instskip(NEXT) | instid1(VALU_DEP_4)
	v_add_f64 v[141:142], v[93:94], v[89:90]
	v_add_f64 v[143:144], v[95:96], v[91:92]
	;; [unrolled: 1-line block ×8, first 2 shown]
	ds_store_b128 v244, v[77:80]
	ds_store_b128 v244, v[93:96] offset:256
	ds_store_b128 v244, v[89:92] offset:512
	;; [unrolled: 1-line block ×3, first 2 shown]
	s_waitcnt lgkmcnt(0)
	s_barrier
	buffer_gl0_inv
	s_and_saveexec_b32 s2, s3
	s_cbranch_execz .LBB188_154
; %bb.153:                              ;   in Loop: Header=BB188_104 Depth=1
	ds_load_b128 v[77:80], v191
	ds_load_b128 v[81:84], v191 offset:16
	s_waitcnt lgkmcnt(0)
	v_add_f64 v[89:90], v[81:82], v[77:78]
	v_add_f64 v[91:92], v[83:84], v[79:80]
	ds_load_b128 v[77:80], v191 offset:32
	ds_load_b128 v[81:84], v191 offset:48
	s_waitcnt lgkmcnt(1)
	v_add_f64 v[77:78], v[89:90], v[77:78]
	v_add_f64 v[79:80], v[91:92], v[79:80]
	s_waitcnt lgkmcnt(0)
	s_delay_alu instid0(VALU_DEP_2) | instskip(NEXT) | instid1(VALU_DEP_2)
	v_add_f64 v[89:90], v[77:78], v[81:82]
	v_add_f64 v[91:92], v[79:80], v[83:84]
	ds_load_b128 v[77:80], v191 offset:64
	ds_load_b128 v[81:84], v191 offset:80
	s_waitcnt lgkmcnt(1)
	v_add_f64 v[77:78], v[89:90], v[77:78]
	v_add_f64 v[79:80], v[91:92], v[79:80]
	s_waitcnt lgkmcnt(0)
	s_delay_alu instid0(VALU_DEP_2) | instskip(NEXT) | instid1(VALU_DEP_2)
	v_add_f64 v[89:90], v[77:78], v[81:82]
	v_add_f64 v[91:92], v[79:80], v[83:84]
	ds_load_b128 v[77:80], v191 offset:96
	ds_load_b128 v[81:84], v191 offset:112
	s_waitcnt lgkmcnt(1)
	v_add_f64 v[77:78], v[89:90], v[77:78]
	v_add_f64 v[79:80], v[91:92], v[79:80]
	s_waitcnt lgkmcnt(0)
	s_delay_alu instid0(VALU_DEP_2) | instskip(NEXT) | instid1(VALU_DEP_2)
	v_add_f64 v[89:90], v[77:78], v[81:82]
	v_add_f64 v[91:92], v[79:80], v[83:84]
	ds_load_b128 v[77:80], v191 offset:128
	ds_load_b128 v[81:84], v191 offset:144
	s_waitcnt lgkmcnt(1)
	v_add_f64 v[77:78], v[89:90], v[77:78]
	v_add_f64 v[79:80], v[91:92], v[79:80]
	s_waitcnt lgkmcnt(0)
	s_delay_alu instid0(VALU_DEP_2) | instskip(NEXT) | instid1(VALU_DEP_2)
	v_add_f64 v[89:90], v[77:78], v[81:82]
	v_add_f64 v[91:92], v[79:80], v[83:84]
	ds_load_b128 v[77:80], v191 offset:160
	ds_load_b128 v[81:84], v191 offset:176
	s_waitcnt lgkmcnt(1)
	v_add_f64 v[77:78], v[89:90], v[77:78]
	v_add_f64 v[79:80], v[91:92], v[79:80]
	s_waitcnt lgkmcnt(0)
	s_delay_alu instid0(VALU_DEP_2) | instskip(NEXT) | instid1(VALU_DEP_2)
	v_add_f64 v[89:90], v[77:78], v[81:82]
	v_add_f64 v[91:92], v[79:80], v[83:84]
	ds_load_b128 v[77:80], v191 offset:192
	ds_load_b128 v[81:84], v191 offset:208
	s_waitcnt lgkmcnt(1)
	v_add_f64 v[77:78], v[89:90], v[77:78]
	v_add_f64 v[79:80], v[91:92], v[79:80]
	s_waitcnt lgkmcnt(0)
	s_delay_alu instid0(VALU_DEP_2)
	v_add_f64 v[89:90], v[77:78], v[81:82]
	scratch_load_b32 v81, off, off          ; 4-byte Folded Reload
	v_add_f64 v[91:92], v[79:80], v[83:84]
	ds_load_b128 v[77:80], v191 offset:224
	s_waitcnt vmcnt(0)
	ds_load_b128 v[81:84], v81
	s_waitcnt lgkmcnt(1)
	v_add_f64 v[77:78], v[89:90], v[77:78]
	v_add_f64 v[79:80], v[91:92], v[79:80]
	s_waitcnt lgkmcnt(0)
	s_delay_alu instid0(VALU_DEP_2) | instskip(NEXT) | instid1(VALU_DEP_2)
	v_add_f64 v[77:78], v[77:78], v[81:82]
	v_add_f64 v[79:80], v[79:80], v[83:84]
	v_add_nc_u32_e32 v81, s16, v211
	s_delay_alu instid0(VALU_DEP_1) | instskip(NEXT) | instid1(VALU_DEP_1)
	v_ashrrev_i32_e32 v82, 31, v81
	v_lshlrev_b64 v[81:82], 4, v[81:82]
	s_delay_alu instid0(VALU_DEP_1) | instskip(NEXT) | instid1(VALU_DEP_2)
	v_add_co_u32 v81, vcc_lo, s6, v81
	v_add_co_ci_u32_e32 v82, vcc_lo, s11, v82, vcc_lo
	global_store_b128 v[81:82], v[77:80], off
.LBB188_154:                            ;   in Loop: Header=BB188_104 Depth=1
	s_or_b32 exec_lo, exec_lo, s2
	v_mul_f64 v[77:78], v[11:12], v[23:24]
	v_mul_f64 v[23:24], v[9:10], v[23:24]
	;; [unrolled: 1-line block ×4, first 2 shown]
	v_add_co_u32 v212, vcc_lo, v212, s4
	v_add_co_ci_u32_e32 v213, vcc_lo, s5, v213, vcc_lo
	v_add_co_u32 v214, vcc_lo, v214, s4
	v_add_co_ci_u32_e32 v215, vcc_lo, s5, v215, vcc_lo
	;; [unrolled: 2-line block ×8, first 2 shown]
	v_add_co_u32 v228, vcc_lo, v228, s4
	v_fma_f64 v[9:10], v[9:10], v[21:22], -v[77:78]
	v_fma_f64 v[11:12], v[11:12], v[21:22], v[23:24]
	v_mul_f64 v[21:22], v[15:16], v[31:32]
	v_mul_f64 v[23:24], v[13:14], v[31:32]
	v_fma_f64 v[5:6], v[5:6], v[33:34], -v[79:80]
	v_fma_f64 v[7:8], v[7:8], v[33:34], v[35:36]
	v_add_co_ci_u32_e32 v229, vcc_lo, s5, v229, vcc_lo
	v_add_co_u32 v230, vcc_lo, v230, s4
	v_add_co_ci_u32_e32 v231, vcc_lo, s5, v231, vcc_lo
	v_add_co_u32 v232, vcc_lo, v232, s4
	;; [unrolled: 2-line block ×7, first 2 shown]
	v_add_co_ci_u32_e32 v243, vcc_lo, s5, v243, vcc_lo
	s_add_i32 s3, s14, 2
	s_add_i32 s2, s14, 1
	v_add_f64 v[0:1], v[0:1], v[9:10]
	v_add_f64 v[2:3], v[2:3], v[11:12]
	v_mul_f64 v[9:10], v[19:20], v[27:28]
	v_mul_f64 v[11:12], v[17:18], v[27:28]
	v_fma_f64 v[13:14], v[13:14], v[29:30], -v[21:22]
	v_fma_f64 v[15:16], v[15:16], v[29:30], v[23:24]
	s_add_i32 s16, s16, 64
	s_cmp_ge_u32 s3, s7
	s_waitcnt_vscnt null, 0x0
	s_barrier
	buffer_gl0_inv
	v_add_f64 v[0:1], v[0:1], v[5:6]
	v_add_f64 v[2:3], v[2:3], v[7:8]
	v_mul_f64 v[5:6], v[43:44], v[55:56]
	v_mul_f64 v[7:8], v[41:42], v[55:56]
	v_fma_f64 v[9:10], v[17:18], v[25:26], -v[9:10]
	v_fma_f64 v[11:12], v[19:20], v[25:26], v[11:12]
	v_add_f64 v[0:1], v[0:1], v[13:14]
	v_add_f64 v[2:3], v[2:3], v[15:16]
	v_mul_f64 v[13:14], v[39:40], v[67:68]
	v_mul_f64 v[15:16], v[37:38], v[67:68]
	v_fma_f64 v[5:6], v[41:42], v[53:54], -v[5:6]
	v_fma_f64 v[7:8], v[43:44], v[53:54], v[7:8]
	;; [unrolled: 6-line block ×12, first 2 shown]
	v_add_f64 v[0:1], v[0:1], v[5:6]
	v_add_f64 v[2:3], v[2:3], v[7:8]
	v_fma_f64 v[5:6], v[145:146], v[153:154], -v[9:10]
	v_fma_f64 v[7:8], v[147:148], v[153:154], v[11:12]
	s_delay_alu instid0(VALU_DEP_4) | instskip(NEXT) | instid1(VALU_DEP_4)
	v_add_f64 v[0:1], v[0:1], v[13:14]
	v_add_f64 v[2:3], v[2:3], v[15:16]
	s_delay_alu instid0(VALU_DEP_2) | instskip(NEXT) | instid1(VALU_DEP_2)
	v_add_f64 v[0:1], v[0:1], v[5:6]
	v_add_f64 v[2:3], v[2:3], v[7:8]
	s_cbranch_scc1 .LBB188_156
; %bb.155:                              ;   in Loop: Header=BB188_104 Depth=1
	s_mov_b32 s14, s2
	s_delay_alu instid0(SALU_CYCLE_1)
	s_cmp_eq_u32 s17, s14
	s_cselect_b32 s12, s15, 0
	s_and_saveexec_b32 s2, s0
	s_cbranch_execnz .LBB188_100
	s_branch .LBB188_104
.LBB188_156:
	scratch_load_b32 v4, off, off offset:4  ; 4-byte Folded Reload
	v_cmp_gt_i32_e32 vcc_lo, s10, v183
	s_or_b32 s1, s19, vcc_lo
	s_delay_alu instid0(SALU_CYCLE_1)
	s_and_b32 s0, s0, s1
	s_waitcnt vmcnt(0)
	v_mad_u32_u24 v4, 0x430, v4, v185
	ds_store_b128 v4, v[0:3]
	s_waitcnt lgkmcnt(0)
	s_barrier
	buffer_gl0_inv
	s_and_saveexec_b32 s1, s0
	s_cbranch_execz .LBB188_158
; %bb.157:
	ds_load_b128 v[0:3], v185 offset:1072
	ds_load_b128 v[4:7], v185
	s_waitcnt lgkmcnt(0)
	v_add_f64 v[8:9], v[0:1], v[4:5]
	v_add_f64 v[10:11], v[2:3], v[6:7]
	ds_load_b128 v[0:3], v185 offset:2144
	ds_load_b128 v[4:7], v185 offset:3216
	s_waitcnt lgkmcnt(1)
	v_add_f64 v[0:1], v[8:9], v[0:1]
	v_add_f64 v[2:3], v[10:11], v[2:3]
	s_waitcnt lgkmcnt(0)
	s_delay_alu instid0(VALU_DEP_2) | instskip(SKIP_4) | instid1(VALU_DEP_1)
	v_add_f64 v[0:1], v[0:1], v[4:5]
	scratch_load_b64 v[4:5], off, off offset:8 ; 8-byte Folded Reload
	v_add_f64 v[2:3], v[2:3], v[6:7]
	s_waitcnt vmcnt(0)
	v_lshlrev_b64 v[4:5], 4, v[4:5]
	v_add_co_u32 v4, vcc_lo, s6, v4
	s_delay_alu instid0(VALU_DEP_2)
	v_add_co_ci_u32_e32 v5, vcc_lo, s11, v5, vcc_lo
	global_store_b128 v[4:5], v[0:3], off
.LBB188_158:
	s_nop 0
	s_sendmsg sendmsg(MSG_DEALLOC_VGPRS)
	s_endpgm
	.section	.rodata,"a",@progbits
	.p2align	6, 0x0
	.amdhsa_kernel _ZL26rocblas_hemvn_kernel_upperILb0ELi64ELi4ELi33ELi32ELi16ElPK19rocblas_complex_numIdEPKS3_PS1_EviT6_lT7_lT5_lS8_lS9_lS7_lT8_i
		.amdhsa_group_segment_fixed_size 19200
		.amdhsa_private_segment_fixed_size 20
		.amdhsa_kernarg_size 376
		.amdhsa_user_sgpr_count 14
		.amdhsa_user_sgpr_dispatch_ptr 0
		.amdhsa_user_sgpr_queue_ptr 0
		.amdhsa_user_sgpr_kernarg_segment_ptr 1
		.amdhsa_user_sgpr_dispatch_id 0
		.amdhsa_user_sgpr_private_segment_size 0
		.amdhsa_wavefront_size32 1
		.amdhsa_uses_dynamic_stack 0
		.amdhsa_enable_private_segment 1
		.amdhsa_system_sgpr_workgroup_id_x 1
		.amdhsa_system_sgpr_workgroup_id_y 0
		.amdhsa_system_sgpr_workgroup_id_z 1
		.amdhsa_system_sgpr_workgroup_info 0
		.amdhsa_system_vgpr_workitem_id 1
		.amdhsa_next_free_vgpr 256
		.amdhsa_next_free_sgpr 30
		.amdhsa_reserve_vcc 1
		.amdhsa_float_round_mode_32 0
		.amdhsa_float_round_mode_16_64 0
		.amdhsa_float_denorm_mode_32 3
		.amdhsa_float_denorm_mode_16_64 3
		.amdhsa_dx10_clamp 1
		.amdhsa_ieee_mode 1
		.amdhsa_fp16_overflow 0
		.amdhsa_workgroup_processor_mode 1
		.amdhsa_memory_ordered 1
		.amdhsa_forward_progress 0
		.amdhsa_shared_vgpr_count 0
		.amdhsa_exception_fp_ieee_invalid_op 0
		.amdhsa_exception_fp_denorm_src 0
		.amdhsa_exception_fp_ieee_div_zero 0
		.amdhsa_exception_fp_ieee_overflow 0
		.amdhsa_exception_fp_ieee_underflow 0
		.amdhsa_exception_fp_ieee_inexact 0
		.amdhsa_exception_int_div_zero 0
	.end_amdhsa_kernel
	.section	.text._ZL26rocblas_hemvn_kernel_upperILb0ELi64ELi4ELi33ELi32ELi16ElPK19rocblas_complex_numIdEPKS3_PS1_EviT6_lT7_lT5_lS8_lS9_lS7_lT8_i,"axG",@progbits,_ZL26rocblas_hemvn_kernel_upperILb0ELi64ELi4ELi33ELi32ELi16ElPK19rocblas_complex_numIdEPKS3_PS1_EviT6_lT7_lT5_lS8_lS9_lS7_lT8_i,comdat
.Lfunc_end188:
	.size	_ZL26rocblas_hemvn_kernel_upperILb0ELi64ELi4ELi33ELi32ELi16ElPK19rocblas_complex_numIdEPKS3_PS1_EviT6_lT7_lT5_lS8_lS9_lS7_lT8_i, .Lfunc_end188-_ZL26rocblas_hemvn_kernel_upperILb0ELi64ELi4ELi33ELi32ELi16ElPK19rocblas_complex_numIdEPKS3_PS1_EviT6_lT7_lT5_lS8_lS9_lS7_lT8_i
                                        ; -- End function
	.section	.AMDGPU.csdata,"",@progbits
; Kernel info:
; codeLenInByte = 12304
; NumSgprs: 32
; NumVgprs: 256
; ScratchSize: 20
; MemoryBound: 1
; FloatMode: 240
; IeeeMode: 1
; LDSByteSize: 19200 bytes/workgroup (compile time only)
; SGPRBlocks: 3
; VGPRBlocks: 31
; NumSGPRsForWavesPerEU: 32
; NumVGPRsForWavesPerEU: 256
; Occupancy: 5
; WaveLimiterHint : 1
; COMPUTE_PGM_RSRC2:SCRATCH_EN: 1
; COMPUTE_PGM_RSRC2:USER_SGPR: 14
; COMPUTE_PGM_RSRC2:TRAP_HANDLER: 0
; COMPUTE_PGM_RSRC2:TGID_X_EN: 1
; COMPUTE_PGM_RSRC2:TGID_Y_EN: 0
; COMPUTE_PGM_RSRC2:TGID_Z_EN: 1
; COMPUTE_PGM_RSRC2:TIDIG_COMP_CNT: 1
	.section	.text._ZL26rocblas_hemvn_kernel_upperILb0ELi64ELi4ELi33ELi32ELi16EiPK19rocblas_complex_numIdEPKS3_PS1_EviT6_lT7_lT5_lS8_lS9_lS7_lT8_i,"axG",@progbits,_ZL26rocblas_hemvn_kernel_upperILb0ELi64ELi4ELi33ELi32ELi16EiPK19rocblas_complex_numIdEPKS3_PS1_EviT6_lT7_lT5_lS8_lS9_lS7_lT8_i,comdat
	.globl	_ZL26rocblas_hemvn_kernel_upperILb0ELi64ELi4ELi33ELi32ELi16EiPK19rocblas_complex_numIdEPKS3_PS1_EviT6_lT7_lT5_lS8_lS9_lS7_lT8_i ; -- Begin function _ZL26rocblas_hemvn_kernel_upperILb0ELi64ELi4ELi33ELi32ELi16EiPK19rocblas_complex_numIdEPKS3_PS1_EviT6_lT7_lT5_lS8_lS9_lS7_lT8_i
	.p2align	8
	.type	_ZL26rocblas_hemvn_kernel_upperILb0ELi64ELi4ELi33ELi32ELi16EiPK19rocblas_complex_numIdEPKS3_PS1_EviT6_lT7_lT5_lS8_lS9_lS7_lT8_i,@function
_ZL26rocblas_hemvn_kernel_upperILb0ELi64ELi4ELi33ELi32ELi16EiPK19rocblas_complex_numIdEPKS3_PS1_EviT6_lT7_lT5_lS8_lS9_lS7_lT8_i: ; @_ZL26rocblas_hemvn_kernel_upperILb0ELi64ELi4ELi33ELi32ELi16EiPK19rocblas_complex_numIdEPKS3_PS1_EviT6_lT7_lT5_lS8_lS9_lS7_lT8_i
; %bb.0:
	s_load_b64 s[4:5], s[0:1], 0x84
	s_add_u32 s2, s0, 0x78
	s_addc_u32 s3, s1, 0
	s_waitcnt lgkmcnt(0)
	s_lshr_b32 s6, s4, 16
	s_and_b32 s4, s4, 0xffff
	s_and_b32 s5, s5, 0xffff
	s_mul_i32 s4, s6, s4
	s_delay_alu instid0(SALU_CYCLE_1) | instskip(NEXT) | instid1(SALU_CYCLE_1)
	s_mul_i32 s4, s4, s5
	s_cmpk_lg_i32 s4, 0x100
	s_cbranch_scc1 .LBB189_158
; %bb.1:
	s_load_b256 s[4:11], s[0:1], 0x8
	s_mov_b32 s12, s15
	s_mov_b64 s[20:21], 0
	s_waitcnt lgkmcnt(0)
	s_mul_i32 s7, s15, s7
	s_mul_hi_u32 s13, s15, s6
	s_mul_i32 s6, s15, s6
	s_add_i32 s7, s13, s7
	s_delay_alu instid0(SALU_CYCLE_1) | instskip(NEXT) | instid1(SALU_CYCLE_1)
	s_lshl_b64 s[6:7], s[6:7], 4
	s_add_u32 s4, s4, s6
	s_addc_u32 s5, s5, s7
	s_load_b128 s[4:7], s[4:5], 0x0
	s_waitcnt lgkmcnt(0)
	v_cmp_neq_f64_e64 s13, s[4:5], 0
	v_cmp_neq_f64_e64 s15, s[6:7], 0
	s_clause 0x1
	s_load_b64 s[16:17], s[0:1], 0x68
	s_load_b128 s[4:7], s[0:1], 0x58
	s_delay_alu instid0(VALU_DEP_1)
	s_or_b32 s15, s13, s15
	s_mov_b32 s13, 0
	s_and_b32 vcc_lo, exec_lo, s15
	s_cbranch_vccnz .LBB189_3
; %bb.2:
	s_waitcnt lgkmcnt(0)
	s_mul_i32 s7, s12, s7
	s_mul_hi_u32 s18, s12, s6
	s_mul_i32 s6, s12, s6
	s_add_i32 s7, s18, s7
	s_delay_alu instid0(SALU_CYCLE_1) | instskip(NEXT) | instid1(SALU_CYCLE_1)
	s_lshl_b64 s[6:7], s[6:7], 4
	s_add_u32 s4, s4, s6
	s_addc_u32 s5, s5, s7
	s_load_b128 s[4:7], s[4:5], 0x0
	s_waitcnt lgkmcnt(0)
	v_cmp_neq_f64_e64 s4, s[4:5], 1.0
	v_cmp_neq_f64_e64 s5, s[6:7], 0
	s_delay_alu instid0(VALU_DEP_1)
	s_or_b32 s4, s4, s5
	s_cbranch_execz .LBB189_4
	s_branch .LBB189_5
.LBB189_3:
	s_waitcnt lgkmcnt(0)
	s_mov_b32 s4, s13
                                        ; implicit-def: $sgpr20_sgpr21
.LBB189_4:
	s_lshl_b64 s[4:5], s[12:13], 3
	s_delay_alu instid0(SALU_CYCLE_1)
	s_add_u32 s4, s8, s4
	s_addc_u32 s5, s9, s5
	s_lshl_b64 s[6:7], s[10:11], 4
	s_load_b64 s[4:5], s[4:5], 0x0
	s_waitcnt lgkmcnt(0)
	s_add_u32 s20, s4, s6
	s_addc_u32 s21, s5, s7
	s_mov_b32 s4, -1
.LBB189_5:
	s_delay_alu instid0(SALU_CYCLE_1)
	s_and_not1_b32 vcc_lo, exec_lo, s4
	s_cbranch_vccnz .LBB189_158
; %bb.6:
	v_cndmask_b32_e64 v1, 0, 1, s15
	s_and_not1_b32 vcc_lo, exec_lo, s15
	s_mov_b64 s[4:5], 0
	s_cbranch_vccnz .LBB189_8
; %bb.7:
	s_load_b128 s[4:7], s[0:1], 0x38
	s_lshl_b64 s[8:9], s[12:13], 3
	s_waitcnt lgkmcnt(0)
	s_add_u32 s4, s4, s8
	s_addc_u32 s5, s5, s9
	s_lshl_b64 s[6:7], s[6:7], 4
	s_load_b64 s[4:5], s[4:5], 0x0
	s_waitcnt lgkmcnt(0)
	s_add_u32 s4, s4, s6
	s_addc_u32 s5, s5, s7
.LBB189_8:
	s_delay_alu instid0(VALU_DEP_1)
	v_cmp_ne_u32_e32 vcc_lo, 1, v1
	s_cbranch_vccnz .LBB189_158
; %bb.9:
	s_clause 0x1
	s_load_b32 s7, s[0:1], 0x48
	s_load_b32 s13, s[0:1], 0x0
	v_and_b32_e32 v170, 0x3ff, v0
	s_lshl_b32 s10, s14, 6
	s_load_b32 s15, s[2:3], 0x0
	v_bfe_u32 v0, v0, 10, 10
	s_delay_alu instid0(VALU_DEP_2)
	v_add_nc_u32_e32 v2, s10, v170
	scratch_store_b32 off, v0, off offset:8 ; 4-byte Folded Spill
	v_mov_b32_e32 v1, v2
	scratch_store_b64 off, v[1:2], off offset:12 ; 8-byte Folded Spill
	s_waitcnt lgkmcnt(0)
	v_mul_lo_u32 v1, v2, s7
	s_ashr_i32 s28, s13, 31
	s_delay_alu instid0(SALU_CYCLE_1) | instskip(SKIP_2) | instid1(SALU_CYCLE_1)
	s_lshr_b32 s2, s28, 26
	s_add_i32 s3, s15, -1
	s_add_i32 s2, s13, s2
	s_and_not1_b32 s2, s2, 63
	s_delay_alu instid0(VALU_DEP_1)
	v_ashrrev_i32_e32 v2, 31, v1
	s_sub_i32 s26, s13, s2
	v_cmp_eq_u32_e64 s2, 0, v0
	s_cmp_eq_u32 s14, s3
	s_mov_b32 s3, -1
	v_lshlrev_b64 v[1:2], 4, v[1:2]
	s_cselect_b32 s8, s26, 0
	s_delay_alu instid0(VALU_DEP_1) | instskip(NEXT) | instid1(VALU_DEP_2)
	v_add_co_u32 v36, vcc_lo, s4, v1
	v_add_co_ci_u32_e32 v37, vcc_lo, s5, v2, vcc_lo
	s_and_saveexec_b32 s4, s2
	s_cbranch_execz .LBB189_14
; %bb.10:
	v_cmp_le_i32_e32 vcc_lo, s8, v170
	s_cmp_lg_u32 s8, 0
	v_lshl_add_u32 v0, v170, 4, 0x4700
	s_cselect_b32 s5, -1, 0
	s_delay_alu instid0(SALU_CYCLE_1) | instskip(NEXT) | instid1(SALU_CYCLE_1)
	s_and_b32 s5, s5, vcc_lo
	s_and_saveexec_b32 s6, s5
	s_delay_alu instid0(SALU_CYCLE_1)
	s_xor_b32 s5, exec_lo, s6
	s_cbranch_execz .LBB189_12
; %bb.11:
	v_mov_b32_e32 v1, 0
	s_delay_alu instid0(VALU_DEP_1)
	v_mov_b32_e32 v2, v1
	v_mov_b32_e32 v3, v1
	;; [unrolled: 1-line block ×3, first 2 shown]
	ds_store_b128 v0, v[1:4]
                                        ; implicit-def: $vgpr0
.LBB189_12:
	s_and_not1_saveexec_b32 s5, s5
	s_cbranch_execz .LBB189_14
; %bb.13:
	flat_load_b128 v[1:4], v[36:37]
	s_waitcnt vmcnt(0) lgkmcnt(0)
	ds_store_2addr_b64 v0, v[1:2], v[3:4] offset1:1
.LBB189_14:
	s_or_b32 exec_lo, exec_lo, s4
	scratch_load_b32 v0, off, off offset:8  ; 4-byte Folded Reload
	s_load_b32 s18, s[0:1], 0x28
	v_and_b32_e32 v4, 31, v170
	s_ashr_i32 s11, s10, 31
	s_delay_alu instid0(SALU_CYCLE_1) | instskip(NEXT) | instid1(SALU_CYCLE_1)
	s_lshl_b64 s[0:1], s[10:11], 4
	s_add_u32 s4, s20, s0
	s_addc_u32 s5, s21, s1
	v_lshlrev_b32_e32 v11, 4, v4
	s_waitcnt lgkmcnt(0)
	s_mul_i32 s0, s10, s18
	s_delay_alu instid0(SALU_CYCLE_1) | instskip(NEXT) | instid1(SALU_CYCLE_1)
	s_ashr_i32 s1, s0, 31
	s_lshl_b64 s[0:1], s[0:1], 4
	s_delay_alu instid0(SALU_CYCLE_1)
	s_add_u32 s4, s0, s4
	s_addc_u32 s5, s1, s5
	s_cmp_eq_u32 s8, 0
	v_cmp_gt_i32_e64 s0, s8, v4
	s_cselect_b32 s27, -1, 0
	s_cmp_lg_u32 s8, 0
	s_cselect_b32 s11, -1, 0
	s_delay_alu instid0(SALU_CYCLE_1) | instskip(SKIP_2) | instid1(VALU_DEP_1)
	s_and_b32 vcc_lo, exec_lo, s11
	s_waitcnt vmcnt(0)
	v_lshl_add_u32 v42, v0, 6, v170
	v_lshrrev_b32_e32 v9, 5, v42
	s_delay_alu instid0(VALU_DEP_1) | instskip(SKIP_1) | instid1(VALU_DEP_2)
	v_mad_u64_u32 v[0:1], null, v9, s18, v[4:5]
	v_mul_u32_u24_e32 v10, 33, v9
	v_ashrrev_i32_e32 v1, 31, v0
	s_delay_alu instid0(VALU_DEP_1) | instskip(NEXT) | instid1(VALU_DEP_1)
	v_lshlrev_b64 v[38:39], 4, v[0:1]
	v_add_co_u32 v0, s1, s4, v38
	s_delay_alu instid0(VALU_DEP_1)
	v_add_co_ci_u32_e64 v1, s1, s5, v39, s1
	s_cbranch_vccz .LBB189_32
; %bb.15:
	s_delay_alu instid0(VALU_DEP_2) | instskip(SKIP_1) | instid1(VALU_DEP_2)
	v_sub_co_u32 v2, vcc_lo, v0, v11
	s_ashr_i32 s9, s8, 31
	v_subrev_co_ci_u32_e32 v3, vcc_lo, 0, v1, vcc_lo
	s_lshl_b64 s[4:5], s[8:9], 4
	v_add_lshl_u32 v5, v10, v4, 4
	v_add_co_u32 v2, vcc_lo, v2, s4
	s_delay_alu instid0(VALU_DEP_3) | instskip(SKIP_1) | instid1(VALU_DEP_2)
	v_add_co_ci_u32_e32 v3, vcc_lo, s5, v3, vcc_lo
	s_mov_b32 s1, exec_lo
	v_add_co_u32 v2, vcc_lo, v2, -16
	s_delay_alu instid0(VALU_DEP_2) | instskip(NEXT) | instid1(VALU_DEP_2)
	v_add_co_ci_u32_e32 v3, vcc_lo, -1, v3, vcc_lo
	v_cndmask_b32_e64 v2, v2, v0, s0
	s_delay_alu instid0(VALU_DEP_2)
	v_cndmask_b32_e64 v3, v3, v1, s0
	v_cmpx_le_i32_e64 s8, v9
	s_xor_b32 s1, exec_lo, s1
	s_cbranch_execz .LBB189_17
; %bb.16:
	v_mov_b32_e32 v12, 0
	s_delay_alu instid0(VALU_DEP_1)
	v_mov_b32_e32 v13, v12
	v_mov_b32_e32 v14, v12
	;; [unrolled: 1-line block ×3, first 2 shown]
	ds_store_b128 v5, v[12:15]
.LBB189_17:
	s_and_not1_saveexec_b32 s1, s1
	s_cbranch_execz .LBB189_19
; %bb.18:
	flat_load_b128 v[12:15], v[2:3]
	s_waitcnt vmcnt(0) lgkmcnt(0)
	ds_store_2addr_b64 v5, v[12:13], v[14:15] offset1:1
.LBB189_19:
	s_or_b32 exec_lo, exec_lo, s1
	v_add_nc_u32_e32 v6, 8, v9
	s_mov_b32 s1, exec_lo
	s_delay_alu instid0(VALU_DEP_1)
	v_cmpx_le_i32_e64 s8, v6
	s_xor_b32 s1, exec_lo, s1
	s_cbranch_execz .LBB189_21
; %bb.20:
	v_mul_u32_u24_e32 v6, 33, v6
	v_mov_b32_e32 v12, 0
	s_delay_alu instid0(VALU_DEP_2) | instskip(NEXT) | instid1(VALU_DEP_2)
	v_add_lshl_u32 v6, v6, v4, 4
	v_mov_b32_e32 v13, v12
	v_mov_b32_e32 v14, v12
	;; [unrolled: 1-line block ×3, first 2 shown]
	ds_store_b128 v6, v[12:15]
.LBB189_21:
	s_and_not1_saveexec_b32 s1, s1
	s_cbranch_execz .LBB189_23
; %bb.22:
	s_lshl_b32 s20, s18, 3
	s_delay_alu instid0(SALU_CYCLE_1) | instskip(NEXT) | instid1(SALU_CYCLE_1)
	s_ashr_i32 s21, s20, 31
	s_lshl_b64 s[20:21], s[20:21], 4
	s_delay_alu instid0(SALU_CYCLE_1)
	v_add_co_u32 v6, vcc_lo, v2, s20
	v_add_co_ci_u32_e32 v7, vcc_lo, s21, v3, vcc_lo
	flat_load_b128 v[12:15], v[6:7]
	v_add_nc_u32_e32 v6, 0x1080, v5
	s_waitcnt vmcnt(0) lgkmcnt(0)
	ds_store_2addr_b64 v6, v[12:13], v[14:15] offset1:1
.LBB189_23:
	s_or_b32 exec_lo, exec_lo, s1
	v_add_nc_u32_e32 v6, 16, v9
	s_mov_b32 s1, exec_lo
	s_delay_alu instid0(VALU_DEP_1)
	v_cmpx_le_i32_e64 s8, v6
	s_xor_b32 s1, exec_lo, s1
	s_cbranch_execz .LBB189_25
; %bb.24:
	v_mul_u32_u24_e32 v6, 33, v6
	v_mov_b32_e32 v12, 0
	s_delay_alu instid0(VALU_DEP_2) | instskip(NEXT) | instid1(VALU_DEP_2)
	v_add_lshl_u32 v6, v6, v4, 4
	v_mov_b32_e32 v13, v12
	v_mov_b32_e32 v14, v12
	;; [unrolled: 1-line block ×3, first 2 shown]
	ds_store_b128 v6, v[12:15]
.LBB189_25:
	s_and_not1_saveexec_b32 s1, s1
	s_cbranch_execz .LBB189_27
; %bb.26:
	s_lshl_b32 s20, s18, 4
	s_delay_alu instid0(SALU_CYCLE_1) | instskip(NEXT) | instid1(SALU_CYCLE_1)
	s_ashr_i32 s21, s20, 31
	s_lshl_b64 s[20:21], s[20:21], 4
	s_delay_alu instid0(SALU_CYCLE_1)
	v_add_co_u32 v6, vcc_lo, v2, s20
	v_add_co_ci_u32_e32 v7, vcc_lo, s21, v3, vcc_lo
	flat_load_b128 v[12:15], v[6:7]
	v_add_nc_u32_e32 v6, 0x2100, v5
	s_waitcnt vmcnt(0) lgkmcnt(0)
	ds_store_2addr_b64 v6, v[12:13], v[14:15] offset1:1
.LBB189_27:
	s_or_b32 exec_lo, exec_lo, s1
	v_add_nc_u32_e32 v6, 24, v9
	s_mov_b32 s1, exec_lo
	s_delay_alu instid0(VALU_DEP_1)
	v_cmpx_le_i32_e64 s8, v6
	s_xor_b32 s1, exec_lo, s1
	s_cbranch_execz .LBB189_29
; %bb.28:
	v_mov_b32_e32 v12, 0
	s_delay_alu instid0(VALU_DEP_1)
	v_mov_b32_e32 v13, v12
	v_mov_b32_e32 v14, v12
	;; [unrolled: 1-line block ×3, first 2 shown]
	ds_store_b128 v5, v[12:15] offset:12672
                                        ; implicit-def: $vgpr5
.LBB189_29:
	s_and_not1_saveexec_b32 s1, s1
	s_cbranch_execz .LBB189_31
; %bb.30:
	s_mul_i32 s20, s18, 24
	v_add_nc_u32_e32 v5, 0x3180, v5
	s_ashr_i32 s21, s20, 31
	s_delay_alu instid0(SALU_CYCLE_1) | instskip(NEXT) | instid1(SALU_CYCLE_1)
	s_lshl_b64 s[20:21], s[20:21], 4
	v_add_co_u32 v6, vcc_lo, v2, s20
	v_add_co_ci_u32_e32 v7, vcc_lo, s21, v3, vcc_lo
	flat_load_b128 v[12:15], v[6:7]
	s_waitcnt vmcnt(0) lgkmcnt(0)
	ds_store_2addr_b64 v5, v[12:13], v[14:15] offset1:1
.LBB189_31:
	s_or_b32 exec_lo, exec_lo, s1
	v_add_co_u32 v2, vcc_lo, v2, v11
	v_add_co_ci_u32_e32 v3, vcc_lo, 0, v3, vcc_lo
	s_delay_alu instid0(VALU_DEP_2) | instskip(NEXT) | instid1(VALU_DEP_2)
	v_sub_co_u32 v2, vcc_lo, v2, s4
	v_subrev_co_ci_u32_e32 v3, vcc_lo, s5, v3, vcc_lo
	s_delay_alu instid0(VALU_DEP_2) | instskip(NEXT) | instid1(VALU_DEP_2)
	v_add_co_u32 v2, vcc_lo, v2, 16
	v_add_co_ci_u32_e32 v3, vcc_lo, 0, v3, vcc_lo
	s_delay_alu instid0(VALU_DEP_2) | instskip(NEXT) | instid1(VALU_DEP_2)
	v_cndmask_b32_e64 v5, v2, v0, s0
	v_cndmask_b32_e64 v6, v3, v1, s0
	s_branch .LBB189_34
.LBB189_32:
                                        ; implicit-def: $vgpr5_vgpr6
	s_and_b32 vcc_lo, exec_lo, s3
	s_cbranch_vccz .LBB189_34
; %bb.33:
	flat_load_b128 v[5:8], v[0:1]
	s_lshl_b32 s0, s18, 3
	v_add_lshl_u32 v16, v10, v4, 4
	s_ashr_i32 s1, s0, 31
	s_ashr_i32 s19, s18, 31
	s_lshl_b64 s[0:1], s[0:1], 4
	s_delay_alu instid0(SALU_CYCLE_1)
	v_add_co_u32 v2, vcc_lo, v0, s0
	v_add_co_ci_u32_e32 v3, vcc_lo, s1, v1, vcc_lo
	s_lshl_b64 s[0:1], s[18:19], 7
	v_add_nc_u32_e32 v12, 0x1080, v16
	s_waitcnt vmcnt(0) lgkmcnt(0)
	ds_store_2addr_b64 v16, v[5:6], v[7:8] offset1:1
	flat_load_b128 v[5:8], v[2:3]
	v_add_co_u32 v2, vcc_lo, v2, s0
	v_add_co_ci_u32_e32 v3, vcc_lo, s1, v3, vcc_lo
	s_waitcnt vmcnt(0) lgkmcnt(0)
	ds_store_2addr_b64 v12, v[5:6], v[7:8] offset1:1
	flat_load_b128 v[5:8], v[2:3]
	v_add_co_u32 v2, vcc_lo, v2, s0
	v_add_nc_u32_e32 v12, 0x2100, v16
	v_add_co_ci_u32_e32 v3, vcc_lo, s1, v3, vcc_lo
	s_waitcnt vmcnt(0) lgkmcnt(0)
	ds_store_2addr_b64 v12, v[5:6], v[7:8] offset1:1
	flat_load_b128 v[12:15], v[2:3]
	v_dual_mov_b32 v6, v1 :: v_dual_mov_b32 v5, v0
	v_add_nc_u32_e32 v2, 0x3180, v16
	s_waitcnt vmcnt(0) lgkmcnt(0)
	ds_store_2addr_b64 v2, v[12:13], v[14:15] offset1:1
.LBB189_34:
	v_lshlrev_b32_e32 v0, 2, v9
	v_mul_u32_u24_e32 v12, 33, v4
	v_mul_u32_u24_e32 v1, 0x84, v9
	s_waitcnt lgkmcnt(0)
	s_waitcnt_vscnt null, 0x0
	s_barrier
	v_cmp_gt_u32_e64 s1, v0, v4
	v_add_lshl_u32 v16, v0, v12, 4
	buffer_gl0_inv
	s_and_saveexec_b32 s0, s1
	s_cbranch_execz .LBB189_36
; %bb.35:
	v_add_lshl_u32 v2, v1, v4, 4
	ds_load_b128 v[17:20], v2
	s_waitcnt lgkmcnt(0)
	ds_store_b128 v16, v[17:20]
.LBB189_36:
	s_or_b32 exec_lo, exec_lo, s0
	v_cmp_ge_u32_e64 s3, v0, v4
	s_delay_alu instid0(VALU_DEP_1)
	s_and_saveexec_b32 s0, s3
	s_cbranch_execz .LBB189_38
; %bb.37:
	v_or_b32_e32 v2, 1, v0
	s_delay_alu instid0(VALU_DEP_1) | instskip(NEXT) | instid1(VALU_DEP_1)
	v_mul_u32_u24_e32 v2, 33, v2
	v_add_lshl_u32 v2, v2, v4, 4
	ds_load_b128 v[17:20], v2
	s_waitcnt lgkmcnt(0)
	ds_store_b128 v16, v[17:20] offset:16
.LBB189_38:
	s_or_b32 exec_lo, exec_lo, s0
	v_or_b32_e32 v2, 2, v0
	s_delay_alu instid0(VALU_DEP_1) | instskip(NEXT) | instid1(VALU_DEP_1)
	v_cmp_gt_u32_e64 s4, v2, v4
	s_and_saveexec_b32 s0, s4
	s_cbranch_execz .LBB189_40
; %bb.39:
	v_mul_u32_u24_e32 v2, 33, v2
	s_delay_alu instid0(VALU_DEP_1)
	v_add_lshl_u32 v2, v2, v4, 4
	ds_load_b128 v[17:20], v2
	s_waitcnt lgkmcnt(0)
	ds_store_b128 v16, v[17:20] offset:32
.LBB189_40:
	s_or_b32 exec_lo, exec_lo, s0
	v_or_b32_e32 v2, 3, v0
	s_delay_alu instid0(VALU_DEP_1) | instskip(SKIP_1) | instid1(VALU_DEP_2)
	v_mad_u32_u24 v3, v2, 33, v4
	v_cmp_gt_u32_e64 s5, v2, v4
	v_lshlrev_b32_e32 v14, 4, v3
	s_delay_alu instid0(VALU_DEP_2)
	s_and_saveexec_b32 s0, s5
	s_cbranch_execz .LBB189_42
; %bb.41:
	ds_load_b128 v[17:20], v14
	s_waitcnt lgkmcnt(0)
	ds_store_b128 v16, v[17:20] offset:48
.LBB189_42:
	s_or_b32 exec_lo, exec_lo, s0
	v_lshlrev_b32_e32 v15, 4, v0
	v_add_lshl_u32 v13, v1, v4, 4
	s_waitcnt lgkmcnt(0)
	s_barrier
	buffer_gl0_inv
	ds_load_b128 v[0:3], v15 offset:18176
	ds_load_b128 v[17:20], v13
	v_add_nc_u32_e32 v24, 0xfffffbe0, v14
	ds_load_b128 v[25:28], v24
	ds_load_b128 v[29:32], v24 offset:528
	v_cmp_gt_u32_e64 s0, 32, v42
	s_waitcnt lgkmcnt(2)
	v_mul_f64 v[7:8], v[2:3], v[19:20]
	v_mul_f64 v[33:34], v[0:1], v[19:20]
	ds_load_b128 v[19:22], v15 offset:18192
	ds_load_b128 v[43:46], v15 offset:18208
	s_waitcnt lgkmcnt(1)
	v_mul_f64 v[40:41], v[21:22], v[27:28]
	v_mul_f64 v[27:28], v[19:20], v[27:28]
	v_fma_f64 v[0:1], v[0:1], v[17:18], -v[7:8]
	v_fma_f64 v[2:3], v[2:3], v[17:18], v[33:34]
	s_waitcnt lgkmcnt(0)
	v_mul_f64 v[7:8], v[45:46], v[31:32]
	v_mul_f64 v[31:32], v[43:44], v[31:32]
	v_fma_f64 v[33:34], v[19:20], v[25:26], -v[40:41]
	v_fma_f64 v[21:22], v[21:22], v[25:26], v[27:28]
	v_add_f64 v[25:26], v[0:1], 0
	v_add_f64 v[27:28], v[2:3], 0
	ds_load_b128 v[0:3], v15 offset:18224
	ds_load_b128 v[17:20], v14
	v_fma_f64 v[7:8], v[43:44], v[29:30], -v[7:8]
	v_fma_f64 v[29:30], v[45:46], v[29:30], v[31:32]
	v_add_lshl_u32 v44, v9, v12, 4
	s_waitcnt lgkmcnt(0)
	s_barrier
	buffer_gl0_inv
	v_mul_f64 v[40:41], v[2:3], v[19:20]
	v_mul_f64 v[19:20], v[0:1], v[19:20]
	v_add_f64 v[25:26], v[25:26], v[33:34]
	v_add_f64 v[21:22], v[27:28], v[21:22]
	s_delay_alu instid0(VALU_DEP_4) | instskip(NEXT) | instid1(VALU_DEP_4)
	v_fma_f64 v[0:1], v[0:1], v[17:18], -v[40:41]
	v_fma_f64 v[2:3], v[2:3], v[17:18], v[19:20]
	s_delay_alu instid0(VALU_DEP_4) | instskip(NEXT) | instid1(VALU_DEP_4)
	v_add_f64 v[7:8], v[25:26], v[7:8]
	v_add_f64 v[19:20], v[21:22], v[29:30]
	s_delay_alu instid0(VALU_DEP_2) | instskip(NEXT) | instid1(VALU_DEP_2)
	v_add_f64 v[17:18], v[7:8], v[0:1]
	v_add_f64 v[19:20], v[19:20], v[2:3]
	v_mov_b32_e32 v0, 0
	v_mov_b32_e32 v1, 0
	v_lshlrev_b32_e32 v43, 4, v12
	s_delay_alu instid0(VALU_DEP_2)
	v_dual_mov_b32 v3, v1 :: v_dual_mov_b32 v2, v0
	ds_store_b128 v44, v[17:20]
	s_waitcnt lgkmcnt(0)
	s_barrier
	buffer_gl0_inv
	s_and_saveexec_b32 s6, s0
	s_cbranch_execz .LBB189_44
; %bb.43:
	ds_load_b128 v[0:3], v43
	ds_load_b128 v[17:20], v43 offset:16
	s_waitcnt lgkmcnt(0)
	v_add_f64 v[7:8], v[17:18], v[0:1]
	v_add_f64 v[21:22], v[19:20], v[2:3]
	ds_load_b128 v[0:3], v43 offset:32
	ds_load_b128 v[17:20], v43 offset:48
	s_waitcnt lgkmcnt(1)
	v_add_f64 v[0:1], v[7:8], v[0:1]
	v_add_f64 v[2:3], v[21:22], v[2:3]
	s_waitcnt lgkmcnt(0)
	s_delay_alu instid0(VALU_DEP_2) | instskip(NEXT) | instid1(VALU_DEP_2)
	v_add_f64 v[7:8], v[0:1], v[17:18]
	v_add_f64 v[21:22], v[2:3], v[19:20]
	ds_load_b128 v[0:3], v43 offset:64
	ds_load_b128 v[17:20], v43 offset:80
	s_waitcnt lgkmcnt(1)
	v_add_f64 v[0:1], v[7:8], v[0:1]
	v_add_f64 v[2:3], v[21:22], v[2:3]
	s_waitcnt lgkmcnt(0)
	s_delay_alu instid0(VALU_DEP_2) | instskip(NEXT) | instid1(VALU_DEP_2)
	;; [unrolled: 9-line block ×3, first 2 shown]
	v_add_f64 v[0:1], v[0:1], v[17:18]
	v_add_f64 v[2:3], v[2:3], v[19:20]
.LBB189_44:
	s_or_b32 exec_lo, exec_lo, s6
	s_lshl_b32 s22, s18, 5
	s_delay_alu instid0(SALU_CYCLE_1)
	s_ashr_i32 s23, s22, 31
	s_barrier
	s_lshl_b64 s[20:21], s[22:23], 4
	buffer_gl0_inv
	v_add_co_u32 v17, vcc_lo, v5, s20
	v_add_co_ci_u32_e32 v18, vcc_lo, s21, v6, vcc_lo
	s_delay_alu instid0(VALU_DEP_2) | instskip(NEXT) | instid1(VALU_DEP_2)
	v_add_co_u32 v7, vcc_lo, 0x200, v17
	v_add_co_ci_u32_e32 v8, vcc_lo, 0, v18, vcc_lo
	s_and_b32 vcc_lo, exec_lo, s11
	s_cbranch_vccz .LBB189_62
; %bb.45:
	v_or_b32_e32 v5, 32, v4
	s_ashr_i32 s9, s8, 31
	s_delay_alu instid0(SALU_CYCLE_1) | instskip(SKIP_1) | instid1(VALU_DEP_1)
	s_lshl_b64 s[24:25], s[8:9], 4
	s_sub_i32 s9, s8, 32
	v_lshlrev_b32_e32 v6, 4, v5
	v_cmp_le_i32_e64 s6, s9, v9
	s_delay_alu instid0(VALU_DEP_2) | instskip(SKIP_1) | instid1(VALU_DEP_2)
	v_sub_co_u32 v6, vcc_lo, v7, v6
	v_subrev_co_ci_u32_e32 v19, vcc_lo, 0, v8, vcc_lo
	v_add_co_u32 v6, vcc_lo, v6, s24
	s_delay_alu instid0(VALU_DEP_2) | instskip(NEXT) | instid1(VALU_DEP_2)
	v_add_co_ci_u32_e32 v19, vcc_lo, s25, v19, vcc_lo
	v_add_co_u32 v20, vcc_lo, v6, -16
	s_delay_alu instid0(VALU_DEP_2) | instskip(SKIP_2) | instid1(VALU_DEP_3)
	v_add_co_ci_u32_e32 v6, vcc_lo, -1, v19, vcc_lo
	v_cmp_gt_i32_e32 vcc_lo, s8, v5
	v_add_lshl_u32 v19, v10, v4, 4
	v_dual_cndmask_b32 v5, v20, v7 :: v_dual_cndmask_b32 v6, v6, v8
	s_and_saveexec_b32 s19, s6
	s_delay_alu instid0(SALU_CYCLE_1)
	s_xor_b32 s6, exec_lo, s19
	s_cbranch_execz .LBB189_47
; %bb.46:
	v_mov_b32_e32 v20, 0
	s_delay_alu instid0(VALU_DEP_1)
	v_mov_b32_e32 v21, v20
	v_mov_b32_e32 v22, v20
	;; [unrolled: 1-line block ×3, first 2 shown]
	ds_store_b128 v19, v[20:23]
.LBB189_47:
	s_and_not1_saveexec_b32 s6, s6
	s_cbranch_execz .LBB189_49
; %bb.48:
	flat_load_b128 v[20:23], v[5:6]
	s_waitcnt vmcnt(0) lgkmcnt(0)
	ds_store_2addr_b64 v19, v[20:21], v[22:23] offset1:1
.LBB189_49:
	s_or_b32 exec_lo, exec_lo, s6
	v_add_nc_u32_e32 v20, 8, v9
	s_delay_alu instid0(VALU_DEP_1) | instskip(NEXT) | instid1(VALU_DEP_1)
	v_cmp_le_i32_e64 s6, s9, v20
	s_and_saveexec_b32 s19, s6
	s_delay_alu instid0(SALU_CYCLE_1)
	s_xor_b32 s6, exec_lo, s19
	s_cbranch_execz .LBB189_51
; %bb.50:
	v_mul_u32_u24_e32 v21, 33, v20
	v_mov_b32_e32 v20, 0
	s_delay_alu instid0(VALU_DEP_2) | instskip(NEXT) | instid1(VALU_DEP_2)
	v_add_lshl_u32 v25, v21, v4, 4
	v_mov_b32_e32 v21, v20
	v_mov_b32_e32 v22, v20
	;; [unrolled: 1-line block ×3, first 2 shown]
	ds_store_b128 v25, v[20:23]
.LBB189_51:
	s_and_not1_saveexec_b32 s19, s6
	s_cbranch_execz .LBB189_53
; %bb.52:
	s_lshl_b32 s30, s18, 3
	v_add_nc_u32_e32 v25, 0x1080, v19
	s_ashr_i32 s31, s30, 31
	s_delay_alu instid0(SALU_CYCLE_1) | instskip(NEXT) | instid1(SALU_CYCLE_1)
	s_lshl_b64 s[30:31], s[30:31], 4
	v_add_co_u32 v20, s6, v5, s30
	s_delay_alu instid0(VALU_DEP_1)
	v_add_co_ci_u32_e64 v21, s6, s31, v6, s6
	flat_load_b128 v[20:23], v[20:21]
	s_waitcnt vmcnt(0) lgkmcnt(0)
	ds_store_2addr_b64 v25, v[20:21], v[22:23] offset1:1
.LBB189_53:
	s_or_b32 exec_lo, exec_lo, s19
	v_add_nc_u32_e32 v20, 16, v9
	s_delay_alu instid0(VALU_DEP_1) | instskip(NEXT) | instid1(VALU_DEP_1)
	v_cmp_le_i32_e64 s6, s9, v20
	s_and_saveexec_b32 s19, s6
	s_delay_alu instid0(SALU_CYCLE_1)
	s_xor_b32 s6, exec_lo, s19
	s_cbranch_execz .LBB189_55
; %bb.54:
	v_mul_u32_u24_e32 v21, 33, v20
	v_mov_b32_e32 v20, 0
	s_delay_alu instid0(VALU_DEP_2) | instskip(NEXT) | instid1(VALU_DEP_2)
	v_add_lshl_u32 v25, v21, v4, 4
	v_mov_b32_e32 v21, v20
	v_mov_b32_e32 v22, v20
	;; [unrolled: 1-line block ×3, first 2 shown]
	ds_store_b128 v25, v[20:23]
.LBB189_55:
	s_and_not1_saveexec_b32 s19, s6
	s_cbranch_execz .LBB189_57
; %bb.56:
	s_lshl_b32 s30, s18, 4
	v_add_nc_u32_e32 v25, 0x2100, v19
	s_ashr_i32 s31, s30, 31
	s_delay_alu instid0(SALU_CYCLE_1) | instskip(NEXT) | instid1(SALU_CYCLE_1)
	s_lshl_b64 s[30:31], s[30:31], 4
	v_add_co_u32 v20, s6, v5, s30
	s_delay_alu instid0(VALU_DEP_1)
	v_add_co_ci_u32_e64 v21, s6, s31, v6, s6
	flat_load_b128 v[20:23], v[20:21]
	s_waitcnt vmcnt(0) lgkmcnt(0)
	ds_store_2addr_b64 v25, v[20:21], v[22:23] offset1:1
.LBB189_57:
	s_or_b32 exec_lo, exec_lo, s19
	v_add_nc_u32_e32 v20, 24, v9
	s_delay_alu instid0(VALU_DEP_1) | instskip(NEXT) | instid1(VALU_DEP_1)
	v_cmp_le_i32_e64 s6, s9, v20
	s_and_saveexec_b32 s9, s6
	s_delay_alu instid0(SALU_CYCLE_1)
	s_xor_b32 s6, exec_lo, s9
	s_cbranch_execz .LBB189_59
; %bb.58:
	v_mov_b32_e32 v20, 0
	s_delay_alu instid0(VALU_DEP_1)
	v_mov_b32_e32 v21, v20
	v_mov_b32_e32 v22, v20
	;; [unrolled: 1-line block ×3, first 2 shown]
	ds_store_b128 v19, v[20:23] offset:12672
                                        ; implicit-def: $vgpr19
.LBB189_59:
	s_and_not1_saveexec_b32 s9, s6
	s_cbranch_execz .LBB189_61
; %bb.60:
	s_mul_i32 s30, s18, 24
	v_add_nc_u32_e32 v19, 0x3180, v19
	s_ashr_i32 s31, s30, 31
	s_delay_alu instid0(SALU_CYCLE_1) | instskip(NEXT) | instid1(SALU_CYCLE_1)
	s_lshl_b64 s[30:31], s[30:31], 4
	v_add_co_u32 v20, s6, v5, s30
	s_delay_alu instid0(VALU_DEP_1)
	v_add_co_ci_u32_e64 v21, s6, s31, v6, s6
	flat_load_b128 v[20:23], v[20:21]
	s_waitcnt vmcnt(0) lgkmcnt(0)
	ds_store_2addr_b64 v19, v[20:21], v[22:23] offset1:1
.LBB189_61:
	s_or_b32 exec_lo, exec_lo, s9
	v_add_co_u32 v5, s6, v5, v11
	s_delay_alu instid0(VALU_DEP_1) | instskip(NEXT) | instid1(VALU_DEP_2)
	v_add_co_ci_u32_e64 v6, s6, 0, v6, s6
	v_sub_co_u32 v5, s6, v5, s24
	s_delay_alu instid0(VALU_DEP_1) | instskip(NEXT) | instid1(VALU_DEP_2)
	v_subrev_co_ci_u32_e64 v6, s6, s25, v6, s6
	v_add_co_u32 v5, s6, 0x210, v5
	s_delay_alu instid0(VALU_DEP_1) | instskip(NEXT) | instid1(VALU_DEP_1)
	v_add_co_ci_u32_e64 v6, s6, 0, v6, s6
	v_dual_cndmask_b32 v5, v5, v7 :: v_dual_cndmask_b32 v6, v6, v8
	s_branch .LBB189_64
.LBB189_62:
                                        ; implicit-def: $vgpr5_vgpr6
	s_cbranch_execz .LBB189_64
; %bb.63:
	flat_load_b128 v[19:22], v[7:8]
	s_lshl_b32 s24, s18, 3
	v_add_lshl_u32 v23, v10, v4, 4
	s_ashr_i32 s25, s24, 31
	s_ashr_i32 s19, s18, 31
	s_lshl_b64 s[24:25], s[24:25], 4
	s_delay_alu instid0(SALU_CYCLE_1)
	v_add_co_u32 v5, vcc_lo, v17, s24
	v_add_co_ci_u32_e32 v6, vcc_lo, s25, v18, vcc_lo
	s_lshl_b64 s[24:25], s[18:19], 7
	s_waitcnt vmcnt(0) lgkmcnt(0)
	ds_store_2addr_b64 v23, v[19:20], v[21:22] offset1:1
	flat_load_b128 v[17:20], v[5:6] offset:512
	v_add_co_u32 v5, vcc_lo, v5, s24
	v_add_nc_u32_e32 v21, 0x1080, v23
	v_add_co_ci_u32_e32 v6, vcc_lo, s25, v6, vcc_lo
	s_waitcnt vmcnt(0) lgkmcnt(0)
	ds_store_2addr_b64 v21, v[17:18], v[19:20] offset1:1
	flat_load_b128 v[17:20], v[5:6] offset:512
	v_add_co_u32 v5, vcc_lo, v5, s24
	v_add_nc_u32_e32 v21, 0x2100, v23
	v_add_co_ci_u32_e32 v6, vcc_lo, s25, v6, vcc_lo
	s_waitcnt vmcnt(0) lgkmcnt(0)
	ds_store_2addr_b64 v21, v[17:18], v[19:20] offset1:1
	flat_load_b128 v[17:20], v[5:6] offset:512
	v_dual_mov_b32 v5, v7 :: v_dual_mov_b32 v6, v8
	v_add_nc_u32_e32 v21, 0x3180, v23
	s_waitcnt vmcnt(0) lgkmcnt(0)
	ds_store_2addr_b64 v21, v[17:18], v[19:20] offset1:1
.LBB189_64:
	s_waitcnt lgkmcnt(0)
	s_barrier
	buffer_gl0_inv
	s_and_saveexec_b32 s6, s1
	s_cbranch_execnz .LBB189_89
; %bb.65:
	s_or_b32 exec_lo, exec_lo, s6
	s_and_saveexec_b32 s1, s3
	s_cbranch_execnz .LBB189_90
.LBB189_66:
	s_or_b32 exec_lo, exec_lo, s1
	s_and_saveexec_b32 s1, s4
	s_cbranch_execnz .LBB189_91
.LBB189_67:
	s_or_b32 exec_lo, exec_lo, s1
	v_add_nc_u32_e32 v15, 0x4700, v15
	s_and_saveexec_b32 s1, s5
	s_cbranch_execz .LBB189_69
.LBB189_68:
	ds_load_b128 v[17:20], v14
	s_waitcnt lgkmcnt(0)
	ds_store_b128 v16, v[17:20] offset:48
.LBB189_69:
	s_or_b32 exec_lo, exec_lo, s1
	s_waitcnt lgkmcnt(0)
	s_barrier
	buffer_gl0_inv
	ds_load_b128 v[16:19], v15 offset:512
	ds_load_b128 v[20:23], v13
	ds_load_b128 v[25:28], v24
	ds_load_b128 v[29:32], v15 offset:528
	ds_load_b128 v[45:48], v15 offset:544
	v_cmp_eq_u32_e64 s1, 1, v9
	s_waitcnt lgkmcnt(1)
	v_mul_f64 v[33:34], v[31:32], v[27:28]
	v_mul_f64 v[7:8], v[18:19], v[22:23]
	;; [unrolled: 1-line block ×4, first 2 shown]
	s_delay_alu instid0(VALU_DEP_4) | instskip(NEXT) | instid1(VALU_DEP_4)
	v_fma_f64 v[29:30], v[29:30], v[25:26], -v[33:34]
	v_fma_f64 v[7:8], v[16:17], v[20:21], -v[7:8]
	s_delay_alu instid0(VALU_DEP_4)
	v_fma_f64 v[40:41], v[18:19], v[20:21], v[22:23]
	ds_load_b128 v[16:19], v24 offset:528
	ds_load_b128 v[20:23], v14
	v_fma_f64 v[31:32], v[31:32], v[25:26], v[27:28]
	ds_load_b128 v[25:28], v15 offset:560
	s_waitcnt lgkmcnt(0)
	s_barrier
	buffer_gl0_inv
	v_mul_f64 v[49:50], v[47:48], v[18:19]
	v_mul_f64 v[18:19], v[45:46], v[18:19]
	v_add_f64 v[7:8], v[7:8], 0
	v_add_f64 v[33:34], v[40:41], 0
	v_mul_f64 v[40:41], v[27:28], v[22:23]
	v_mul_f64 v[22:23], v[25:26], v[22:23]
	v_fma_f64 v[45:46], v[45:46], v[16:17], -v[49:50]
	v_fma_f64 v[16:17], v[47:48], v[16:17], v[18:19]
	v_add_f64 v[7:8], v[7:8], v[29:30]
	v_add_f64 v[18:19], v[33:34], v[31:32]
	v_fma_f64 v[25:26], v[25:26], v[20:21], -v[40:41]
	v_fma_f64 v[20:21], v[27:28], v[20:21], v[22:23]
	s_delay_alu instid0(VALU_DEP_4) | instskip(NEXT) | instid1(VALU_DEP_4)
	v_add_f64 v[7:8], v[7:8], v[45:46]
	v_add_f64 v[18:19], v[18:19], v[16:17]
	s_delay_alu instid0(VALU_DEP_2) | instskip(NEXT) | instid1(VALU_DEP_2)
	v_add_f64 v[16:17], v[7:8], v[25:26]
	v_add_f64 v[18:19], v[18:19], v[20:21]
	ds_store_b128 v44, v[16:19]
	s_waitcnt lgkmcnt(0)
	s_barrier
	buffer_gl0_inv
	s_and_saveexec_b32 s3, s1
	s_cbranch_execz .LBB189_71
; %bb.70:
	ds_load_b128 v[0:3], v43
	ds_load_b128 v[16:19], v43 offset:16
	s_waitcnt lgkmcnt(0)
	v_add_f64 v[7:8], v[16:17], v[0:1]
	v_add_f64 v[20:21], v[18:19], v[2:3]
	ds_load_b128 v[0:3], v43 offset:32
	ds_load_b128 v[16:19], v43 offset:48
	s_waitcnt lgkmcnt(1)
	v_add_f64 v[0:1], v[7:8], v[0:1]
	v_add_f64 v[2:3], v[20:21], v[2:3]
	s_waitcnt lgkmcnt(0)
	s_delay_alu instid0(VALU_DEP_2) | instskip(NEXT) | instid1(VALU_DEP_2)
	v_add_f64 v[7:8], v[0:1], v[16:17]
	v_add_f64 v[20:21], v[2:3], v[18:19]
	ds_load_b128 v[0:3], v43 offset:64
	ds_load_b128 v[16:19], v43 offset:80
	s_waitcnt lgkmcnt(1)
	v_add_f64 v[0:1], v[7:8], v[0:1]
	v_add_f64 v[2:3], v[20:21], v[2:3]
	s_waitcnt lgkmcnt(0)
	s_delay_alu instid0(VALU_DEP_2) | instskip(NEXT) | instid1(VALU_DEP_2)
	;; [unrolled: 9-line block ×3, first 2 shown]
	v_add_f64 v[0:1], v[0:1], v[16:17]
	v_add_f64 v[2:3], v[2:3], v[18:19]
.LBB189_71:
	s_or_b32 exec_lo, exec_lo, s3
	v_add_co_u32 v5, vcc_lo, 0xfffffe00, v5
	v_add_co_ci_u32_e32 v6, vcc_lo, -1, v6, vcc_lo
	s_and_b32 vcc_lo, exec_lo, s11
	s_barrier
	buffer_gl0_inv
	s_cbranch_vccz .LBB189_92
; %bb.72:
	v_sub_co_u32 v7, vcc_lo, v5, v11
	s_ashr_i32 s9, s8, 31
	v_subrev_co_ci_u32_e32 v8, vcc_lo, 0, v6, vcc_lo
	s_lshl_b64 s[4:5], s[8:9], 4
	s_sub_i32 s6, s8, 32
	v_add_co_u32 v7, vcc_lo, v7, s4
	s_delay_alu instid0(VALU_DEP_2) | instskip(SKIP_1) | instid1(VALU_DEP_3)
	v_add_co_ci_u32_e32 v8, vcc_lo, s5, v8, vcc_lo
	v_cmp_le_i32_e64 s3, s6, v9
	v_add_co_u32 v7, vcc_lo, v7, -16
	s_delay_alu instid0(VALU_DEP_3) | instskip(SKIP_2) | instid1(VALU_DEP_3)
	v_add_co_ci_u32_e32 v8, vcc_lo, -1, v8, vcc_lo
	v_cmp_gt_i32_e32 vcc_lo, s8, v4
	v_add_lshl_u32 v19, v10, v4, 4
	v_dual_cndmask_b32 v8, v8, v6 :: v_dual_cndmask_b32 v7, v7, v5
	s_and_saveexec_b32 s9, s3
	s_delay_alu instid0(SALU_CYCLE_1)
	s_xor_b32 s3, exec_lo, s9
	s_cbranch_execz .LBB189_74
; %bb.73:
	v_mov_b32_e32 v20, 0
	s_delay_alu instid0(VALU_DEP_1)
	v_mov_b32_e32 v21, v20
	v_mov_b32_e32 v22, v20
	;; [unrolled: 1-line block ×3, first 2 shown]
	ds_store_b128 v19, v[20:23]
.LBB189_74:
	s_and_not1_saveexec_b32 s3, s3
	s_cbranch_execz .LBB189_76
; %bb.75:
	flat_load_b128 v[20:23], v[7:8]
	s_waitcnt vmcnt(0) lgkmcnt(0)
	ds_store_2addr_b64 v19, v[20:21], v[22:23] offset1:1
.LBB189_76:
	s_or_b32 exec_lo, exec_lo, s3
	v_add_nc_u32_e32 v16, 8, v9
	s_delay_alu instid0(VALU_DEP_1) | instskip(NEXT) | instid1(VALU_DEP_1)
	v_cmp_le_i32_e64 s3, s6, v16
	s_and_saveexec_b32 s9, s3
	s_delay_alu instid0(SALU_CYCLE_1)
	s_xor_b32 s3, exec_lo, s9
	s_cbranch_execz .LBB189_78
; %bb.77:
	v_mul_u32_u24_e32 v17, 33, v16
	v_mov_b32_e32 v20, 0
	s_delay_alu instid0(VALU_DEP_2) | instskip(NEXT) | instid1(VALU_DEP_2)
	v_add_lshl_u32 v17, v17, v4, 4
	v_mov_b32_e32 v21, v20
	v_mov_b32_e32 v22, v20
	;; [unrolled: 1-line block ×3, first 2 shown]
	ds_store_b128 v17, v[20:23]
.LBB189_78:
	s_and_not1_saveexec_b32 s9, s3
	s_cbranch_execz .LBB189_80
; %bb.79:
	s_lshl_b32 s24, s18, 3
	s_delay_alu instid0(SALU_CYCLE_1) | instskip(NEXT) | instid1(SALU_CYCLE_1)
	s_ashr_i32 s25, s24, 31
	s_lshl_b64 s[24:25], s[24:25], 4
	s_delay_alu instid0(SALU_CYCLE_1) | instskip(NEXT) | instid1(VALU_DEP_1)
	v_add_co_u32 v17, s3, v7, s24
	v_add_co_ci_u32_e64 v18, s3, s25, v8, s3
	flat_load_b128 v[20:23], v[17:18]
	v_add_nc_u32_e32 v17, 0x1080, v19
	s_waitcnt vmcnt(0) lgkmcnt(0)
	ds_store_2addr_b64 v17, v[20:21], v[22:23] offset1:1
.LBB189_80:
	s_or_b32 exec_lo, exec_lo, s9
	v_add_nc_u32_e32 v17, 16, v9
	s_delay_alu instid0(VALU_DEP_1) | instskip(NEXT) | instid1(VALU_DEP_1)
	v_cmp_le_i32_e64 s3, s6, v17
	s_and_saveexec_b32 s9, s3
	s_delay_alu instid0(SALU_CYCLE_1)
	s_xor_b32 s3, exec_lo, s9
	s_cbranch_execz .LBB189_82
; %bb.81:
	v_mul_u32_u24_e32 v18, 33, v17
	v_mov_b32_e32 v20, 0
	s_delay_alu instid0(VALU_DEP_2) | instskip(NEXT) | instid1(VALU_DEP_2)
	v_add_lshl_u32 v18, v18, v4, 4
	v_mov_b32_e32 v21, v20
	v_mov_b32_e32 v22, v20
	;; [unrolled: 1-line block ×3, first 2 shown]
	ds_store_b128 v18, v[20:23]
.LBB189_82:
	s_and_not1_saveexec_b32 s9, s3
	s_cbranch_execz .LBB189_84
; %bb.83:
	s_lshl_b32 s24, s18, 4
	v_add_nc_u32_e32 v18, 0x2100, v19
	s_ashr_i32 s25, s24, 31
	s_delay_alu instid0(SALU_CYCLE_1) | instskip(NEXT) | instid1(SALU_CYCLE_1)
	s_lshl_b64 s[24:25], s[24:25], 4
	v_add_co_u32 v20, s3, v7, s24
	s_delay_alu instid0(VALU_DEP_1)
	v_add_co_ci_u32_e64 v21, s3, s25, v8, s3
	flat_load_b128 v[20:23], v[20:21]
	s_waitcnt vmcnt(0) lgkmcnt(0)
	ds_store_2addr_b64 v18, v[20:21], v[22:23] offset1:1
.LBB189_84:
	s_or_b32 exec_lo, exec_lo, s9
	v_add_nc_u32_e32 v18, 24, v9
	s_delay_alu instid0(VALU_DEP_1) | instskip(NEXT) | instid1(VALU_DEP_1)
	v_cmp_le_i32_e64 s3, s6, v18
	s_and_saveexec_b32 s6, s3
	s_delay_alu instid0(SALU_CYCLE_1)
	s_xor_b32 s3, exec_lo, s6
	s_cbranch_execz .LBB189_86
; %bb.85:
	v_mov_b32_e32 v20, 0
	s_delay_alu instid0(VALU_DEP_1)
	v_mov_b32_e32 v21, v20
	v_mov_b32_e32 v22, v20
	;; [unrolled: 1-line block ×3, first 2 shown]
	ds_store_b128 v19, v[20:23] offset:12672
                                        ; implicit-def: $vgpr19
.LBB189_86:
	s_and_not1_saveexec_b32 s6, s3
	s_cbranch_execz .LBB189_88
; %bb.87:
	s_mul_i32 s24, s18, 24
	v_add_nc_u32_e32 v19, 0x3180, v19
	s_ashr_i32 s25, s24, 31
	s_delay_alu instid0(SALU_CYCLE_1) | instskip(NEXT) | instid1(SALU_CYCLE_1)
	s_lshl_b64 s[24:25], s[24:25], 4
	v_add_co_u32 v20, s3, v7, s24
	s_delay_alu instid0(VALU_DEP_1)
	v_add_co_ci_u32_e64 v21, s3, s25, v8, s3
	flat_load_b128 v[20:23], v[20:21]
	s_waitcnt vmcnt(0) lgkmcnt(0)
	ds_store_2addr_b64 v19, v[20:21], v[22:23] offset1:1
.LBB189_88:
	s_or_b32 exec_lo, exec_lo, s6
	v_add_co_u32 v7, s3, v7, v11
	s_delay_alu instid0(VALU_DEP_1) | instskip(NEXT) | instid1(VALU_DEP_2)
	v_add_co_ci_u32_e64 v8, s3, 0, v8, s3
	v_sub_co_u32 v7, s3, v7, s4
	s_delay_alu instid0(VALU_DEP_1) | instskip(NEXT) | instid1(VALU_DEP_2)
	v_subrev_co_ci_u32_e64 v8, s3, s5, v8, s3
	v_add_co_u32 v7, s3, v7, 16
	s_delay_alu instid0(VALU_DEP_1) | instskip(NEXT) | instid1(VALU_DEP_1)
	v_add_co_ci_u32_e64 v8, s3, 0, v8, s3
	v_dual_cndmask_b32 v40, v7, v5 :: v_dual_cndmask_b32 v41, v8, v6
	s_branch .LBB189_94
.LBB189_89:
	ds_load_b128 v[17:20], v13
	s_waitcnt lgkmcnt(0)
	ds_store_b128 v16, v[17:20]
	s_or_b32 exec_lo, exec_lo, s6
	s_and_saveexec_b32 s1, s3
	s_cbranch_execz .LBB189_66
.LBB189_90:
	ds_load_b128 v[17:20], v24
	s_waitcnt lgkmcnt(0)
	ds_store_b128 v16, v[17:20] offset:16
	s_or_b32 exec_lo, exec_lo, s1
	s_and_saveexec_b32 s1, s4
	s_cbranch_execz .LBB189_67
.LBB189_91:
	v_add_nc_u32_e32 v7, 0x210, v24
	ds_load_b128 v[17:20], v7
	s_waitcnt lgkmcnt(0)
	ds_store_b128 v16, v[17:20] offset:32
	s_or_b32 exec_lo, exec_lo, s1
	v_add_nc_u32_e32 v15, 0x4700, v15
	s_and_saveexec_b32 s1, s5
	s_cbranch_execnz .LBB189_68
	s_branch .LBB189_69
.LBB189_92:
                                        ; implicit-def: $vgpr40_vgpr41
                                        ; implicit-def: $vgpr16
                                        ; implicit-def: $vgpr17
                                        ; implicit-def: $vgpr18
	s_cbranch_execz .LBB189_94
; %bb.93:
	flat_load_b128 v[16:19], v[5:6]
	s_lshl_b32 s4, s18, 3
	v_add_lshl_u32 v4, v10, v4, 4
	s_ashr_i32 s5, s4, 31
	s_ashr_i32 s19, s18, 31
	s_lshl_b64 s[4:5], s[4:5], 4
	v_mov_b32_e32 v41, v6
	v_add_co_u32 v7, vcc_lo, v5, s4
	v_add_co_ci_u32_e32 v8, vcc_lo, s5, v6, vcc_lo
	s_lshl_b64 s[4:5], s[18:19], 7
	v_add_nc_u32_e32 v10, 0x1080, v4
	v_mov_b32_e32 v40, v5
	s_waitcnt vmcnt(0) lgkmcnt(0)
	ds_store_2addr_b64 v4, v[16:17], v[18:19] offset1:1
	flat_load_b128 v[16:19], v[7:8]
	v_add_co_u32 v7, vcc_lo, v7, s4
	v_add_co_ci_u32_e32 v8, vcc_lo, s5, v8, vcc_lo
	s_waitcnt vmcnt(0) lgkmcnt(0)
	ds_store_2addr_b64 v10, v[16:17], v[18:19] offset1:1
	flat_load_b128 v[16:19], v[7:8]
	v_add_co_u32 v7, vcc_lo, v7, s4
	v_add_nc_u32_e32 v10, 0x2100, v4
	v_add_co_ci_u32_e32 v8, vcc_lo, s5, v8, vcc_lo
	v_add_nc_u32_e32 v4, 0x3180, v4
	s_waitcnt vmcnt(0) lgkmcnt(0)
	ds_store_2addr_b64 v10, v[16:17], v[18:19] offset1:1
	flat_load_b128 v[19:22], v[7:8]
	v_add_nc_u32_e32 v16, 8, v9
	v_add_nc_u32_e32 v17, 16, v9
	v_add_nc_u32_e32 v18, 24, v9
	s_waitcnt vmcnt(0) lgkmcnt(0)
	ds_store_2addr_b64 v4, v[19:20], v[21:22] offset1:1
.LBB189_94:
	v_lshlrev_b32_e32 v4, 4, v9
	s_waitcnt lgkmcnt(0)
	s_barrier
	buffer_gl0_inv
	v_add_lshl_u32 v23, v16, v12, 4
	ds_load_b128 v[8:11], v4 offset:18176
	ds_load_b128 v[19:22], v44
	v_lshlrev_b32_e32 v16, 4, v16
	ds_load_b128 v[4:7], v24 offset:528
	ds_load_b128 v[25:28], v23
	ds_load_b128 v[29:32], v16 offset:18176
	s_waitcnt lgkmcnt(3)
	v_mul_f64 v[33:34], v[21:22], v[10:11]
	v_mul_f64 v[10:11], v[19:20], v[10:11]
	s_delay_alu instid0(VALU_DEP_2) | instskip(NEXT) | instid1(VALU_DEP_2)
	v_fma_f64 v[53:54], v[19:20], v[8:9], -v[33:34]
	v_fma_f64 v[8:9], v[21:22], v[8:9], v[10:11]
	v_lshlrev_b32_e32 v10, 4, v17
	ds_load_b128 v[19:22], v10 offset:18176
	s_waitcnt lgkmcnt(1)
	v_mul_f64 v[49:50], v[27:28], v[31:32]
	v_mul_f64 v[51:52], v[25:26], v[31:32]
	v_add_lshl_u32 v16, v17, v12, 4
	v_add_lshl_u32 v10, v18, v12, 4
	ds_load_b128 v[45:48], v16
	ds_load_b128 v[31:34], v10
	s_waitcnt lgkmcnt(1)
	v_mul_f64 v[16:17], v[47:48], v[21:22]
	v_mul_f64 v[21:22], v[45:46], v[21:22]
	v_fma_f64 v[49:50], v[25:26], v[29:30], -v[49:50]
	v_fma_f64 v[29:30], v[27:28], v[29:30], v[51:52]
	v_add_f64 v[51:52], v[53:54], 0
	v_add_f64 v[53:54], v[8:9], 0
	v_lshlrev_b32_e32 v8, 4, v18
	ds_load_b128 v[25:28], v8 offset:18176
	ds_load_b128 v[8:11], v14
	v_fma_f64 v[16:17], v[45:46], v[19:20], -v[16:17]
	s_waitcnt lgkmcnt(1)
	v_mul_f64 v[55:56], v[33:34], v[27:28]
	v_mul_f64 v[27:28], v[31:32], v[27:28]
	v_fma_f64 v[18:19], v[47:48], v[19:20], v[21:22]
	v_add_f64 v[20:21], v[51:52], v[49:50]
	v_add_f64 v[22:23], v[53:54], v[29:30]
	v_fma_f64 v[29:30], v[31:32], v[25:26], -v[55:56]
	v_fma_f64 v[25:26], v[33:34], v[25:26], v[27:28]
	s_delay_alu instid0(VALU_DEP_4) | instskip(NEXT) | instid1(VALU_DEP_4)
	v_add_f64 v[16:17], v[20:21], v[16:17]
	v_add_f64 v[18:19], v[22:23], v[18:19]
	s_delay_alu instid0(VALU_DEP_2) | instskip(NEXT) | instid1(VALU_DEP_2)
	v_add_f64 v[45:46], v[16:17], v[29:30]
	v_add_f64 v[47:48], v[18:19], v[25:26]
	ds_load_b128 v[20:23], v15 offset:528
	ds_load_b128 v[16:19], v15 offset:544
	ds_load_b128 v[28:31], v15 offset:512
	ds_load_b128 v[32:35], v13
	ds_load_b128 v[12:15], v15 offset:560
	ds_load_b128 v[24:27], v24
	s_waitcnt lgkmcnt(0)
	s_barrier
	buffer_gl0_inv
	ds_store_b128 v44, v[45:48]
	s_waitcnt lgkmcnt(0)
	s_barrier
	buffer_gl0_inv
	s_and_saveexec_b32 s3, s1
	s_cbranch_execz .LBB189_96
; %bb.95:
	ds_load_b128 v[45:48], v43
	ds_load_b128 v[49:52], v43 offset:16
	s_waitcnt lgkmcnt(1)
	v_add_f64 v[0:1], v[0:1], v[45:46]
	v_add_f64 v[2:3], v[2:3], v[47:48]
	s_waitcnt lgkmcnt(0)
	s_delay_alu instid0(VALU_DEP_2) | instskip(NEXT) | instid1(VALU_DEP_2)
	v_add_f64 v[49:50], v[0:1], v[49:50]
	v_add_f64 v[51:52], v[2:3], v[51:52]
	ds_load_b128 v[0:3], v43 offset:32
	ds_load_b128 v[45:48], v43 offset:48
	s_waitcnt lgkmcnt(1)
	v_add_f64 v[0:1], v[49:50], v[0:1]
	v_add_f64 v[2:3], v[51:52], v[2:3]
	s_waitcnt lgkmcnt(0)
	s_delay_alu instid0(VALU_DEP_2) | instskip(NEXT) | instid1(VALU_DEP_2)
	v_add_f64 v[49:50], v[0:1], v[45:46]
	v_add_f64 v[51:52], v[2:3], v[47:48]
	ds_load_b128 v[0:3], v43 offset:64
	;; [unrolled: 9-line block ×3, first 2 shown]
	ds_load_b128 v[45:48], v43 offset:112
	s_waitcnt lgkmcnt(1)
	v_add_f64 v[0:1], v[49:50], v[0:1]
	v_add_f64 v[2:3], v[51:52], v[2:3]
	s_waitcnt lgkmcnt(0)
	s_delay_alu instid0(VALU_DEP_2) | instskip(NEXT) | instid1(VALU_DEP_2)
	v_add_f64 v[0:1], v[0:1], v[45:46]
	v_add_f64 v[2:3], v[2:3], v[47:48]
.LBB189_96:
	s_or_b32 exec_lo, exec_lo, s3
	v_mul_f64 v[45:46], v[30:31], v[34:35]
	v_mul_f64 v[34:35], v[28:29], v[34:35]
	v_mul_f64 v[47:48], v[22:23], v[26:27]
	v_mul_f64 v[26:27], v[20:21], v[26:27]
	s_barrier
	buffer_gl0_inv
	v_fma_f64 v[28:29], v[28:29], v[32:33], -v[45:46]
	v_fma_f64 v[30:31], v[30:31], v[32:33], v[34:35]
	v_mul_f64 v[32:33], v[18:19], v[6:7]
	v_mul_f64 v[6:7], v[16:17], v[6:7]
	v_fma_f64 v[20:21], v[20:21], v[24:25], -v[47:48]
	v_fma_f64 v[22:23], v[22:23], v[24:25], v[26:27]
	v_add_f64 v[24:25], v[28:29], 0
	v_add_f64 v[26:27], v[30:31], 0
	v_mul_f64 v[28:29], v[14:15], v[10:11]
	v_mul_f64 v[10:11], v[12:13], v[10:11]
	v_fma_f64 v[16:17], v[16:17], v[4:5], -v[32:33]
	v_fma_f64 v[4:5], v[18:19], v[4:5], v[6:7]
	v_add_f64 v[6:7], v[24:25], v[20:21]
	v_add_f64 v[18:19], v[26:27], v[22:23]
	v_fma_f64 v[12:13], v[12:13], v[8:9], -v[28:29]
	v_fma_f64 v[8:9], v[14:15], v[8:9], v[10:11]
	s_delay_alu instid0(VALU_DEP_4) | instskip(NEXT) | instid1(VALU_DEP_4)
	v_add_f64 v[6:7], v[6:7], v[16:17]
	v_add_f64 v[10:11], v[18:19], v[4:5]
	s_delay_alu instid0(VALU_DEP_2) | instskip(NEXT) | instid1(VALU_DEP_2)
	v_add_f64 v[4:5], v[6:7], v[12:13]
	v_add_f64 v[6:7], v[10:11], v[8:9]
	ds_store_b128 v44, v[4:7]
	s_waitcnt lgkmcnt(0)
	s_barrier
	buffer_gl0_inv
	s_and_saveexec_b32 s1, s0
	s_cbranch_execz .LBB189_98
; %bb.97:
	ds_load_b128 v[4:7], v43
	ds_load_b128 v[8:11], v43 offset:16
	s_waitcnt lgkmcnt(1)
	v_add_f64 v[0:1], v[0:1], v[4:5]
	v_add_f64 v[2:3], v[2:3], v[6:7]
	s_waitcnt lgkmcnt(0)
	s_delay_alu instid0(VALU_DEP_2) | instskip(NEXT) | instid1(VALU_DEP_2)
	v_add_f64 v[8:9], v[0:1], v[8:9]
	v_add_f64 v[10:11], v[2:3], v[10:11]
	ds_load_b128 v[0:3], v43 offset:32
	ds_load_b128 v[4:7], v43 offset:48
	s_waitcnt lgkmcnt(1)
	v_add_f64 v[0:1], v[8:9], v[0:1]
	v_add_f64 v[2:3], v[10:11], v[2:3]
	s_waitcnt lgkmcnt(0)
	s_delay_alu instid0(VALU_DEP_2) | instskip(NEXT) | instid1(VALU_DEP_2)
	v_add_f64 v[8:9], v[0:1], v[4:5]
	v_add_f64 v[10:11], v[2:3], v[6:7]
	ds_load_b128 v[0:3], v43 offset:64
	;; [unrolled: 9-line block ×3, first 2 shown]
	ds_load_b128 v[4:7], v43 offset:112
	s_waitcnt lgkmcnt(1)
	v_add_f64 v[0:1], v[8:9], v[0:1]
	v_add_f64 v[2:3], v[10:11], v[2:3]
	s_waitcnt lgkmcnt(0)
	s_delay_alu instid0(VALU_DEP_2) | instskip(NEXT) | instid1(VALU_DEP_2)
	v_add_f64 v[0:1], v[0:1], v[4:5]
	v_add_f64 v[2:3], v[2:3], v[6:7]
.LBB189_98:
	s_or_b32 exec_lo, exec_lo, s1
	s_mul_hi_u32 s0, s13, s12
	s_mul_i32 s28, s28, s12
	s_mul_i32 s1, s13, s12
	s_add_i32 s0, s0, s28
	s_mul_hi_u32 s4, s1, s15
	s_mul_i32 s3, s0, s15
	s_mul_i32 s0, s1, s15
	s_add_i32 s1, s4, s3
	s_mul_hi_i32 s5, s13, s14
	s_lshl_b64 s[0:1], s[0:1], 4
	s_mul_i32 s4, s13, s14
	s_add_u32 s3, s16, s0
	s_addc_u32 s6, s17, s1
	s_lshl_b64 s[0:1], s[4:5], 4
	v_lshlrev_b32_e32 v172, 4, v170
	s_add_u32 s3, s3, s0
	s_addc_u32 s9, s6, s1
	s_add_i32 s1, s14, 1
	s_delay_alu instid0(SALU_CYCLE_1)
	s_cmp_ge_u32 s1, s15
	s_barrier
	buffer_gl0_inv
	s_cbranch_scc1 .LBB189_156
; %bb.99:
	scratch_load_b32 v12, off, off offset:8 ; 4-byte Folded Reload
	v_and_b32_e32 v8, 48, v170
	v_add_nc_u32_e32 v9, 0x4300, v172
	v_and_b32_e32 v6, 15, v170
	v_lshrrev_b32_e32 v7, 4, v42
	v_or_b32_e32 v10, 0xf0, v172
	s_mul_i32 s4, s10, s7
	scratch_store_b32 off, v9, off          ; 4-byte Folded Spill
	v_lshlrev_b32_e32 v9, 4, v8
	s_ashr_i32 s5, s4, 31
	v_lshlrev_b32_e32 v11, 6, v7
	s_lshl_b64 s[4:5], s[4:5], 4
	s_ashr_i32 s19, s18, 31
	v_mad_u32_u24 v180, 0x430, v6, v9
	v_mad_u32_u24 v9, 0x430, v6, v10
	v_mul_i32_i24_e32 v10, 0xffffffd0, v7
	v_add_nc_u32_e32 v7, s10, v8
	v_sub_co_u32 v176, vcc_lo, v36, s4
	v_subrev_co_ci_u32_e32 v177, vcc_lo, s5, v37, vcc_lo
	v_mad_u32_u24 v182, 0x430, v6, v11
	s_lshl_b32 s25, s7, 6
	s_lshl_b32 s12, s18, 4
	;; [unrolled: 1-line block ×3, first 2 shown]
	s_mul_i32 s16, s18, 3
	s_mul_i32 s7, s7, s1
	s_lshl_b64 s[30:31], s[18:19], 5
	s_add_i32 s24, s15, -2
	s_ashr_i32 s13, s12, 31
	s_ashr_i32 s29, s28, 31
	s_ashr_i32 s17, s16, 31
	s_lshl_b64 s[10:11], s[18:19], 4
	s_lshl_b32 s4, s7, 6
	s_add_u32 s1, s30, s20
	scratch_store_b32 off, v9, off offset:4 ; 4-byte Folded Spill
	s_addc_u32 s5, s31, s21
	s_lshl_b64 s[16:17], s[16:17], 4
	s_lshl_b64 s[6:7], s[12:13], 6
	s_add_u32 s35, s10, s20
	s_addc_u32 s36, s11, s21
	s_mul_i32 s33, s18, 0x300
	s_mul_hi_i32 s34, s12, 48
	v_add_nc_u32_e32 v179, 0x4700, v172
	v_cmp_gt_u32_e64 s0, 64, v42
	v_add_nc_u32_e32 v242, v182, v10
	s_waitcnt vmcnt(0)
	v_lshlrev_b32_e32 v175, 2, v12
	v_lshl_add_u32 v186, v12, 6, 0x4300
	v_mad_u32_u24 v187, 0x10c0, v12, v172
	s_delay_alu instid0(VALU_DEP_3) | instskip(SKIP_2) | instid1(VALU_DEP_2)
	v_mad_u64_u32 v[4:5], null, v175, s18, v[170:171]
	v_add3_u32 v171, v7, v6, 64
	s_lshl_b64 s[18:19], s[28:29], 4
	v_ashrrev_i32_e32 v5, 31, v4
	s_delay_alu instid0(VALU_DEP_1) | instskip(SKIP_4) | instid1(VALU_DEP_3)
	v_lshlrev_b64 v[6:7], 4, v[4:5]
	v_add_co_u32 v4, vcc_lo, s22, v4
	v_add_co_ci_u32_e32 v5, vcc_lo, s23, v5, vcc_lo
	v_sub_co_u32 v200, vcc_lo, 0, v38
	v_sub_co_ci_u32_e32 v201, vcc_lo, 0, v39, vcc_lo
	v_lshlrev_b64 v[4:5], 4, v[4:5]
	v_add_co_u32 v11, vcc_lo, s1, v6
	v_add_co_ci_u32_e32 v12, vcc_lo, s5, v7, vcc_lo
	s_add_u32 s22, s20, s18
	s_delay_alu instid0(VALU_DEP_3) | instskip(NEXT) | instid1(VALU_DEP_3)
	v_mad_i64_i32 v[8:9], null, s12, 48, v[4:5]
	v_add_co_u32 v202, vcc_lo, v40, v11
	s_delay_alu instid0(VALU_DEP_3) | instskip(SKIP_2) | instid1(VALU_DEP_3)
	v_add_co_ci_u32_e32 v203, vcc_lo, v41, v12, vcc_lo
	s_addc_u32 s23, s21, s19
	s_add_u32 s28, s20, s16
	v_add_co_u32 v11, vcc_lo, v8, s16
	s_delay_alu instid0(VALU_DEP_4) | instskip(SKIP_2) | instid1(VALU_DEP_4)
	v_add_co_ci_u32_e32 v12, vcc_lo, s17, v9, vcc_lo
	v_add_co_u32 v13, vcc_lo, s35, v6
	v_add_co_ci_u32_e32 v14, vcc_lo, s36, v7, vcc_lo
	v_add_co_u32 v204, vcc_lo, v40, v11
	s_delay_alu instid0(VALU_DEP_4) | instskip(NEXT) | instid1(VALU_DEP_4)
	v_add_co_ci_u32_e32 v205, vcc_lo, v41, v12, vcc_lo
	v_add_co_u32 v206, vcc_lo, v40, v13
	s_delay_alu instid0(VALU_DEP_4) | instskip(SKIP_4) | instid1(VALU_DEP_4)
	v_add_co_ci_u32_e32 v207, vcc_lo, v41, v14, vcc_lo
	v_add_co_u32 v11, vcc_lo, v8, s18
	v_add_co_ci_u32_e32 v12, vcc_lo, s19, v9, vcc_lo
	v_add_co_u32 v13, vcc_lo, s20, v6
	;; [unrolled: 2-line block ×3, first 2 shown]
	s_delay_alu instid0(VALU_DEP_4) | instskip(NEXT) | instid1(VALU_DEP_4)
	v_add_co_ci_u32_e32 v209, vcc_lo, v41, v12, vcc_lo
	v_add_co_u32 v210, vcc_lo, v40, v13
	s_delay_alu instid0(VALU_DEP_4)
	v_add_co_ci_u32_e32 v211, vcc_lo, v41, v14, vcc_lo
	v_add_co_u32 v212, vcc_lo, v40, v8
	v_add_co_ci_u32_e32 v213, vcc_lo, v41, v9, vcc_lo
	v_add_co_u32 v11, vcc_lo, s22, v6
	;; [unrolled: 2-line block ×3, first 2 shown]
	v_add_co_ci_u32_e32 v9, vcc_lo, s11, v9, vcc_lo
	s_delay_alu instid0(VALU_DEP_4) | instskip(NEXT) | instid1(VALU_DEP_4)
	v_add_co_u32 v214, vcc_lo, v40, v11
	v_add_co_ci_u32_e32 v215, vcc_lo, v41, v12, vcc_lo
	s_delay_alu instid0(VALU_DEP_4) | instskip(NEXT) | instid1(VALU_DEP_4)
	v_add_co_u32 v216, vcc_lo, v40, v8
	v_add_co_ci_u32_e32 v217, vcc_lo, v41, v9, vcc_lo
	s_addc_u32 s29, s21, s17
	s_lshl_b64 s[22:23], s[12:13], 4
	v_add_co_u32 v8, vcc_lo, s28, v6
	s_add_u32 s28, s1, s22
	v_add_co_ci_u32_e32 v9, vcc_lo, s29, v7, vcc_lo
	s_addc_u32 s29, s5, s23
	v_add_co_u32 v11, vcc_lo, s28, v6
	v_add_co_ci_u32_e32 v12, vcc_lo, s29, v7, vcc_lo
	v_add_co_u32 v218, vcc_lo, v40, v8
	v_add_co_ci_u32_e32 v219, vcc_lo, v41, v9, vcc_lo
	s_delay_alu instid0(VALU_DEP_4)
	v_add_co_u32 v220, vcc_lo, v40, v11
	s_add_u32 s28, s33, s30
	v_add_co_ci_u32_e32 v221, vcc_lo, v41, v12, vcc_lo
	s_addc_u32 s29, s34, s31
	s_lshl_b64 s[12:13], s[12:13], 5
	v_add_co_u32 v4, vcc_lo, s28, v4
	s_add_u32 s28, s12, s20
	v_add_co_ci_u32_e32 v5, vcc_lo, s29, v5, vcc_lo
	s_addc_u32 s29, s13, s21
	s_add_u32 s30, s28, s16
	s_addc_u32 s31, s29, s17
	v_add_co_u32 v8, vcc_lo, s30, v6
	v_add_co_ci_u32_e32 v9, vcc_lo, s31, v7, vcc_lo
	v_add_co_u32 v222, vcc_lo, v40, v4
	v_add_co_ci_u32_e32 v223, vcc_lo, v41, v5, vcc_lo
	s_delay_alu instid0(VALU_DEP_4)
	v_add_co_u32 v224, vcc_lo, v40, v8
	s_add_u32 s30, s35, s22
	v_add_co_ci_u32_e32 v225, vcc_lo, v41, v9, vcc_lo
	s_addc_u32 s31, s36, s23
	v_add_co_u32 v4, vcc_lo, s30, v6
	s_add_u32 s30, s28, s18
	v_add_co_ci_u32_e32 v5, vcc_lo, s31, v7, vcc_lo
	s_addc_u32 s31, s29, s19
	v_add_co_u32 v8, vcc_lo, s30, v6
	v_add_co_ci_u32_e32 v9, vcc_lo, s31, v7, vcc_lo
	v_add_co_u32 v226, vcc_lo, v40, v4
	v_add_co_ci_u32_e32 v227, vcc_lo, v41, v5, vcc_lo
	s_delay_alu instid0(VALU_DEP_4)
	v_add_co_u32 v228, vcc_lo, v40, v8
	s_add_u32 s20, s20, s22
	v_add_co_ci_u32_e32 v229, vcc_lo, v41, v9, vcc_lo
	s_addc_u32 s21, s21, s23
	v_add_co_u32 v4, vcc_lo, s20, v6
	v_add_co_ci_u32_e32 v5, vcc_lo, s21, v7, vcc_lo
	v_add_co_u32 v8, vcc_lo, s28, v6
	v_add_co_ci_u32_e32 v9, vcc_lo, s29, v7, vcc_lo
	s_delay_alu instid0(VALU_DEP_4) | instskip(NEXT) | instid1(VALU_DEP_4)
	v_add_co_u32 v230, vcc_lo, v40, v4
	v_add_co_ci_u32_e32 v231, vcc_lo, v41, v5, vcc_lo
	s_delay_alu instid0(VALU_DEP_4)
	v_add_co_u32 v232, vcc_lo, v40, v8
	s_add_u32 s18, s20, s18
	v_add_co_ci_u32_e32 v233, vcc_lo, v41, v9, vcc_lo
	s_addc_u32 s19, s21, s19
	v_add_co_u32 v4, vcc_lo, s18, v6
	s_add_u32 s10, s28, s10
	v_add_co_ci_u32_e32 v5, vcc_lo, s19, v7, vcc_lo
	s_addc_u32 s11, s29, s11
	v_add_co_u32 v8, vcc_lo, s10, v6
	v_add_co_ci_u32_e32 v9, vcc_lo, s11, v7, vcc_lo
	v_add_co_u32 v234, vcc_lo, v40, v4
	v_add_co_ci_u32_e32 v235, vcc_lo, v41, v5, vcc_lo
	s_delay_alu instid0(VALU_DEP_4)
	v_add_co_u32 v236, vcc_lo, v40, v8
	s_add_u32 s10, s20, s16
	v_add_co_ci_u32_e32 v237, vcc_lo, v41, v9, vcc_lo
	s_addc_u32 s11, s21, s17
	v_add_co_u32 v4, vcc_lo, s10, v6
	s_add_u32 s1, s1, s12
	v_add_co_ci_u32_e32 v5, vcc_lo, s11, v7, vcc_lo
	s_addc_u32 s5, s5, s13
	v_add_co_u32 v6, vcc_lo, s1, v6
	v_add_co_ci_u32_e32 v7, vcc_lo, s5, v7, vcc_lo
	v_add_co_u32 v238, vcc_lo, v40, v4
	v_mov_b32_e32 v4, 0
	v_add_co_ci_u32_e32 v239, vcc_lo, v41, v5, vcc_lo
	v_add_co_u32 v240, vcc_lo, v40, v6
	v_or_b32_e32 v185, 3, v175
	v_add_nc_u32_e32 v255, 16, v175
	v_add_nc_u32_e32 v169, 17, v175
	;; [unrolled: 1-line block ×12, first 2 shown]
	v_add_co_ci_u32_e32 v241, vcc_lo, v41, v7, vcc_lo
	s_cmp_eq_u32 s24, s14
	s_cselect_b32 s12, s26, 0
	s_and_saveexec_b32 s1, s2
	s_cbranch_execz .LBB189_104
.LBB189_100:
	v_cmp_le_i32_e32 vcc_lo, s12, v170
	s_cmp_lg_u32 s12, 0
	s_cselect_b32 s5, -1, 0
	s_delay_alu instid0(SALU_CYCLE_1) | instskip(NEXT) | instid1(SALU_CYCLE_1)
	s_and_b32 s5, s5, vcc_lo
	s_and_saveexec_b32 s10, s5
	s_delay_alu instid0(SALU_CYCLE_1)
	s_xor_b32 s5, exec_lo, s10
	s_cbranch_execz .LBB189_102
; %bb.101:
	scratch_load_b32 v8, off, off           ; 4-byte Folded Reload
	v_mov_b32_e32 v5, v4
	v_mov_b32_e32 v6, v4
	;; [unrolled: 1-line block ×3, first 2 shown]
	s_waitcnt vmcnt(0)
	ds_store_b128 v8, v[4:7]
.LBB189_102:
	s_and_not1_saveexec_b32 s5, s5
	s_cbranch_execz .LBB189_104
; %bb.103:
	s_ashr_i32 s5, s4, 31
	s_delay_alu instid0(SALU_CYCLE_1) | instskip(NEXT) | instid1(SALU_CYCLE_1)
	s_lshl_b64 s[10:11], s[4:5], 4
	v_add_co_u32 v5, vcc_lo, v176, s10
	v_add_co_ci_u32_e32 v6, vcc_lo, s11, v177, vcc_lo
	flat_load_b128 v[5:8], v[5:6]
	scratch_load_b32 v9, off, off           ; 4-byte Folded Reload
	s_waitcnt vmcnt(0) lgkmcnt(0)
	ds_store_2addr_b64 v9, v[5:6], v[7:8] offset1:1
.LBB189_104:                            ; =>This Inner Loop Header: Depth=1
	s_or_b32 exec_lo, exec_lo, s1
	s_cmp_eq_u32 s12, 0
	v_add_co_u32 v17, vcc_lo, v210, v200
	s_cselect_b32 s5, -1, 0
	s_cmp_lg_u32 s12, 0
	v_add_co_ci_u32_e32 v18, vcc_lo, v211, v201, vcc_lo
	s_cselect_b32 s1, -1, 0
	s_waitcnt lgkmcnt(0)
	s_waitcnt_vscnt null, 0x0
	s_and_b32 vcc_lo, exec_lo, s1
	s_barrier
	buffer_gl0_inv
	s_cbranch_vccz .LBB189_112
; %bb.105:                              ;   in Loop: Header=BB189_104 Depth=1
	v_mov_b32_e32 v5, 0
	v_mov_b32_e32 v6, 0
	s_mov_b32 s10, exec_lo
	s_delay_alu instid0(VALU_DEP_1)
	v_dual_mov_b32 v10, v6 :: v_dual_mov_b32 v9, v5
	v_dual_mov_b32 v12, v6 :: v_dual_mov_b32 v11, v5
	v_cmpx_gt_i32_e64 s12, v175
	s_cbranch_execz .LBB189_107
; %bb.106:                              ;   in Loop: Header=BB189_104 Depth=1
	flat_load_b128 v[9:12], v[17:18]
.LBB189_107:                            ;   in Loop: Header=BB189_104 Depth=1
	s_or_b32 exec_lo, exec_lo, s10
	v_or_b32_e32 v7, 1, v175
	s_delay_alu instid0(VALU_DEP_1)
	v_cmp_gt_i32_e32 vcc_lo, s12, v7
	v_dual_mov_b32 v8, v6 :: v_dual_mov_b32 v7, v5
	s_and_saveexec_b32 s10, vcc_lo
	s_cbranch_execz .LBB189_109
; %bb.108:                              ;   in Loop: Header=BB189_104 Depth=1
	v_add_co_u32 v5, vcc_lo, v206, v200
	v_add_co_ci_u32_e32 v6, vcc_lo, v207, v201, vcc_lo
	flat_load_b128 v[5:8], v[5:6]
.LBB189_109:                            ;   in Loop: Header=BB189_104 Depth=1
	s_or_b32 exec_lo, exec_lo, s10
	v_mov_b32_e32 v13, 0
	v_mov_b32_e32 v14, 0
	v_or_b32_e32 v15, 2, v175
	s_mov_b64 s[10:11], 0
	s_delay_alu instid0(VALU_DEP_1) | instskip(NEXT) | instid1(VALU_DEP_3)
	v_cmp_gt_i32_e32 vcc_lo, s12, v15
	v_dual_mov_b32 v16, v14 :: v_dual_mov_b32 v15, v13
	s_and_saveexec_b32 s13, vcc_lo
	s_cbranch_execz .LBB189_111
; %bb.110:                              ;   in Loop: Header=BB189_104 Depth=1
	v_add_co_u32 v13, vcc_lo, v214, v200
	v_add_co_ci_u32_e32 v14, vcc_lo, v215, v201, vcc_lo
	flat_load_b128 v[13:16], v[13:14]
.LBB189_111:                            ;   in Loop: Header=BB189_104 Depth=1
	s_or_b32 exec_lo, exec_lo, s13
	v_cmp_gt_i32_e64 s13, s12, v185
	s_branch .LBB189_114
.LBB189_112:                            ;   in Loop: Header=BB189_104 Depth=1
	s_mov_b32 s13, 0
                                        ; implicit-def: $sgpr10_sgpr11
                                        ; implicit-def: $vgpr15_vgpr16
                                        ; implicit-def: $vgpr7_vgpr8
                                        ; implicit-def: $vgpr11_vgpr12
	s_cbranch_execz .LBB189_114
; %bb.113:                              ;   in Loop: Header=BB189_104 Depth=1
	s_waitcnt vmcnt(0) lgkmcnt(0)
	v_add_co_u32 v5, vcc_lo, v206, v200
	v_add_co_ci_u32_e32 v6, vcc_lo, v207, v201, vcc_lo
	v_add_co_u32 v13, vcc_lo, v202, v200
	v_add_co_ci_u32_e32 v14, vcc_lo, v203, v201, vcc_lo
	flat_load_b128 v[9:12], v[17:18]
	flat_load_b128 v[5:8], v[5:6]
	;; [unrolled: 1-line block ×3, first 2 shown]
	s_or_b32 s13, s13, exec_lo
                                        ; implicit-def: $sgpr10_sgpr11
.LBB189_114:                            ;   in Loop: Header=BB189_104 Depth=1
	v_dual_mov_b32 v18, s11 :: v_dual_mov_b32 v17, s10
	v_dual_mov_b32 v20, s11 :: v_dual_mov_b32 v19, s10
	s_delay_alu instid0(VALU_DEP_3)
	s_and_saveexec_b32 s10, s13
	s_cbranch_execz .LBB189_116
; %bb.115:                              ;   in Loop: Header=BB189_104 Depth=1
	v_add_co_u32 v17, vcc_lo, v218, v200
	v_add_co_ci_u32_e32 v18, vcc_lo, v219, v201, vcc_lo
	flat_load_b128 v[17:20], v[17:18]
.LBB189_116:                            ;   in Loop: Header=BB189_104 Depth=1
	s_or_b32 exec_lo, exec_lo, s10
	ds_load_b128 v[25:28], v179
	ds_load_b128 v[21:24], v186
	v_add_co_u32 v49, vcc_lo, v230, v200
	v_cndmask_b32_e64 v117, 0, 1, s1
	v_add_co_ci_u32_e32 v50, vcc_lo, v231, v201, vcc_lo
	s_and_not1_b32 vcc_lo, exec_lo, s1
	s_waitcnt vmcnt(0) lgkmcnt(1)
	v_mul_f64 v[29:30], v[11:12], v[27:28]
	v_mul_f64 v[31:32], v[9:10], v[27:28]
	;; [unrolled: 1-line block ×8, first 2 shown]
	v_fma_f64 v[27:28], v[9:10], v[25:26], -v[29:30]
	v_fma_f64 v[29:30], v[11:12], v[25:26], v[31:32]
	v_fma_f64 v[37:38], v[5:6], v[25:26], -v[33:34]
	v_fma_f64 v[39:40], v[7:8], v[25:26], v[35:36]
	;; [unrolled: 2-line block ×4, first 2 shown]
	ds_store_b128 v187, v[27:30]
	ds_load_b128 v[33:36], v186 offset:16
	ds_store_b128 v187, v[37:40] offset:1072
	ds_load_b128 v[29:32], v186 offset:32
	ds_store_b128 v187, v[41:44] offset:2144
	;; [unrolled: 2-line block ×3, first 2 shown]
	s_waitcnt lgkmcnt(0)
	s_barrier
	buffer_gl0_inv
	ds_load_b128 v[93:96], v182
	ds_load_b128 v[89:92], v182 offset:16
	ds_load_b128 v[85:88], v182 offset:32
	;; [unrolled: 1-line block ×3, first 2 shown]
	s_waitcnt lgkmcnt(0)
	s_barrier
	buffer_gl0_inv
	s_cbranch_vccnz .LBB189_124
; %bb.117:                              ;   in Loop: Header=BB189_104 Depth=1
	v_mov_b32_e32 v37, 0
	v_mov_b32_e32 v38, 0
	s_mov_b32 s1, exec_lo
	s_delay_alu instid0(VALU_DEP_1)
	v_dual_mov_b32 v42, v38 :: v_dual_mov_b32 v41, v37
	v_dual_mov_b32 v44, v38 :: v_dual_mov_b32 v43, v37
	v_cmpx_gt_i32_e64 s12, v255
	s_cbranch_execz .LBB189_119
; %bb.118:                              ;   in Loop: Header=BB189_104 Depth=1
	flat_load_b128 v[41:44], v[49:50]
.LBB189_119:                            ;   in Loop: Header=BB189_104 Depth=1
	s_or_b32 exec_lo, exec_lo, s1
	v_dual_mov_b32 v40, v38 :: v_dual_mov_b32 v39, v37
	s_mov_b32 s1, exec_lo
	v_cmpx_gt_i32_e64 s12, v169
	s_cbranch_execz .LBB189_121
; %bb.120:                              ;   in Loop: Header=BB189_104 Depth=1
	v_add_co_u32 v37, vcc_lo, v226, v200
	v_add_co_ci_u32_e32 v38, vcc_lo, v227, v201, vcc_lo
	flat_load_b128 v[37:40], v[37:38]
.LBB189_121:                            ;   in Loop: Header=BB189_104 Depth=1
	s_or_b32 exec_lo, exec_lo, s1
	v_mov_b32_e32 v45, 0
	v_mov_b32_e32 v46, 0
	s_mov_b64 s[10:11], 0
	s_mov_b32 s1, exec_lo
	s_delay_alu instid0(VALU_DEP_1)
	v_dual_mov_b32 v48, v46 :: v_dual_mov_b32 v47, v45
	v_cmpx_gt_i32_e64 s12, v173
	s_cbranch_execz .LBB189_123
; %bb.122:                              ;   in Loop: Header=BB189_104 Depth=1
	v_add_co_u32 v45, vcc_lo, v234, v200
	v_add_co_ci_u32_e32 v46, vcc_lo, v235, v201, vcc_lo
	flat_load_b128 v[45:48], v[45:46]
.LBB189_123:                            ;   in Loop: Header=BB189_104 Depth=1
	s_or_b32 exec_lo, exec_lo, s1
	v_cmp_gt_i32_e64 s1, s12, v174
	s_branch .LBB189_126
.LBB189_124:                            ;   in Loop: Header=BB189_104 Depth=1
	s_mov_b32 s1, 0
                                        ; implicit-def: $sgpr10_sgpr11
                                        ; implicit-def: $vgpr47_vgpr48
                                        ; implicit-def: $vgpr39_vgpr40
                                        ; implicit-def: $vgpr43_vgpr44
	s_cbranch_execz .LBB189_126
; %bb.125:                              ;   in Loop: Header=BB189_104 Depth=1
	s_waitcnt vmcnt(0) lgkmcnt(0)
	v_add_co_u32 v37, vcc_lo, v226, v200
	v_add_co_ci_u32_e32 v38, vcc_lo, v227, v201, vcc_lo
	v_add_co_u32 v45, vcc_lo, v220, v200
	v_add_co_ci_u32_e32 v46, vcc_lo, v221, v201, vcc_lo
	flat_load_b128 v[41:44], v[49:50]
	flat_load_b128 v[37:40], v[37:38]
	;; [unrolled: 1-line block ×3, first 2 shown]
	s_or_b32 s1, s1, exec_lo
                                        ; implicit-def: $sgpr10_sgpr11
.LBB189_126:                            ;   in Loop: Header=BB189_104 Depth=1
	v_dual_mov_b32 v50, s11 :: v_dual_mov_b32 v49, s10
	v_dual_mov_b32 v52, s11 :: v_dual_mov_b32 v51, s10
	s_delay_alu instid0(VALU_DEP_3)
	s_and_saveexec_b32 s10, s1
	s_cbranch_execz .LBB189_128
; %bb.127:                              ;   in Loop: Header=BB189_104 Depth=1
	v_add_co_u32 v49, vcc_lo, v238, v200
	v_add_co_ci_u32_e32 v50, vcc_lo, v239, v201, vcc_lo
	flat_load_b128 v[49:52], v[49:50]
.LBB189_128:                            ;   in Loop: Header=BB189_104 Depth=1
	s_or_b32 exec_lo, exec_lo, s10
	ds_load_b128 v[57:60], v179
	ds_load_b128 v[53:56], v186 offset:256
	v_cmp_ne_u32_e32 vcc_lo, 1, v117
	v_add_co_u32 v97, s1, v232, v200
	s_delay_alu instid0(VALU_DEP_1)
	v_add_co_ci_u32_e64 v98, s1, v233, v201, s1
	s_and_b32 vcc_lo, exec_lo, vcc_lo
	s_waitcnt vmcnt(0) lgkmcnt(1)
	v_mul_f64 v[61:62], v[43:44], v[59:60]
	v_mul_f64 v[63:64], v[41:42], v[59:60]
	;; [unrolled: 1-line block ×8, first 2 shown]
	v_fma_f64 v[59:60], v[41:42], v[57:58], -v[61:62]
	v_fma_f64 v[61:62], v[43:44], v[57:58], v[63:64]
	v_fma_f64 v[69:70], v[37:38], v[57:58], -v[65:66]
	v_fma_f64 v[71:72], v[39:40], v[57:58], v[67:68]
	;; [unrolled: 2-line block ×4, first 2 shown]
	ds_store_b128 v187, v[59:62]
	ds_load_b128 v[65:68], v186 offset:272
	ds_store_b128 v187, v[69:72] offset:1072
	ds_load_b128 v[61:64], v186 offset:288
	ds_store_b128 v187, v[73:76] offset:2144
	;; [unrolled: 2-line block ×3, first 2 shown]
	s_waitcnt lgkmcnt(0)
	s_barrier
	buffer_gl0_inv
	ds_load_b128 v[141:144], v182
	ds_load_b128 v[137:140], v182 offset:16
	ds_load_b128 v[133:136], v182 offset:32
	;; [unrolled: 1-line block ×3, first 2 shown]
	s_waitcnt lgkmcnt(0)
	s_barrier
	buffer_gl0_inv
	s_cbranch_vccnz .LBB189_136
; %bb.129:                              ;   in Loop: Header=BB189_104 Depth=1
	v_mov_b32_e32 v69, 0
	v_mov_b32_e32 v70, 0
	s_mov_b32 s1, exec_lo
	s_delay_alu instid0(VALU_DEP_1)
	v_dual_mov_b32 v74, v70 :: v_dual_mov_b32 v73, v69
	v_dual_mov_b32 v76, v70 :: v_dual_mov_b32 v75, v69
	v_cmpx_gt_i32_e64 s12, v178
	s_cbranch_execz .LBB189_131
; %bb.130:                              ;   in Loop: Header=BB189_104 Depth=1
	flat_load_b128 v[73:76], v[97:98]
.LBB189_131:                            ;   in Loop: Header=BB189_104 Depth=1
	s_or_b32 exec_lo, exec_lo, s1
	v_dual_mov_b32 v72, v70 :: v_dual_mov_b32 v71, v69
	s_mov_b32 s1, exec_lo
	v_cmpx_gt_i32_e64 s12, v181
	s_cbranch_execz .LBB189_133
; %bb.132:                              ;   in Loop: Header=BB189_104 Depth=1
	v_add_co_u32 v69, vcc_lo, v236, v200
	v_add_co_ci_u32_e32 v70, vcc_lo, v237, v201, vcc_lo
	flat_load_b128 v[69:72], v[69:70]
.LBB189_133:                            ;   in Loop: Header=BB189_104 Depth=1
	s_or_b32 exec_lo, exec_lo, s1
	v_mov_b32_e32 v77, 0
	v_mov_b32_e32 v78, 0
	s_mov_b64 s[10:11], 0
	s_mov_b32 s1, exec_lo
	s_delay_alu instid0(VALU_DEP_1)
	v_dual_mov_b32 v80, v78 :: v_dual_mov_b32 v79, v77
	v_cmpx_gt_i32_e64 s12, v183
	s_cbranch_execz .LBB189_135
; %bb.134:                              ;   in Loop: Header=BB189_104 Depth=1
	v_add_co_u32 v77, vcc_lo, v228, v200
	v_add_co_ci_u32_e32 v78, vcc_lo, v229, v201, vcc_lo
	flat_load_b128 v[77:80], v[77:78]
.LBB189_135:                            ;   in Loop: Header=BB189_104 Depth=1
	s_or_b32 exec_lo, exec_lo, s1
	v_cmp_gt_i32_e64 s1, s12, v184
	s_branch .LBB189_138
.LBB189_136:                            ;   in Loop: Header=BB189_104 Depth=1
	s_mov_b32 s1, 0
                                        ; implicit-def: $sgpr10_sgpr11
                                        ; implicit-def: $vgpr79_vgpr80
                                        ; implicit-def: $vgpr71_vgpr72
                                        ; implicit-def: $vgpr75_vgpr76
	s_cbranch_execz .LBB189_138
; %bb.137:                              ;   in Loop: Header=BB189_104 Depth=1
	s_waitcnt vmcnt(0) lgkmcnt(0)
	v_add_co_u32 v69, vcc_lo, v236, v200
	v_add_co_ci_u32_e32 v70, vcc_lo, v237, v201, vcc_lo
	v_add_co_u32 v77, vcc_lo, v240, v200
	v_add_co_ci_u32_e32 v78, vcc_lo, v241, v201, vcc_lo
	flat_load_b128 v[73:76], v[97:98]
	flat_load_b128 v[69:72], v[69:70]
	;; [unrolled: 1-line block ×3, first 2 shown]
	s_or_b32 s1, s1, exec_lo
                                        ; implicit-def: $sgpr10_sgpr11
.LBB189_138:                            ;   in Loop: Header=BB189_104 Depth=1
	v_dual_mov_b32 v98, s11 :: v_dual_mov_b32 v97, s10
	v_dual_mov_b32 v100, s11 :: v_dual_mov_b32 v99, s10
	s_delay_alu instid0(VALU_DEP_3)
	s_and_saveexec_b32 s10, s1
	s_cbranch_execz .LBB189_140
; %bb.139:                              ;   in Loop: Header=BB189_104 Depth=1
	v_add_co_u32 v97, vcc_lo, v224, v200
	v_add_co_ci_u32_e32 v98, vcc_lo, v225, v201, vcc_lo
	flat_load_b128 v[97:100], v[97:98]
.LBB189_140:                            ;   in Loop: Header=BB189_104 Depth=1
	s_or_b32 exec_lo, exec_lo, s10
	ds_load_b128 v[105:108], v179
	ds_load_b128 v[101:104], v186 offset:512
	v_cmp_ne_u32_e32 vcc_lo, 1, v117
	s_and_b32 vcc_lo, exec_lo, vcc_lo
	s_waitcnt vmcnt(0) lgkmcnt(1)
	v_mul_f64 v[109:110], v[75:76], v[107:108]
	v_mul_f64 v[111:112], v[73:74], v[107:108]
	;; [unrolled: 1-line block ×8, first 2 shown]
	v_fma_f64 v[107:108], v[73:74], v[105:106], -v[109:110]
	v_fma_f64 v[109:110], v[75:76], v[105:106], v[111:112]
	v_fma_f64 v[118:119], v[69:70], v[105:106], -v[113:114]
	v_fma_f64 v[120:121], v[71:72], v[105:106], v[115:116]
	;; [unrolled: 2-line block ×4, first 2 shown]
	ds_store_b128 v187, v[107:110]
	ds_load_b128 v[113:116], v186 offset:528
	ds_store_b128 v187, v[118:121] offset:1072
	ds_load_b128 v[109:112], v186 offset:544
	ds_store_b128 v187, v[122:125] offset:2144
	;; [unrolled: 2-line block ×3, first 2 shown]
	s_waitcnt lgkmcnt(0)
	s_barrier
	buffer_gl0_inv
	ds_load_b128 v[165:168], v182
	ds_load_b128 v[161:164], v182 offset:16
	ds_load_b128 v[153:156], v182 offset:32
	;; [unrolled: 1-line block ×3, first 2 shown]
	v_add_co_u32 v145, s1, v212, v200
	s_delay_alu instid0(VALU_DEP_1)
	v_add_co_ci_u32_e64 v146, s1, v213, v201, s1
	s_waitcnt lgkmcnt(0)
	s_barrier
	buffer_gl0_inv
	s_cbranch_vccnz .LBB189_148
; %bb.141:                              ;   in Loop: Header=BB189_104 Depth=1
	v_mov_b32_e32 v117, 0
	v_mov_b32_e32 v118, 0
	s_mov_b32 s1, exec_lo
	s_delay_alu instid0(VALU_DEP_1)
	v_dual_mov_b32 v122, v118 :: v_dual_mov_b32 v121, v117
	v_dual_mov_b32 v124, v118 :: v_dual_mov_b32 v123, v117
	v_cmpx_gt_i32_e64 s12, v196
	s_cbranch_execz .LBB189_143
; %bb.142:                              ;   in Loop: Header=BB189_104 Depth=1
	flat_load_b128 v[121:124], v[145:146]
.LBB189_143:                            ;   in Loop: Header=BB189_104 Depth=1
	s_or_b32 exec_lo, exec_lo, s1
	v_dual_mov_b32 v120, v118 :: v_dual_mov_b32 v119, v117
	s_mov_b32 s1, exec_lo
	v_cmpx_gt_i32_e64 s12, v197
	s_cbranch_execz .LBB189_145
; %bb.144:                              ;   in Loop: Header=BB189_104 Depth=1
	v_add_co_u32 v117, vcc_lo, v216, v200
	v_add_co_ci_u32_e32 v118, vcc_lo, v217, v201, vcc_lo
	flat_load_b128 v[117:120], v[117:118]
.LBB189_145:                            ;   in Loop: Header=BB189_104 Depth=1
	s_or_b32 exec_lo, exec_lo, s1
	v_mov_b32_e32 v125, 0
	v_mov_b32_e32 v126, 0
	s_mov_b64 s[10:11], 0
	s_mov_b32 s1, exec_lo
	s_delay_alu instid0(VALU_DEP_1)
	v_dual_mov_b32 v128, v126 :: v_dual_mov_b32 v127, v125
	v_cmpx_gt_i32_e64 s12, v198
	s_cbranch_execz .LBB189_147
; %bb.146:                              ;   in Loop: Header=BB189_104 Depth=1
	v_add_co_u32 v125, vcc_lo, v208, v200
	v_add_co_ci_u32_e32 v126, vcc_lo, v209, v201, vcc_lo
	flat_load_b128 v[125:128], v[125:126]
.LBB189_147:                            ;   in Loop: Header=BB189_104 Depth=1
	s_or_b32 exec_lo, exec_lo, s1
	v_cmp_gt_i32_e64 s1, s12, v199
	s_branch .LBB189_150
.LBB189_148:                            ;   in Loop: Header=BB189_104 Depth=1
	s_mov_b32 s1, 0
                                        ; implicit-def: $sgpr10_sgpr11
                                        ; implicit-def: $vgpr127_vgpr128
                                        ; implicit-def: $vgpr119_vgpr120
                                        ; implicit-def: $vgpr123_vgpr124
	s_cbranch_execz .LBB189_150
; %bb.149:                              ;   in Loop: Header=BB189_104 Depth=1
	s_waitcnt vmcnt(0) lgkmcnt(0)
	v_add_co_u32 v117, vcc_lo, v216, v200
	v_add_co_ci_u32_e32 v118, vcc_lo, v217, v201, vcc_lo
	v_add_co_u32 v125, vcc_lo, v222, v200
	v_add_co_ci_u32_e32 v126, vcc_lo, v223, v201, vcc_lo
	flat_load_b128 v[121:124], v[145:146]
	flat_load_b128 v[117:120], v[117:118]
	;; [unrolled: 1-line block ×3, first 2 shown]
	s_or_b32 s1, s1, exec_lo
                                        ; implicit-def: $sgpr10_sgpr11
.LBB189_150:                            ;   in Loop: Header=BB189_104 Depth=1
	v_dual_mov_b32 v146, s11 :: v_dual_mov_b32 v145, s10
	v_dual_mov_b32 v148, s11 :: v_dual_mov_b32 v147, s10
	s_delay_alu instid0(VALU_DEP_3)
	s_and_saveexec_b32 s10, s1
	s_cbranch_execz .LBB189_152
; %bb.151:                              ;   in Loop: Header=BB189_104 Depth=1
	v_add_co_u32 v145, vcc_lo, v204, v200
	v_add_co_ci_u32_e32 v146, vcc_lo, v205, v201, vcc_lo
	flat_load_b128 v[145:148], v[145:146]
.LBB189_152:                            ;   in Loop: Header=BB189_104 Depth=1
	s_or_b32 exec_lo, exec_lo, s10
	v_add_f64 v[93:94], v[93:94], 0
	v_add_f64 v[95:96], v[95:96], 0
	ds_load_b128 v[243:246], v179
	ds_load_b128 v[157:160], v186 offset:768
	v_add_f64 v[165:166], v[165:166], 0
	v_add_f64 v[167:168], v[167:168], 0
	v_cmp_gt_i32_e32 vcc_lo, s12, v170
	s_or_b32 s1, s5, vcc_lo
	s_delay_alu instid0(SALU_CYCLE_1)
	s_and_b32 s5, s0, s1
	s_waitcnt vmcnt(0) lgkmcnt(1)
	v_mul_f64 v[188:189], v[123:124], v[245:246]
	v_mul_f64 v[190:191], v[121:122], v[245:246]
	;; [unrolled: 1-line block ×4, first 2 shown]
	v_add_f64 v[89:90], v[93:94], v[89:90]
	v_add_f64 v[91:92], v[95:96], v[91:92]
	;; [unrolled: 1-line block ×4, first 2 shown]
	v_fma_f64 v[247:248], v[121:122], v[243:244], -v[188:189]
	v_fma_f64 v[249:250], v[123:124], v[243:244], v[190:191]
	v_mul_f64 v[188:189], v[119:120], v[245:246]
	v_mul_f64 v[190:191], v[117:118], v[245:246]
	v_fma_f64 v[192:193], v[145:146], v[243:244], -v[192:193]
	v_fma_f64 v[194:195], v[147:148], v[243:244], v[194:195]
	v_add_f64 v[85:86], v[89:90], v[85:86]
	v_add_f64 v[87:88], v[91:92], v[87:88]
	;; [unrolled: 1-line block ×4, first 2 shown]
	ds_store_b128 v187, v[247:250]
	v_fma_f64 v[251:252], v[117:118], v[243:244], -v[188:189]
	v_fma_f64 v[253:254], v[119:120], v[243:244], v[190:191]
	v_mul_f64 v[188:189], v[127:128], v[245:246]
	v_mul_f64 v[190:191], v[125:126], v[245:246]
	ds_load_b128 v[89:92], v186 offset:784
	v_add_f64 v[93:94], v[85:86], v[81:82]
	v_add_f64 v[95:96], v[87:88], v[83:84]
	;; [unrolled: 1-line block ×6, first 2 shown]
	ds_store_b128 v187, v[251:254] offset:1072
	v_fma_f64 v[188:189], v[125:126], v[243:244], -v[188:189]
	v_fma_f64 v[190:191], v[127:128], v[243:244], v[190:191]
	ds_load_b128 v[85:88], v186 offset:800
	v_add_f64 v[81:82], v[81:82], v[137:138]
	v_add_f64 v[83:84], v[83:84], v[139:140]
	ds_store_b128 v187, v[188:191] offset:2144
	v_add_f64 v[81:82], v[81:82], v[133:134]
	v_add_f64 v[83:84], v[83:84], v[135:136]
	s_delay_alu instid0(VALU_DEP_2) | instskip(NEXT) | instid1(VALU_DEP_2)
	v_add_f64 v[129:130], v[81:82], v[129:130]
	v_add_f64 v[131:132], v[83:84], v[131:132]
	ds_load_b128 v[81:84], v186 offset:816
	ds_store_b128 v187, v[192:195] offset:3216
	s_waitcnt lgkmcnt(0)
	s_barrier
	buffer_gl0_inv
	ds_load_b128 v[133:136], v182
	ds_load_b128 v[137:140], v182 offset:16
	s_waitcnt lgkmcnt(1)
	v_add_f64 v[133:134], v[133:134], 0
	v_add_f64 v[135:136], v[135:136], 0
	s_waitcnt lgkmcnt(0)
	s_delay_alu instid0(VALU_DEP_2) | instskip(NEXT) | instid1(VALU_DEP_2)
	v_add_f64 v[141:142], v[133:134], v[137:138]
	v_add_f64 v[143:144], v[135:136], v[139:140]
	ds_load_b128 v[133:136], v182 offset:32
	ds_load_b128 v[137:140], v182 offset:48
	s_waitcnt lgkmcnt(0)
	s_barrier
	buffer_gl0_inv
	ds_store_b128 v242, v[93:96]
	ds_store_b128 v242, v[129:132] offset:256
	ds_store_b128 v242, v[149:152] offset:512
	v_add_f64 v[133:134], v[141:142], v[133:134]
	v_add_f64 v[135:136], v[143:144], v[135:136]
	s_delay_alu instid0(VALU_DEP_2) | instskip(NEXT) | instid1(VALU_DEP_2)
	v_add_f64 v[133:134], v[133:134], v[137:138]
	v_add_f64 v[135:136], v[135:136], v[139:140]
	ds_store_b128 v242, v[133:136] offset:768
	s_waitcnt lgkmcnt(0)
	s_barrier
	buffer_gl0_inv
	s_and_saveexec_b32 s1, s5
	s_cbranch_execz .LBB189_154
; %bb.153:                              ;   in Loop: Header=BB189_104 Depth=1
	ds_load_b128 v[93:96], v180
	ds_load_b128 v[129:132], v180 offset:16
	s_waitcnt lgkmcnt(0)
	v_add_f64 v[133:134], v[129:130], v[93:94]
	v_add_f64 v[135:136], v[131:132], v[95:96]
	ds_load_b128 v[93:96], v180 offset:32
	ds_load_b128 v[129:132], v180 offset:48
	s_waitcnt lgkmcnt(1)
	v_add_f64 v[93:94], v[133:134], v[93:94]
	v_add_f64 v[95:96], v[135:136], v[95:96]
	s_waitcnt lgkmcnt(0)
	s_delay_alu instid0(VALU_DEP_2) | instskip(NEXT) | instid1(VALU_DEP_2)
	v_add_f64 v[133:134], v[93:94], v[129:130]
	v_add_f64 v[135:136], v[95:96], v[131:132]
	ds_load_b128 v[93:96], v180 offset:64
	ds_load_b128 v[129:132], v180 offset:80
	s_waitcnt lgkmcnt(1)
	v_add_f64 v[93:94], v[133:134], v[93:94]
	v_add_f64 v[95:96], v[135:136], v[95:96]
	s_waitcnt lgkmcnt(0)
	s_delay_alu instid0(VALU_DEP_2) | instskip(NEXT) | instid1(VALU_DEP_2)
	;; [unrolled: 9-line block ×5, first 2 shown]
	v_add_f64 v[133:134], v[93:94], v[129:130]
	v_add_f64 v[135:136], v[95:96], v[131:132]
	ds_load_b128 v[93:96], v180 offset:192
	ds_load_b128 v[129:132], v180 offset:208
	s_waitcnt lgkmcnt(1)
	v_add_f64 v[93:94], v[133:134], v[93:94]
	v_add_f64 v[95:96], v[135:136], v[95:96]
	s_waitcnt lgkmcnt(0)
	s_delay_alu instid0(VALU_DEP_2)
	v_add_f64 v[133:134], v[93:94], v[129:130]
	scratch_load_b32 v129, off, off offset:4 ; 4-byte Folded Reload
	v_add_f64 v[135:136], v[95:96], v[131:132]
	ds_load_b128 v[93:96], v180 offset:224
	s_waitcnt vmcnt(0)
	ds_load_b128 v[129:132], v129
	s_waitcnt lgkmcnt(1)
	v_add_f64 v[93:94], v[133:134], v[93:94]
	v_add_f64 v[95:96], v[135:136], v[95:96]
	s_waitcnt lgkmcnt(0)
	s_delay_alu instid0(VALU_DEP_2) | instskip(NEXT) | instid1(VALU_DEP_2)
	v_add_f64 v[93:94], v[93:94], v[129:130]
	v_add_f64 v[95:96], v[95:96], v[131:132]
	v_mov_b32_e32 v131, v172
	v_ashrrev_i32_e32 v172, 31, v171
	s_delay_alu instid0(VALU_DEP_1) | instskip(NEXT) | instid1(VALU_DEP_3)
	v_lshlrev_b64 v[129:130], 4, v[171:172]
	v_mov_b32_e32 v172, v131
	s_delay_alu instid0(VALU_DEP_2) | instskip(NEXT) | instid1(VALU_DEP_3)
	v_add_co_u32 v129, vcc_lo, s3, v129
	v_add_co_ci_u32_e32 v130, vcc_lo, s9, v130, vcc_lo
	global_store_b128 v[129:130], v[93:96], off
.LBB189_154:                            ;   in Loop: Header=BB189_104 Depth=1
	s_or_b32 exec_lo, exec_lo, s1
	v_mul_f64 v[93:94], v[11:12], v[23:24]
	v_mul_f64 v[23:24], v[9:10], v[23:24]
	;; [unrolled: 1-line block ×4, first 2 shown]
	v_add_co_u32 v202, vcc_lo, v202, s6
	v_add_co_ci_u32_e32 v203, vcc_lo, s7, v203, vcc_lo
	v_add_co_u32 v204, vcc_lo, v204, s6
	v_add_co_ci_u32_e32 v205, vcc_lo, s7, v205, vcc_lo
	;; [unrolled: 2-line block ×8, first 2 shown]
	v_add_co_u32 v218, vcc_lo, v218, s6
	v_fma_f64 v[9:10], v[9:10], v[21:22], -v[93:94]
	v_fma_f64 v[11:12], v[11:12], v[21:22], v[23:24]
	v_mul_f64 v[21:22], v[15:16], v[31:32]
	v_mul_f64 v[23:24], v[13:14], v[31:32]
	v_fma_f64 v[5:6], v[5:6], v[33:34], -v[95:96]
	v_fma_f64 v[7:8], v[7:8], v[33:34], v[35:36]
	v_add_co_ci_u32_e32 v219, vcc_lo, s7, v219, vcc_lo
	v_add_co_u32 v220, vcc_lo, v220, s6
	v_add_co_ci_u32_e32 v221, vcc_lo, s7, v221, vcc_lo
	v_add_co_u32 v222, vcc_lo, v222, s6
	;; [unrolled: 2-line block ×8, first 2 shown]
	v_add_f64 v[0:1], v[0:1], v[9:10]
	v_add_f64 v[2:3], v[2:3], v[11:12]
	v_mul_f64 v[9:10], v[19:20], v[27:28]
	v_mul_f64 v[11:12], v[17:18], v[27:28]
	v_fma_f64 v[13:14], v[13:14], v[29:30], -v[21:22]
	v_fma_f64 v[15:16], v[15:16], v[29:30], v[23:24]
	v_add_co_ci_u32_e32 v235, vcc_lo, s7, v235, vcc_lo
	v_add_co_u32 v236, vcc_lo, v236, s6
	v_add_co_ci_u32_e32 v237, vcc_lo, s7, v237, vcc_lo
	v_add_co_u32 v238, vcc_lo, v238, s6
	;; [unrolled: 2-line block ×3, first 2 shown]
	v_add_nc_u32_e32 v171, 64, v171
	v_add_co_ci_u32_e32 v241, vcc_lo, s7, v241, vcc_lo
	s_add_i32 s5, s14, 2
	s_add_i32 s1, s14, 1
	s_add_i32 s4, s4, s25
	s_cmp_ge_u32 s5, s15
	s_waitcnt_vscnt null, 0x0
	s_barrier
	buffer_gl0_inv
	v_add_f64 v[0:1], v[0:1], v[5:6]
	v_add_f64 v[2:3], v[2:3], v[7:8]
	v_mul_f64 v[5:6], v[43:44], v[55:56]
	v_mul_f64 v[7:8], v[41:42], v[55:56]
	v_fma_f64 v[9:10], v[17:18], v[25:26], -v[9:10]
	v_fma_f64 v[11:12], v[19:20], v[25:26], v[11:12]
	v_add_f64 v[0:1], v[0:1], v[13:14]
	v_add_f64 v[2:3], v[2:3], v[15:16]
	v_mul_f64 v[13:14], v[39:40], v[67:68]
	v_mul_f64 v[15:16], v[37:38], v[67:68]
	v_fma_f64 v[5:6], v[41:42], v[53:54], -v[5:6]
	v_fma_f64 v[7:8], v[43:44], v[53:54], v[7:8]
	;; [unrolled: 6-line block ×12, first 2 shown]
	v_add_f64 v[0:1], v[0:1], v[5:6]
	v_add_f64 v[2:3], v[2:3], v[7:8]
	v_fma_f64 v[5:6], v[145:146], v[81:82], -v[9:10]
	v_fma_f64 v[7:8], v[147:148], v[81:82], v[11:12]
	s_delay_alu instid0(VALU_DEP_4) | instskip(NEXT) | instid1(VALU_DEP_4)
	v_add_f64 v[0:1], v[0:1], v[13:14]
	v_add_f64 v[2:3], v[2:3], v[15:16]
	s_delay_alu instid0(VALU_DEP_2) | instskip(NEXT) | instid1(VALU_DEP_2)
	v_add_f64 v[0:1], v[0:1], v[5:6]
	v_add_f64 v[2:3], v[2:3], v[7:8]
	s_cbranch_scc1 .LBB189_156
; %bb.155:                              ;   in Loop: Header=BB189_104 Depth=1
	s_mov_b32 s14, s1
	s_delay_alu instid0(SALU_CYCLE_1)
	s_cmp_eq_u32 s24, s14
	s_cselect_b32 s12, s26, 0
	s_and_saveexec_b32 s1, s2
	s_cbranch_execnz .LBB189_100
	s_branch .LBB189_104
.LBB189_156:
	scratch_load_b32 v4, off, off offset:8  ; 4-byte Folded Reload
	v_cmp_gt_i32_e32 vcc_lo, s8, v170
	s_or_b32 s0, s27, vcc_lo
	s_delay_alu instid0(SALU_CYCLE_1)
	s_and_b32 s0, s2, s0
	s_waitcnt vmcnt(0)
	v_mad_u32_u24 v4, 0x430, v4, v172
	ds_store_b128 v4, v[0:3]
	s_waitcnt lgkmcnt(0)
	s_barrier
	buffer_gl0_inv
	s_and_saveexec_b32 s1, s0
	s_cbranch_execz .LBB189_158
; %bb.157:
	ds_load_b128 v[0:3], v172 offset:1072
	ds_load_b128 v[4:7], v172
	s_waitcnt lgkmcnt(0)
	v_add_f64 v[8:9], v[0:1], v[4:5]
	v_add_f64 v[10:11], v[2:3], v[6:7]
	ds_load_b128 v[0:3], v172 offset:2144
	ds_load_b128 v[4:7], v172 offset:3216
	s_waitcnt lgkmcnt(1)
	v_add_f64 v[0:1], v[8:9], v[0:1]
	v_add_f64 v[2:3], v[10:11], v[2:3]
	s_waitcnt lgkmcnt(0)
	s_delay_alu instid0(VALU_DEP_2) | instskip(SKIP_4) | instid1(VALU_DEP_1)
	v_add_f64 v[0:1], v[0:1], v[4:5]
	scratch_load_b64 v[4:5], off, off offset:12 ; 8-byte Folded Reload
	v_add_f64 v[2:3], v[2:3], v[6:7]
	s_waitcnt vmcnt(0)
	v_ashrrev_i32_e32 v5, 31, v4
	v_lshlrev_b64 v[4:5], 4, v[4:5]
	s_delay_alu instid0(VALU_DEP_1) | instskip(NEXT) | instid1(VALU_DEP_2)
	v_add_co_u32 v4, vcc_lo, s3, v4
	v_add_co_ci_u32_e32 v5, vcc_lo, s9, v5, vcc_lo
	global_store_b128 v[4:5], v[0:3], off
.LBB189_158:
	s_nop 0
	s_sendmsg sendmsg(MSG_DEALLOC_VGPRS)
	s_endpgm
	.section	.rodata,"a",@progbits
	.p2align	6, 0x0
	.amdhsa_kernel _ZL26rocblas_hemvn_kernel_upperILb0ELi64ELi4ELi33ELi32ELi16EiPK19rocblas_complex_numIdEPKS3_PS1_EviT6_lT7_lT5_lS8_lS9_lS7_lT8_i
		.amdhsa_group_segment_fixed_size 19200
		.amdhsa_private_segment_fixed_size 24
		.amdhsa_kernarg_size 376
		.amdhsa_user_sgpr_count 14
		.amdhsa_user_sgpr_dispatch_ptr 0
		.amdhsa_user_sgpr_queue_ptr 0
		.amdhsa_user_sgpr_kernarg_segment_ptr 1
		.amdhsa_user_sgpr_dispatch_id 0
		.amdhsa_user_sgpr_private_segment_size 0
		.amdhsa_wavefront_size32 1
		.amdhsa_uses_dynamic_stack 0
		.amdhsa_enable_private_segment 1
		.amdhsa_system_sgpr_workgroup_id_x 1
		.amdhsa_system_sgpr_workgroup_id_y 0
		.amdhsa_system_sgpr_workgroup_id_z 1
		.amdhsa_system_sgpr_workgroup_info 0
		.amdhsa_system_vgpr_workitem_id 1
		.amdhsa_next_free_vgpr 256
		.amdhsa_next_free_sgpr 37
		.amdhsa_reserve_vcc 1
		.amdhsa_float_round_mode_32 0
		.amdhsa_float_round_mode_16_64 0
		.amdhsa_float_denorm_mode_32 3
		.amdhsa_float_denorm_mode_16_64 3
		.amdhsa_dx10_clamp 1
		.amdhsa_ieee_mode 1
		.amdhsa_fp16_overflow 0
		.amdhsa_workgroup_processor_mode 1
		.amdhsa_memory_ordered 1
		.amdhsa_forward_progress 0
		.amdhsa_shared_vgpr_count 0
		.amdhsa_exception_fp_ieee_invalid_op 0
		.amdhsa_exception_fp_denorm_src 0
		.amdhsa_exception_fp_ieee_div_zero 0
		.amdhsa_exception_fp_ieee_overflow 0
		.amdhsa_exception_fp_ieee_underflow 0
		.amdhsa_exception_fp_ieee_inexact 0
		.amdhsa_exception_int_div_zero 0
	.end_amdhsa_kernel
	.section	.text._ZL26rocblas_hemvn_kernel_upperILb0ELi64ELi4ELi33ELi32ELi16EiPK19rocblas_complex_numIdEPKS3_PS1_EviT6_lT7_lT5_lS8_lS9_lS7_lT8_i,"axG",@progbits,_ZL26rocblas_hemvn_kernel_upperILb0ELi64ELi4ELi33ELi32ELi16EiPK19rocblas_complex_numIdEPKS3_PS1_EviT6_lT7_lT5_lS8_lS9_lS7_lT8_i,comdat
.Lfunc_end189:
	.size	_ZL26rocblas_hemvn_kernel_upperILb0ELi64ELi4ELi33ELi32ELi16EiPK19rocblas_complex_numIdEPKS3_PS1_EviT6_lT7_lT5_lS8_lS9_lS7_lT8_i, .Lfunc_end189-_ZL26rocblas_hemvn_kernel_upperILb0ELi64ELi4ELi33ELi32ELi16EiPK19rocblas_complex_numIdEPKS3_PS1_EviT6_lT7_lT5_lS8_lS9_lS7_lT8_i
                                        ; -- End function
	.section	.AMDGPU.csdata,"",@progbits
; Kernel info:
; codeLenInByte = 12272
; NumSgprs: 39
; NumVgprs: 256
; ScratchSize: 24
; MemoryBound: 1
; FloatMode: 240
; IeeeMode: 1
; LDSByteSize: 19200 bytes/workgroup (compile time only)
; SGPRBlocks: 4
; VGPRBlocks: 31
; NumSGPRsForWavesPerEU: 39
; NumVGPRsForWavesPerEU: 256
; Occupancy: 5
; WaveLimiterHint : 1
; COMPUTE_PGM_RSRC2:SCRATCH_EN: 1
; COMPUTE_PGM_RSRC2:USER_SGPR: 14
; COMPUTE_PGM_RSRC2:TRAP_HANDLER: 0
; COMPUTE_PGM_RSRC2:TGID_X_EN: 1
; COMPUTE_PGM_RSRC2:TGID_Y_EN: 0
; COMPUTE_PGM_RSRC2:TGID_Z_EN: 1
; COMPUTE_PGM_RSRC2:TIDIG_COMP_CNT: 1
	.section	.text._ZL26rocblas_hemvn_kernel_upperILb0ELi64ELi4ELi33ELi32ELi16El19rocblas_complex_numIdEPKPKS1_PS1_EviT6_lT7_lT5_lS8_lS9_lS7_lT8_i,"axG",@progbits,_ZL26rocblas_hemvn_kernel_upperILb0ELi64ELi4ELi33ELi32ELi16El19rocblas_complex_numIdEPKPKS1_PS1_EviT6_lT7_lT5_lS8_lS9_lS7_lT8_i,comdat
	.globl	_ZL26rocblas_hemvn_kernel_upperILb0ELi64ELi4ELi33ELi32ELi16El19rocblas_complex_numIdEPKPKS1_PS1_EviT6_lT7_lT5_lS8_lS9_lS7_lT8_i ; -- Begin function _ZL26rocblas_hemvn_kernel_upperILb0ELi64ELi4ELi33ELi32ELi16El19rocblas_complex_numIdEPKPKS1_PS1_EviT6_lT7_lT5_lS8_lS9_lS7_lT8_i
	.p2align	8
	.type	_ZL26rocblas_hemvn_kernel_upperILb0ELi64ELi4ELi33ELi32ELi16El19rocblas_complex_numIdEPKPKS1_PS1_EviT6_lT7_lT5_lS8_lS9_lS7_lT8_i,@function
_ZL26rocblas_hemvn_kernel_upperILb0ELi64ELi4ELi33ELi32ELi16El19rocblas_complex_numIdEPKPKS1_PS1_EviT6_lT7_lT5_lS8_lS9_lS7_lT8_i: ; @_ZL26rocblas_hemvn_kernel_upperILb0ELi64ELi4ELi33ELi32ELi16El19rocblas_complex_numIdEPKPKS1_PS1_EviT6_lT7_lT5_lS8_lS9_lS7_lT8_i
; %bb.0:
	s_load_b64 s[4:5], s[0:1], 0x94
	s_add_u32 s2, s0, 0x88
	s_addc_u32 s3, s1, 0
	s_waitcnt lgkmcnt(0)
	s_lshr_b32 s6, s4, 16
	s_and_b32 s4, s4, 0xffff
	s_and_b32 s5, s5, 0xffff
	s_mul_i32 s4, s6, s4
	s_delay_alu instid0(SALU_CYCLE_1) | instskip(NEXT) | instid1(SALU_CYCLE_1)
	s_mul_i32 s4, s4, s5
	s_cmpk_lg_i32 s4, 0x100
	s_cbranch_scc1 .LBB190_158
; %bb.1:
	s_clause 0x2
	s_load_b128 s[8:11], s[0:1], 0x8
	s_load_b128 s[4:7], s[0:1], 0x20
	s_load_b64 s[16:17], s[0:1], 0x30
	s_mov_b32 s20, s15
	s_waitcnt lgkmcnt(0)
	v_cmp_neq_f64_e64 s8, s[8:9], 0
	v_cmp_neq_f64_e64 s9, s[10:11], 0
	s_delay_alu instid0(VALU_DEP_1)
	s_or_b32 s12, s8, s9
	s_mov_b64 s[8:9], 0
	s_and_b32 vcc_lo, exec_lo, s12
	s_cbranch_vccnz .LBB190_3
; %bb.2:
	s_load_b128 s[24:27], s[0:1], 0x60
	s_waitcnt lgkmcnt(0)
	v_cmp_neq_f64_e64 s10, s[24:25], 1.0
	v_cmp_neq_f64_e64 s11, s[26:27], 0
	s_delay_alu instid0(VALU_DEP_1)
	s_or_b32 s10, s10, s11
	s_cbranch_execz .LBB190_4
	s_branch .LBB190_5
.LBB190_3:
	s_mov_b32 s10, 0
                                        ; implicit-def: $sgpr8_sgpr9
.LBB190_4:
	s_mov_b32 s21, 0
	s_mov_b32 s10, -1
	s_lshl_b64 s[8:9], s[20:21], 3
	s_delay_alu instid0(SALU_CYCLE_1)
	s_add_u32 s4, s4, s8
	s_addc_u32 s5, s5, s9
	s_lshl_b64 s[6:7], s[6:7], 4
	s_load_b64 s[4:5], s[4:5], 0x0
	s_waitcnt lgkmcnt(0)
	s_add_u32 s8, s4, s6
	s_addc_u32 s9, s5, s7
.LBB190_5:
	s_and_not1_b32 vcc_lo, exec_lo, s10
	s_cbranch_vccnz .LBB190_158
; %bb.6:
	s_clause 0x1
	s_load_b128 s[4:7], s[0:1], 0x40
	s_load_b64 s[10:11], s[0:1], 0x50
	v_cndmask_b32_e64 v1, 0, 1, s12
	s_and_not1_b32 vcc_lo, exec_lo, s12
	s_mov_b64 s[12:13], 0
	s_cbranch_vccnz .LBB190_8
; %bb.7:
	s_mov_b32 s21, 0
	s_delay_alu instid0(SALU_CYCLE_1)
	s_lshl_b64 s[12:13], s[20:21], 3
	s_waitcnt lgkmcnt(0)
	s_add_u32 s4, s4, s12
	s_addc_u32 s5, s5, s13
	s_lshl_b64 s[6:7], s[6:7], 4
	s_load_b64 s[4:5], s[4:5], 0x0
	s_waitcnt lgkmcnt(0)
	s_add_u32 s12, s4, s6
	s_addc_u32 s13, s5, s7
.LBB190_8:
	s_delay_alu instid0(VALU_DEP_1)
	v_cmp_ne_u32_e32 vcc_lo, 1, v1
	s_cbranch_vccnz .LBB190_158
; %bb.9:
	v_and_b32_e32 v183, 0x3ff, v0
	s_lshl_b32 s18, s14, 6
	s_load_b32 s24, s[0:1], 0x0
	s_load_b32 s15, s[2:3], 0x0
	v_bfe_u32 v0, v0, 10, 10
	v_add_nc_u32_e32 v4, s18, v183
	s_waitcnt lgkmcnt(0)
	s_mov_b32 s5, -1
	scratch_store_b32 off, v0, off offset:4 ; 4-byte Folded Spill
	v_ashrrev_i32_e32 v5, 31, v4
	v_mul_lo_u32 v3, v4, s11
	v_mad_u64_u32 v[1:2], null, v4, s10, 0
	scratch_store_b64 off, v[4:5], off offset:8 ; 8-byte Folded Spill
	v_mul_lo_u32 v4, v5, s10
	s_ashr_i32 s25, s24, 31
	s_add_i32 s3, s15, -1
	s_delay_alu instid0(VALU_DEP_1) | instskip(SKIP_1) | instid1(SALU_CYCLE_1)
	v_add3_u32 v2, v2, v3, v4
	s_lshr_b32 s2, s25, 26
	s_add_i32 s2, s24, s2
	s_delay_alu instid0(VALU_DEP_1) | instskip(SKIP_1) | instid1(SALU_CYCLE_1)
	v_lshlrev_b64 v[1:2], 4, v[1:2]
	s_and_not1_b32 s2, s2, 63
	s_sub_i32 s21, s24, s2
	v_cmp_eq_u32_e64 s2, 0, v0
	s_cmp_eq_u32 s14, s3
	s_delay_alu instid0(VALU_DEP_2)
	v_add_co_u32 v38, vcc_lo, s12, v1
	v_add_co_ci_u32_e32 v39, vcc_lo, s13, v2, vcc_lo
	s_cselect_b32 s12, s21, 0
	s_and_saveexec_b32 s3, s2
	s_cbranch_execz .LBB190_14
; %bb.10:
	v_cmp_le_i32_e32 vcc_lo, s12, v183
	s_cmp_lg_u32 s12, 0
	v_lshl_add_u32 v0, v183, 4, 0x4700
	s_cselect_b32 s4, -1, 0
	s_delay_alu instid0(SALU_CYCLE_1) | instskip(NEXT) | instid1(SALU_CYCLE_1)
	s_and_b32 s4, s4, vcc_lo
	s_and_saveexec_b32 s6, s4
	s_delay_alu instid0(SALU_CYCLE_1)
	s_xor_b32 s4, exec_lo, s6
	s_cbranch_execz .LBB190_12
; %bb.11:
	v_mov_b32_e32 v1, 0
	s_delay_alu instid0(VALU_DEP_1)
	v_mov_b32_e32 v2, v1
	v_mov_b32_e32 v3, v1
	v_mov_b32_e32 v4, v1
	ds_store_b128 v0, v[1:4]
                                        ; implicit-def: $vgpr0
.LBB190_12:
	s_and_not1_saveexec_b32 s4, s4
	s_cbranch_execz .LBB190_14
; %bb.13:
	flat_load_b128 v[1:4], v[38:39]
	s_waitcnt vmcnt(0) lgkmcnt(0)
	ds_store_2addr_b64 v0, v[1:2], v[3:4] offset1:1
.LBB190_14:
	s_or_b32 exec_lo, exec_lo, s3
	scratch_load_b32 v0, off, off offset:4  ; 4-byte Folded Reload
	v_dual_mov_b32 v5, 0 :: v_dual_and_b32 v4, 31, v183
	s_ashr_i32 s19, s18, 31
	s_mul_i32 s3, s18, s17
	s_lshl_b64 s[6:7], s[18:19], 4
	s_mul_hi_u32 s4, s18, s16
	s_add_u32 s8, s8, s6
	s_mul_i32 s13, s19, s16
	s_addc_u32 s9, s9, s7
	s_add_i32 s3, s4, s3
	s_mul_i32 s6, s18, s16
	s_add_i32 s7, s3, s13
	v_cmp_gt_i32_e64 s3, s12, v4
	s_lshl_b64 s[6:7], s[6:7], 4
	v_lshlrev_b32_e32 v13, 4, v4
	s_add_u32 s4, s6, s8
	s_addc_u32 s6, s7, s9
	s_cmp_eq_u32 s12, 0
	s_cselect_b32 s9, -1, 0
	s_cmp_lg_u32 s12, 0
	s_cselect_b32 s26, -1, 0
	s_delay_alu instid0(SALU_CYCLE_1) | instskip(SKIP_2) | instid1(VALU_DEP_1)
	s_and_b32 vcc_lo, exec_lo, s26
	s_waitcnt vmcnt(0)
	v_lshl_add_u32 v42, v0, 6, v183
	v_lshrrev_b32_e32 v11, 5, v42
	s_delay_alu instid0(VALU_DEP_1) | instskip(SKIP_1) | instid1(VALU_DEP_2)
	v_mad_u64_u32 v[0:1], null, v11, s16, v[4:5]
	v_mul_u32_u24_e32 v12, 33, v11
	v_mad_u64_u32 v[2:3], null, v11, s17, v[1:2]
	s_delay_alu instid0(VALU_DEP_1) | instskip(NEXT) | instid1(VALU_DEP_1)
	v_mov_b32_e32 v1, v2
	v_lshlrev_b64 v[36:37], 4, v[0:1]
	s_delay_alu instid0(VALU_DEP_1) | instskip(NEXT) | instid1(VALU_DEP_1)
	v_add_co_u32 v0, s4, s4, v36
	v_add_co_ci_u32_e64 v1, s4, s6, v37, s4
	s_cbranch_vccz .LBB190_32
; %bb.15:
	s_delay_alu instid0(VALU_DEP_2) | instskip(SKIP_1) | instid1(VALU_DEP_2)
	v_sub_co_u32 v2, vcc_lo, v0, v13
	s_ashr_i32 s13, s12, 31
	v_subrev_co_ci_u32_e32 v3, vcc_lo, 0, v1, vcc_lo
	s_lshl_b64 s[4:5], s[12:13], 4
	v_add_lshl_u32 v5, v12, v4, 4
	v_add_co_u32 v2, vcc_lo, v2, s4
	s_delay_alu instid0(VALU_DEP_3) | instskip(SKIP_1) | instid1(VALU_DEP_2)
	v_add_co_ci_u32_e32 v3, vcc_lo, s5, v3, vcc_lo
	s_mov_b32 s6, exec_lo
	v_add_co_u32 v2, vcc_lo, v2, -16
	s_delay_alu instid0(VALU_DEP_2) | instskip(NEXT) | instid1(VALU_DEP_2)
	v_add_co_ci_u32_e32 v3, vcc_lo, -1, v3, vcc_lo
	v_cndmask_b32_e64 v2, v2, v0, s3
	s_delay_alu instid0(VALU_DEP_2)
	v_cndmask_b32_e64 v3, v3, v1, s3
	v_cmpx_le_i32_e64 s12, v11
	s_xor_b32 s6, exec_lo, s6
	s_cbranch_execz .LBB190_17
; %bb.16:
	v_mov_b32_e32 v6, 0
	s_delay_alu instid0(VALU_DEP_1)
	v_mov_b32_e32 v7, v6
	v_mov_b32_e32 v8, v6
	;; [unrolled: 1-line block ×3, first 2 shown]
	ds_store_b128 v5, v[6:9]
.LBB190_17:
	s_and_not1_saveexec_b32 s6, s6
	s_cbranch_execz .LBB190_19
; %bb.18:
	flat_load_b128 v[6:9], v[2:3]
	s_waitcnt vmcnt(0) lgkmcnt(0)
	ds_store_2addr_b64 v5, v[6:7], v[8:9] offset1:1
.LBB190_19:
	s_or_b32 exec_lo, exec_lo, s6
	v_add_nc_u32_e32 v6, 8, v11
	s_mov_b32 s6, exec_lo
	s_delay_alu instid0(VALU_DEP_1)
	v_cmpx_le_i32_e64 s12, v6
	s_xor_b32 s6, exec_lo, s6
	s_cbranch_execz .LBB190_21
; %bb.20:
	v_mul_u32_u24_e32 v7, 33, v6
	v_mov_b32_e32 v6, 0
	s_delay_alu instid0(VALU_DEP_2) | instskip(NEXT) | instid1(VALU_DEP_2)
	v_add_lshl_u32 v10, v7, v4, 4
	v_mov_b32_e32 v7, v6
	v_mov_b32_e32 v8, v6
	;; [unrolled: 1-line block ×3, first 2 shown]
	ds_store_b128 v10, v[6:9]
.LBB190_21:
	s_and_not1_saveexec_b32 s6, s6
	s_cbranch_execz .LBB190_23
; %bb.22:
	s_lshl_b64 s[22:23], s[16:17], 7
	v_add_nc_u32_e32 v10, 0x1080, v5
	v_add_co_u32 v6, vcc_lo, v2, s22
	v_add_co_ci_u32_e32 v7, vcc_lo, s23, v3, vcc_lo
	flat_load_b128 v[6:9], v[6:7]
	s_waitcnt vmcnt(0) lgkmcnt(0)
	ds_store_2addr_b64 v10, v[6:7], v[8:9] offset1:1
.LBB190_23:
	s_or_b32 exec_lo, exec_lo, s6
	v_add_nc_u32_e32 v6, 16, v11
	s_mov_b32 s6, exec_lo
	s_delay_alu instid0(VALU_DEP_1)
	v_cmpx_le_i32_e64 s12, v6
	s_xor_b32 s6, exec_lo, s6
	s_cbranch_execz .LBB190_25
; %bb.24:
	v_mov_b32_e32 v6, 0
	s_delay_alu instid0(VALU_DEP_1)
	v_mov_b32_e32 v7, v6
	v_mov_b32_e32 v8, v6
	;; [unrolled: 1-line block ×3, first 2 shown]
	ds_store_b128 v5, v[6:9] offset:8448
.LBB190_25:
	s_and_not1_saveexec_b32 s6, s6
	s_cbranch_execz .LBB190_27
; %bb.26:
	s_lshl_b64 s[22:23], s[16:17], 8
	v_add_nc_u32_e32 v10, 0x2100, v5
	v_add_co_u32 v6, vcc_lo, v2, s22
	v_add_co_ci_u32_e32 v7, vcc_lo, s23, v3, vcc_lo
	flat_load_b128 v[6:9], v[6:7]
	s_waitcnt vmcnt(0) lgkmcnt(0)
	ds_store_2addr_b64 v10, v[6:7], v[8:9] offset1:1
.LBB190_27:
	s_or_b32 exec_lo, exec_lo, s6
	v_add_nc_u32_e32 v6, 24, v11
	s_mov_b32 s6, exec_lo
	s_delay_alu instid0(VALU_DEP_1)
	v_cmpx_le_i32_e64 s12, v6
	s_xor_b32 s6, exec_lo, s6
	s_cbranch_execz .LBB190_29
; %bb.28:
	v_mov_b32_e32 v6, 0
	s_delay_alu instid0(VALU_DEP_1)
	v_mov_b32_e32 v7, v6
	v_mov_b32_e32 v8, v6
	;; [unrolled: 1-line block ×3, first 2 shown]
	ds_store_b128 v5, v[6:9] offset:12672
                                        ; implicit-def: $vgpr5
.LBB190_29:
	s_and_not1_saveexec_b32 s6, s6
	s_cbranch_execz .LBB190_31
; %bb.30:
	v_mad_u64_u32 v[6:7], null, 0x180, s16, v[2:3]
	v_add_nc_u32_e32 v5, 0x3180, v5
	s_delay_alu instid0(VALU_DEP_2) | instskip(NEXT) | instid1(VALU_DEP_1)
	v_mad_u64_u32 v[8:9], null, 0x180, s17, v[7:8]
	v_mov_b32_e32 v7, v8
	flat_load_b128 v[6:9], v[6:7]
	s_waitcnt vmcnt(0) lgkmcnt(0)
	ds_store_2addr_b64 v5, v[6:7], v[8:9] offset1:1
.LBB190_31:
	s_or_b32 exec_lo, exec_lo, s6
	v_add_co_u32 v2, vcc_lo, v2, v13
	v_add_co_ci_u32_e32 v3, vcc_lo, 0, v3, vcc_lo
	s_delay_alu instid0(VALU_DEP_2) | instskip(NEXT) | instid1(VALU_DEP_2)
	v_sub_co_u32 v2, vcc_lo, v2, s4
	v_subrev_co_ci_u32_e32 v3, vcc_lo, s5, v3, vcc_lo
	s_delay_alu instid0(VALU_DEP_2) | instskip(NEXT) | instid1(VALU_DEP_2)
	v_add_co_u32 v2, vcc_lo, v2, 16
	v_add_co_ci_u32_e32 v3, vcc_lo, 0, v3, vcc_lo
	s_delay_alu instid0(VALU_DEP_2) | instskip(NEXT) | instid1(VALU_DEP_2)
	v_cndmask_b32_e64 v5, v2, v0, s3
	v_cndmask_b32_e64 v6, v3, v1, s3
	s_branch .LBB190_34
.LBB190_32:
                                        ; implicit-def: $vgpr5_vgpr6
	s_and_b32 vcc_lo, exec_lo, s5
	s_cbranch_vccz .LBB190_34
; %bb.33:
	flat_load_b128 v[5:8], v[0:1]
	s_lshl_b64 s[4:5], s[16:17], 7
	v_add_lshl_u32 v14, v12, v4, 4
	v_add_co_u32 v2, vcc_lo, v0, s4
	v_add_co_ci_u32_e32 v3, vcc_lo, s5, v1, vcc_lo
	s_delay_alu instid0(VALU_DEP_3)
	v_add_nc_u32_e32 v9, 0x1080, v14
	s_waitcnt vmcnt(0) lgkmcnt(0)
	ds_store_2addr_b64 v14, v[5:6], v[7:8] offset1:1
	flat_load_b128 v[5:8], v[2:3]
	v_add_co_u32 v2, vcc_lo, v2, s4
	v_add_co_ci_u32_e32 v3, vcc_lo, s5, v3, vcc_lo
	s_waitcnt vmcnt(0) lgkmcnt(0)
	ds_store_2addr_b64 v9, v[5:6], v[7:8] offset1:1
	flat_load_b128 v[5:8], v[2:3]
	v_mad_u64_u32 v[2:3], null, 0x180, s16, v[0:1]
	s_delay_alu instid0(VALU_DEP_1) | instskip(NEXT) | instid1(VALU_DEP_1)
	v_mad_u64_u32 v[9:10], null, 0x180, s17, v[3:4]
	v_dual_mov_b32 v3, v9 :: v_dual_add_nc_u32 v10, 0x2100, v14
	s_waitcnt vmcnt(0) lgkmcnt(0)
	ds_store_2addr_b64 v10, v[5:6], v[7:8] offset1:1
	flat_load_b128 v[7:10], v[2:3]
	v_mov_b32_e32 v6, v1
	v_dual_mov_b32 v5, v0 :: v_dual_add_nc_u32 v2, 0x3180, v14
	s_waitcnt vmcnt(0) lgkmcnt(0)
	ds_store_2addr_b64 v2, v[7:8], v[9:10] offset1:1
.LBB190_34:
	v_lshlrev_b32_e32 v0, 2, v11
	v_mul_u32_u24_e32 v14, 33, v4
	v_mul_u32_u24_e32 v1, 0x84, v11
	s_waitcnt lgkmcnt(0)
	s_waitcnt_vscnt null, 0x0
	s_barrier
	v_cmp_gt_u32_e64 s4, v0, v4
	v_add_lshl_u32 v17, v0, v14, 4
	buffer_gl0_inv
	s_and_saveexec_b32 s3, s4
	s_cbranch_execz .LBB190_36
; %bb.35:
	v_add_lshl_u32 v2, v1, v4, 4
	ds_load_b128 v[7:10], v2
	s_waitcnt lgkmcnt(0)
	ds_store_b128 v17, v[7:10]
.LBB190_36:
	s_or_b32 exec_lo, exec_lo, s3
	v_cmp_ge_u32_e64 s5, v0, v4
	s_delay_alu instid0(VALU_DEP_1)
	s_and_saveexec_b32 s3, s5
	s_cbranch_execz .LBB190_38
; %bb.37:
	v_or_b32_e32 v2, 1, v0
	s_delay_alu instid0(VALU_DEP_1) | instskip(NEXT) | instid1(VALU_DEP_1)
	v_mul_u32_u24_e32 v2, 33, v2
	v_add_lshl_u32 v2, v2, v4, 4
	ds_load_b128 v[7:10], v2
	s_waitcnt lgkmcnt(0)
	ds_store_b128 v17, v[7:10] offset:16
.LBB190_38:
	s_or_b32 exec_lo, exec_lo, s3
	v_or_b32_e32 v2, 2, v0
	s_delay_alu instid0(VALU_DEP_1) | instskip(NEXT) | instid1(VALU_DEP_1)
	v_cmp_gt_u32_e64 s6, v2, v4
	s_and_saveexec_b32 s3, s6
	s_cbranch_execz .LBB190_40
; %bb.39:
	v_mul_u32_u24_e32 v2, 33, v2
	s_delay_alu instid0(VALU_DEP_1)
	v_add_lshl_u32 v2, v2, v4, 4
	ds_load_b128 v[7:10], v2
	s_waitcnt lgkmcnt(0)
	ds_store_b128 v17, v[7:10] offset:32
.LBB190_40:
	s_or_b32 exec_lo, exec_lo, s3
	v_or_b32_e32 v2, 3, v0
	s_delay_alu instid0(VALU_DEP_1) | instskip(SKIP_1) | instid1(VALU_DEP_2)
	v_mad_u32_u24 v3, v2, 33, v4
	v_cmp_gt_u32_e64 s7, v2, v4
	v_lshlrev_b32_e32 v16, 4, v3
	s_delay_alu instid0(VALU_DEP_2)
	s_and_saveexec_b32 s3, s7
	s_cbranch_execz .LBB190_42
; %bb.41:
	ds_load_b128 v[7:10], v16
	s_waitcnt lgkmcnt(0)
	ds_store_b128 v17, v[7:10] offset:48
.LBB190_42:
	s_or_b32 exec_lo, exec_lo, s3
	v_lshlrev_b32_e32 v18, 4, v0
	v_add_lshl_u32 v15, v1, v4, 4
	s_waitcnt lgkmcnt(0)
	s_barrier
	buffer_gl0_inv
	ds_load_b128 v[0:3], v18 offset:18176
	ds_load_b128 v[7:10], v15
	v_add_nc_u32_e32 v24, 0xfffffbe0, v16
	ds_load_b128 v[19:22], v24
	ds_load_b128 v[25:28], v24 offset:528
	ds_load_b128 v[29:32], v18 offset:18192
	;; [unrolled: 1-line block ×3, first 2 shown]
	v_cmp_gt_u32_e64 s3, 32, v42
	s_waitcnt lgkmcnt(4)
	v_mul_f64 v[33:34], v[2:3], v[9:10]
	v_mul_f64 v[9:10], v[0:1], v[9:10]
	s_waitcnt lgkmcnt(1)
	v_mul_f64 v[40:41], v[31:32], v[21:22]
	v_mul_f64 v[21:22], v[29:30], v[21:22]
	s_delay_alu instid0(VALU_DEP_4) | instskip(NEXT) | instid1(VALU_DEP_4)
	v_fma_f64 v[0:1], v[0:1], v[7:8], -v[33:34]
	v_fma_f64 v[2:3], v[2:3], v[7:8], v[9:10]
	s_waitcnt lgkmcnt(0)
	v_mul_f64 v[33:34], v[45:46], v[27:28]
	v_mul_f64 v[27:28], v[43:44], v[27:28]
	v_fma_f64 v[29:30], v[29:30], v[19:20], -v[40:41]
	v_fma_f64 v[19:20], v[31:32], v[19:20], v[21:22]
	v_add_f64 v[21:22], v[0:1], 0
	v_add_f64 v[31:32], v[2:3], 0
	ds_load_b128 v[0:3], v18 offset:18224
	ds_load_b128 v[7:10], v16
	v_fma_f64 v[33:34], v[43:44], v[25:26], -v[33:34]
	v_fma_f64 v[25:26], v[45:46], v[25:26], v[27:28]
	v_add_lshl_u32 v44, v11, v14, 4
	s_waitcnt lgkmcnt(0)
	s_barrier
	buffer_gl0_inv
	v_lshlrev_b32_e32 v43, 4, v14
	v_mul_f64 v[40:41], v[2:3], v[9:10]
	v_mul_f64 v[9:10], v[0:1], v[9:10]
	v_add_f64 v[21:22], v[21:22], v[29:30]
	v_add_f64 v[19:20], v[31:32], v[19:20]
	s_delay_alu instid0(VALU_DEP_4) | instskip(NEXT) | instid1(VALU_DEP_4)
	v_fma_f64 v[0:1], v[0:1], v[7:8], -v[40:41]
	v_fma_f64 v[2:3], v[2:3], v[7:8], v[9:10]
	s_delay_alu instid0(VALU_DEP_4) | instskip(NEXT) | instid1(VALU_DEP_4)
	v_add_f64 v[7:8], v[21:22], v[33:34]
	v_add_f64 v[9:10], v[19:20], v[25:26]
	s_delay_alu instid0(VALU_DEP_2) | instskip(NEXT) | instid1(VALU_DEP_2)
	v_add_f64 v[7:8], v[7:8], v[0:1]
	v_add_f64 v[9:10], v[9:10], v[2:3]
	v_mov_b32_e32 v0, 0
	v_mov_b32_e32 v1, 0
	s_delay_alu instid0(VALU_DEP_1)
	v_dual_mov_b32 v3, v1 :: v_dual_mov_b32 v2, v0
	ds_store_b128 v44, v[7:10]
	s_waitcnt lgkmcnt(0)
	s_barrier
	buffer_gl0_inv
	s_and_saveexec_b32 s8, s3
	s_cbranch_execz .LBB190_44
; %bb.43:
	ds_load_b128 v[0:3], v43
	ds_load_b128 v[7:10], v43 offset:16
	s_waitcnt lgkmcnt(0)
	v_add_f64 v[19:20], v[7:8], v[0:1]
	v_add_f64 v[21:22], v[9:10], v[2:3]
	ds_load_b128 v[0:3], v43 offset:32
	ds_load_b128 v[7:10], v43 offset:48
	s_waitcnt lgkmcnt(1)
	v_add_f64 v[0:1], v[19:20], v[0:1]
	v_add_f64 v[2:3], v[21:22], v[2:3]
	s_waitcnt lgkmcnt(0)
	s_delay_alu instid0(VALU_DEP_2) | instskip(NEXT) | instid1(VALU_DEP_2)
	v_add_f64 v[19:20], v[0:1], v[7:8]
	v_add_f64 v[21:22], v[2:3], v[9:10]
	ds_load_b128 v[0:3], v43 offset:64
	ds_load_b128 v[7:10], v43 offset:80
	s_waitcnt lgkmcnt(1)
	v_add_f64 v[0:1], v[19:20], v[0:1]
	v_add_f64 v[2:3], v[21:22], v[2:3]
	s_waitcnt lgkmcnt(0)
	s_delay_alu instid0(VALU_DEP_2) | instskip(NEXT) | instid1(VALU_DEP_2)
	v_add_f64 v[19:20], v[0:1], v[7:8]
	v_add_f64 v[21:22], v[2:3], v[9:10]
	ds_load_b128 v[0:3], v43 offset:96
	ds_load_b128 v[7:10], v43 offset:112
	s_waitcnt lgkmcnt(1)
	v_add_f64 v[0:1], v[19:20], v[0:1]
	v_add_f64 v[2:3], v[21:22], v[2:3]
	s_waitcnt lgkmcnt(0)
	s_delay_alu instid0(VALU_DEP_2) | instskip(NEXT) | instid1(VALU_DEP_2)
	v_add_f64 v[0:1], v[0:1], v[7:8]
	v_add_f64 v[2:3], v[2:3], v[9:10]
.LBB190_44:
	s_or_b32 exec_lo, exec_lo, s8
	s_lshl_b64 s[22:23], s[16:17], 9
	s_delay_alu instid0(SALU_CYCLE_1) | instskip(SKIP_2) | instid1(VALU_DEP_2)
	v_add_co_u32 v9, vcc_lo, v5, s22
	v_add_co_ci_u32_e32 v10, vcc_lo, s23, v6, vcc_lo
	s_barrier
	v_add_co_u32 v7, vcc_lo, 0x200, v9
	s_delay_alu instid0(VALU_DEP_2)
	v_add_co_ci_u32_e32 v8, vcc_lo, 0, v10, vcc_lo
	s_and_b32 vcc_lo, exec_lo, s26
	buffer_gl0_inv
	s_cbranch_vccz .LBB190_62
; %bb.45:
	v_or_b32_e32 v5, 32, v4
	s_ashr_i32 s13, s12, 31
	s_delay_alu instid0(SALU_CYCLE_1) | instskip(SKIP_1) | instid1(VALU_DEP_1)
	s_lshl_b64 s[22:23], s[12:13], 4
	s_sub_i32 s13, s12, 32
	v_lshlrev_b32_e32 v6, 4, v5
	v_cmp_le_i32_e64 s8, s13, v11
	s_delay_alu instid0(VALU_DEP_2) | instskip(SKIP_1) | instid1(VALU_DEP_2)
	v_sub_co_u32 v6, vcc_lo, v7, v6
	v_subrev_co_ci_u32_e32 v19, vcc_lo, 0, v8, vcc_lo
	v_add_co_u32 v6, vcc_lo, v6, s22
	s_delay_alu instid0(VALU_DEP_2) | instskip(NEXT) | instid1(VALU_DEP_2)
	v_add_co_ci_u32_e32 v19, vcc_lo, s23, v19, vcc_lo
	v_add_co_u32 v20, vcc_lo, v6, -16
	s_delay_alu instid0(VALU_DEP_2) | instskip(SKIP_2) | instid1(VALU_DEP_3)
	v_add_co_ci_u32_e32 v6, vcc_lo, -1, v19, vcc_lo
	v_cmp_gt_i32_e32 vcc_lo, s12, v5
	v_add_lshl_u32 v19, v12, v4, 4
	v_dual_cndmask_b32 v5, v20, v7 :: v_dual_cndmask_b32 v6, v6, v8
	s_and_saveexec_b32 s27, s8
	s_delay_alu instid0(SALU_CYCLE_1)
	s_xor_b32 s8, exec_lo, s27
	s_cbranch_execz .LBB190_47
; %bb.46:
	v_mov_b32_e32 v20, 0
	s_delay_alu instid0(VALU_DEP_1)
	v_mov_b32_e32 v21, v20
	v_mov_b32_e32 v22, v20
	;; [unrolled: 1-line block ×3, first 2 shown]
	ds_store_b128 v19, v[20:23]
.LBB190_47:
	s_and_not1_saveexec_b32 s8, s8
	s_cbranch_execz .LBB190_49
; %bb.48:
	flat_load_b128 v[20:23], v[5:6]
	s_waitcnt vmcnt(0) lgkmcnt(0)
	ds_store_2addr_b64 v19, v[20:21], v[22:23] offset1:1
.LBB190_49:
	s_or_b32 exec_lo, exec_lo, s8
	v_add_nc_u32_e32 v20, 8, v11
	s_delay_alu instid0(VALU_DEP_1) | instskip(NEXT) | instid1(VALU_DEP_1)
	v_cmp_le_i32_e64 s8, s13, v20
	s_and_saveexec_b32 s27, s8
	s_delay_alu instid0(SALU_CYCLE_1)
	s_xor_b32 s8, exec_lo, s27
	s_cbranch_execz .LBB190_51
; %bb.50:
	v_mul_u32_u24_e32 v21, 33, v20
	v_mov_b32_e32 v20, 0
	s_delay_alu instid0(VALU_DEP_2) | instskip(NEXT) | instid1(VALU_DEP_2)
	v_add_lshl_u32 v25, v21, v4, 4
	v_mov_b32_e32 v21, v20
	v_mov_b32_e32 v22, v20
	;; [unrolled: 1-line block ×3, first 2 shown]
	ds_store_b128 v25, v[20:23]
.LBB190_51:
	s_and_not1_saveexec_b32 s27, s8
	s_cbranch_execz .LBB190_53
; %bb.52:
	s_lshl_b64 s[28:29], s[16:17], 7
	v_add_nc_u32_e32 v25, 0x1080, v19
	v_add_co_u32 v20, s8, v5, s28
	s_delay_alu instid0(VALU_DEP_1)
	v_add_co_ci_u32_e64 v21, s8, s29, v6, s8
	flat_load_b128 v[20:23], v[20:21]
	s_waitcnt vmcnt(0) lgkmcnt(0)
	ds_store_2addr_b64 v25, v[20:21], v[22:23] offset1:1
.LBB190_53:
	s_or_b32 exec_lo, exec_lo, s27
	v_add_nc_u32_e32 v20, 16, v11
	s_delay_alu instid0(VALU_DEP_1) | instskip(NEXT) | instid1(VALU_DEP_1)
	v_cmp_le_i32_e64 s8, s13, v20
	s_and_saveexec_b32 s27, s8
	s_delay_alu instid0(SALU_CYCLE_1)
	s_xor_b32 s8, exec_lo, s27
	s_cbranch_execz .LBB190_55
; %bb.54:
	v_mov_b32_e32 v20, 0
	s_delay_alu instid0(VALU_DEP_1)
	v_mov_b32_e32 v21, v20
	v_mov_b32_e32 v22, v20
	;; [unrolled: 1-line block ×3, first 2 shown]
	ds_store_b128 v19, v[20:23] offset:8448
.LBB190_55:
	s_and_not1_saveexec_b32 s27, s8
	s_cbranch_execz .LBB190_57
; %bb.56:
	s_lshl_b64 s[28:29], s[16:17], 8
	v_add_nc_u32_e32 v25, 0x2100, v19
	v_add_co_u32 v20, s8, v5, s28
	s_delay_alu instid0(VALU_DEP_1)
	v_add_co_ci_u32_e64 v21, s8, s29, v6, s8
	flat_load_b128 v[20:23], v[20:21]
	s_waitcnt vmcnt(0) lgkmcnt(0)
	ds_store_2addr_b64 v25, v[20:21], v[22:23] offset1:1
.LBB190_57:
	s_or_b32 exec_lo, exec_lo, s27
	v_add_nc_u32_e32 v20, 24, v11
	s_delay_alu instid0(VALU_DEP_1) | instskip(NEXT) | instid1(VALU_DEP_1)
	v_cmp_le_i32_e64 s8, s13, v20
	s_and_saveexec_b32 s13, s8
	s_delay_alu instid0(SALU_CYCLE_1)
	s_xor_b32 s8, exec_lo, s13
	s_cbranch_execz .LBB190_59
; %bb.58:
	v_mov_b32_e32 v20, 0
	s_delay_alu instid0(VALU_DEP_1)
	v_mov_b32_e32 v21, v20
	v_mov_b32_e32 v22, v20
	;; [unrolled: 1-line block ×3, first 2 shown]
	ds_store_b128 v19, v[20:23] offset:12672
                                        ; implicit-def: $vgpr19
.LBB190_59:
	s_and_not1_saveexec_b32 s8, s8
	s_cbranch_execz .LBB190_61
; %bb.60:
	v_mad_u64_u32 v[20:21], null, 0x180, s16, v[5:6]
	v_add_nc_u32_e32 v19, 0x3180, v19
	s_delay_alu instid0(VALU_DEP_2) | instskip(NEXT) | instid1(VALU_DEP_1)
	v_mad_u64_u32 v[22:23], null, 0x180, s17, v[21:22]
	v_mov_b32_e32 v21, v22
	flat_load_b128 v[20:23], v[20:21]
	s_waitcnt vmcnt(0) lgkmcnt(0)
	ds_store_2addr_b64 v19, v[20:21], v[22:23] offset1:1
.LBB190_61:
	s_or_b32 exec_lo, exec_lo, s8
	v_add_co_u32 v5, s8, v5, v13
	s_delay_alu instid0(VALU_DEP_1) | instskip(NEXT) | instid1(VALU_DEP_2)
	v_add_co_ci_u32_e64 v6, s8, 0, v6, s8
	v_sub_co_u32 v5, s8, v5, s22
	s_delay_alu instid0(VALU_DEP_1) | instskip(NEXT) | instid1(VALU_DEP_2)
	v_subrev_co_ci_u32_e64 v6, s8, s23, v6, s8
	v_add_co_u32 v5, s8, 0x210, v5
	s_delay_alu instid0(VALU_DEP_1) | instskip(NEXT) | instid1(VALU_DEP_1)
	v_add_co_ci_u32_e64 v6, s8, 0, v6, s8
	v_dual_cndmask_b32 v5, v5, v7 :: v_dual_cndmask_b32 v6, v6, v8
	s_branch .LBB190_64
.LBB190_62:
                                        ; implicit-def: $vgpr5_vgpr6
	s_cbranch_execz .LBB190_64
; %bb.63:
	flat_load_b128 v[19:22], v[7:8]
	s_lshl_b64 s[22:23], s[16:17], 7
	v_add_lshl_u32 v23, v12, v4, 4
	v_add_co_u32 v5, vcc_lo, v9, s22
	v_add_co_ci_u32_e32 v6, vcc_lo, s23, v10, vcc_lo
	s_delay_alu instid0(VALU_DEP_3)
	v_add_nc_u32_e32 v25, 0x1080, v23
	s_waitcnt vmcnt(0) lgkmcnt(0)
	ds_store_2addr_b64 v23, v[19:20], v[21:22] offset1:1
	flat_load_b128 v[19:22], v[5:6] offset:512
	v_add_co_u32 v5, vcc_lo, v5, s22
	v_add_co_ci_u32_e32 v6, vcc_lo, s23, v6, vcc_lo
	s_waitcnt vmcnt(0) lgkmcnt(0)
	ds_store_2addr_b64 v25, v[19:20], v[21:22] offset1:1
	flat_load_b128 v[19:22], v[5:6] offset:512
	v_mad_u64_u32 v[5:6], null, 0x180, s16, v[9:10]
	s_delay_alu instid0(VALU_DEP_1) | instskip(SKIP_1) | instid1(VALU_DEP_2)
	v_mad_u64_u32 v[9:10], null, 0x180, s17, v[6:7]
	v_add_nc_u32_e32 v10, 0x2100, v23
	v_dual_mov_b32 v6, v9 :: v_dual_add_nc_u32 v9, 0x3180, v23
	s_waitcnt vmcnt(0) lgkmcnt(0)
	ds_store_2addr_b64 v10, v[19:20], v[21:22] offset1:1
	flat_load_b128 v[19:22], v[5:6] offset:512
	v_dual_mov_b32 v5, v7 :: v_dual_mov_b32 v6, v8
	s_waitcnt vmcnt(0) lgkmcnt(0)
	ds_store_2addr_b64 v9, v[19:20], v[21:22] offset1:1
.LBB190_64:
	s_waitcnt lgkmcnt(0)
	s_barrier
	buffer_gl0_inv
	s_and_saveexec_b32 s8, s4
	s_cbranch_execnz .LBB190_89
; %bb.65:
	s_or_b32 exec_lo, exec_lo, s8
	s_and_saveexec_b32 s4, s5
	s_cbranch_execnz .LBB190_90
.LBB190_66:
	s_or_b32 exec_lo, exec_lo, s4
	s_and_saveexec_b32 s4, s6
	s_cbranch_execnz .LBB190_91
.LBB190_67:
	s_or_b32 exec_lo, exec_lo, s4
	v_add_nc_u32_e32 v25, 0x4700, v18
	s_and_saveexec_b32 s4, s7
	s_cbranch_execz .LBB190_69
.LBB190_68:
	ds_load_b128 v[7:10], v16
	s_waitcnt lgkmcnt(0)
	ds_store_b128 v17, v[7:10] offset:48
.LBB190_69:
	s_or_b32 exec_lo, exec_lo, s4
	s_waitcnt lgkmcnt(0)
	s_barrier
	buffer_gl0_inv
	ds_load_b128 v[7:10], v25 offset:512
	ds_load_b128 v[17:20], v15
	v_cmp_eq_u32_e64 s4, 1, v11
	s_waitcnt lgkmcnt(0)
	v_mul_f64 v[34:35], v[9:10], v[19:20]
	v_mul_f64 v[40:41], v[7:8], v[19:20]
	ds_load_b128 v[19:22], v24
	ds_load_b128 v[26:29], v25 offset:528
	ds_load_b128 v[30:33], v25 offset:544
	s_waitcnt lgkmcnt(1)
	v_mul_f64 v[49:50], v[28:29], v[21:22]
	v_mul_f64 v[21:22], v[26:27], v[21:22]
	v_fma_f64 v[34:35], v[7:8], v[17:18], -v[34:35]
	v_fma_f64 v[17:18], v[9:10], v[17:18], v[40:41]
	ds_load_b128 v[7:10], v24 offset:528
	ds_load_b128 v[45:48], v16
	s_waitcnt lgkmcnt(1)
	v_mul_f64 v[40:41], v[32:33], v[9:10]
	v_mul_f64 v[9:10], v[30:31], v[9:10]
	v_fma_f64 v[26:27], v[26:27], v[19:20], -v[49:50]
	v_fma_f64 v[21:22], v[28:29], v[19:20], v[21:22]
	v_add_f64 v[28:29], v[34:35], 0
	v_add_f64 v[34:35], v[17:18], 0
	ds_load_b128 v[17:20], v25 offset:560
	s_waitcnt lgkmcnt(0)
	s_barrier
	buffer_gl0_inv
	v_fma_f64 v[30:31], v[30:31], v[7:8], -v[40:41]
	v_mul_f64 v[49:50], v[19:20], v[47:48]
	v_mul_f64 v[47:48], v[17:18], v[47:48]
	v_fma_f64 v[7:8], v[32:33], v[7:8], v[9:10]
	v_add_f64 v[9:10], v[28:29], v[26:27]
	v_add_f64 v[21:22], v[34:35], v[21:22]
	v_fma_f64 v[17:18], v[17:18], v[45:46], -v[49:50]
	v_fma_f64 v[19:20], v[19:20], v[45:46], v[47:48]
	s_delay_alu instid0(VALU_DEP_4) | instskip(NEXT) | instid1(VALU_DEP_4)
	v_add_f64 v[9:10], v[9:10], v[30:31]
	v_add_f64 v[21:22], v[21:22], v[7:8]
	s_delay_alu instid0(VALU_DEP_2) | instskip(NEXT) | instid1(VALU_DEP_2)
	v_add_f64 v[7:8], v[9:10], v[17:18]
	v_add_f64 v[9:10], v[21:22], v[19:20]
	ds_store_b128 v44, v[7:10]
	s_waitcnt lgkmcnt(0)
	s_barrier
	buffer_gl0_inv
	s_and_saveexec_b32 s5, s4
	s_cbranch_execz .LBB190_71
; %bb.70:
	ds_load_b128 v[0:3], v43
	ds_load_b128 v[7:10], v43 offset:16
	s_waitcnt lgkmcnt(0)
	v_add_f64 v[17:18], v[7:8], v[0:1]
	v_add_f64 v[19:20], v[9:10], v[2:3]
	ds_load_b128 v[0:3], v43 offset:32
	ds_load_b128 v[7:10], v43 offset:48
	s_waitcnt lgkmcnt(1)
	v_add_f64 v[0:1], v[17:18], v[0:1]
	v_add_f64 v[2:3], v[19:20], v[2:3]
	s_waitcnt lgkmcnt(0)
	s_delay_alu instid0(VALU_DEP_2) | instskip(NEXT) | instid1(VALU_DEP_2)
	v_add_f64 v[17:18], v[0:1], v[7:8]
	v_add_f64 v[19:20], v[2:3], v[9:10]
	ds_load_b128 v[0:3], v43 offset:64
	ds_load_b128 v[7:10], v43 offset:80
	s_waitcnt lgkmcnt(1)
	v_add_f64 v[0:1], v[17:18], v[0:1]
	v_add_f64 v[2:3], v[19:20], v[2:3]
	s_waitcnt lgkmcnt(0)
	s_delay_alu instid0(VALU_DEP_2) | instskip(NEXT) | instid1(VALU_DEP_2)
	;; [unrolled: 9-line block ×3, first 2 shown]
	v_add_f64 v[0:1], v[0:1], v[7:8]
	v_add_f64 v[2:3], v[2:3], v[9:10]
.LBB190_71:
	s_or_b32 exec_lo, exec_lo, s5
	v_add_co_u32 v5, vcc_lo, 0xfffffe00, v5
	v_add_co_ci_u32_e32 v6, vcc_lo, -1, v6, vcc_lo
	s_and_b32 vcc_lo, exec_lo, s26
	s_barrier
	buffer_gl0_inv
	s_cbranch_vccz .LBB190_92
; %bb.72:
	v_sub_co_u32 v7, vcc_lo, v5, v13
	s_ashr_i32 s13, s12, 31
	v_subrev_co_ci_u32_e32 v8, vcc_lo, 0, v6, vcc_lo
	s_lshl_b64 s[6:7], s[12:13], 4
	s_sub_i32 s8, s12, 32
	v_add_co_u32 v7, vcc_lo, v7, s6
	s_delay_alu instid0(VALU_DEP_2) | instskip(SKIP_1) | instid1(VALU_DEP_3)
	v_add_co_ci_u32_e32 v8, vcc_lo, s7, v8, vcc_lo
	v_cmp_le_i32_e64 s5, s8, v11
	v_add_co_u32 v7, vcc_lo, v7, -16
	s_delay_alu instid0(VALU_DEP_3) | instskip(SKIP_2) | instid1(VALU_DEP_3)
	v_add_co_ci_u32_e32 v8, vcc_lo, -1, v8, vcc_lo
	v_cmp_gt_i32_e32 vcc_lo, s12, v4
	v_add_lshl_u32 v18, v12, v4, 4
	v_dual_cndmask_b32 v8, v8, v6 :: v_dual_cndmask_b32 v7, v7, v5
	s_and_saveexec_b32 s13, s5
	s_delay_alu instid0(SALU_CYCLE_1)
	s_xor_b32 s5, exec_lo, s13
	s_cbranch_execz .LBB190_74
; %bb.73:
	v_mov_b32_e32 v19, 0
	s_delay_alu instid0(VALU_DEP_1)
	v_mov_b32_e32 v20, v19
	v_mov_b32_e32 v21, v19
	;; [unrolled: 1-line block ×3, first 2 shown]
	ds_store_b128 v18, v[19:22]
.LBB190_74:
	s_and_not1_saveexec_b32 s5, s5
	s_cbranch_execz .LBB190_76
; %bb.75:
	flat_load_b128 v[19:22], v[7:8]
	s_waitcnt vmcnt(0) lgkmcnt(0)
	ds_store_2addr_b64 v18, v[19:20], v[21:22] offset1:1
.LBB190_76:
	s_or_b32 exec_lo, exec_lo, s5
	v_add_nc_u32_e32 v9, 8, v11
	s_delay_alu instid0(VALU_DEP_1) | instskip(NEXT) | instid1(VALU_DEP_1)
	v_cmp_le_i32_e64 s5, s8, v9
	s_and_saveexec_b32 s13, s5
	s_delay_alu instid0(SALU_CYCLE_1)
	s_xor_b32 s5, exec_lo, s13
	s_cbranch_execz .LBB190_78
; %bb.77:
	v_mul_u32_u24_e32 v10, 33, v9
	v_mov_b32_e32 v19, 0
	s_delay_alu instid0(VALU_DEP_2) | instskip(NEXT) | instid1(VALU_DEP_2)
	v_add_lshl_u32 v10, v10, v4, 4
	v_mov_b32_e32 v20, v19
	v_mov_b32_e32 v21, v19
	;; [unrolled: 1-line block ×3, first 2 shown]
	ds_store_b128 v10, v[19:22]
.LBB190_78:
	s_and_not1_saveexec_b32 s13, s5
	s_cbranch_execz .LBB190_80
; %bb.79:
	s_lshl_b64 s[22:23], s[16:17], 7
	v_add_nc_u32_e32 v10, 0x1080, v18
	v_add_co_u32 v19, s5, v7, s22
	s_delay_alu instid0(VALU_DEP_1)
	v_add_co_ci_u32_e64 v20, s5, s23, v8, s5
	flat_load_b128 v[19:22], v[19:20]
	s_waitcnt vmcnt(0) lgkmcnt(0)
	ds_store_2addr_b64 v10, v[19:20], v[21:22] offset1:1
.LBB190_80:
	s_or_b32 exec_lo, exec_lo, s13
	v_add_nc_u32_e32 v10, 16, v11
	s_delay_alu instid0(VALU_DEP_1) | instskip(NEXT) | instid1(VALU_DEP_1)
	v_cmp_le_i32_e64 s5, s8, v10
	s_and_saveexec_b32 s13, s5
	s_delay_alu instid0(SALU_CYCLE_1)
	s_xor_b32 s5, exec_lo, s13
	s_cbranch_execz .LBB190_82
; %bb.81:
	v_mov_b32_e32 v19, 0
	s_delay_alu instid0(VALU_DEP_1)
	v_mov_b32_e32 v20, v19
	v_mov_b32_e32 v21, v19
	;; [unrolled: 1-line block ×3, first 2 shown]
	ds_store_b128 v18, v[19:22] offset:8448
.LBB190_82:
	s_and_not1_saveexec_b32 s13, s5
	s_cbranch_execz .LBB190_84
; %bb.83:
	s_lshl_b64 s[22:23], s[16:17], 8
	v_add_nc_u32_e32 v17, 0x2100, v18
	v_add_co_u32 v19, s5, v7, s22
	s_delay_alu instid0(VALU_DEP_1)
	v_add_co_ci_u32_e64 v20, s5, s23, v8, s5
	flat_load_b128 v[19:22], v[19:20]
	s_waitcnt vmcnt(0) lgkmcnt(0)
	ds_store_2addr_b64 v17, v[19:20], v[21:22] offset1:1
.LBB190_84:
	s_or_b32 exec_lo, exec_lo, s13
	v_add_nc_u32_e32 v17, 24, v11
	s_delay_alu instid0(VALU_DEP_1) | instskip(NEXT) | instid1(VALU_DEP_1)
	v_cmp_le_i32_e64 s5, s8, v17
	s_and_saveexec_b32 s8, s5
	s_delay_alu instid0(SALU_CYCLE_1)
	s_xor_b32 s5, exec_lo, s8
	s_cbranch_execz .LBB190_86
; %bb.85:
	v_mov_b32_e32 v19, 0
	s_delay_alu instid0(VALU_DEP_1)
	v_mov_b32_e32 v20, v19
	v_mov_b32_e32 v21, v19
	;; [unrolled: 1-line block ×3, first 2 shown]
	ds_store_b128 v18, v[19:22] offset:12672
                                        ; implicit-def: $vgpr18
.LBB190_86:
	s_and_not1_saveexec_b32 s5, s5
	s_cbranch_execz .LBB190_88
; %bb.87:
	v_mad_u64_u32 v[19:20], null, 0x180, s16, v[7:8]
	v_add_nc_u32_e32 v18, 0x3180, v18
	s_delay_alu instid0(VALU_DEP_2) | instskip(NEXT) | instid1(VALU_DEP_1)
	v_mad_u64_u32 v[21:22], null, 0x180, s17, v[20:21]
	v_mov_b32_e32 v20, v21
	flat_load_b128 v[19:22], v[19:20]
	s_waitcnt vmcnt(0) lgkmcnt(0)
	ds_store_2addr_b64 v18, v[19:20], v[21:22] offset1:1
.LBB190_88:
	s_or_b32 exec_lo, exec_lo, s5
	v_add_co_u32 v7, s5, v7, v13
	s_delay_alu instid0(VALU_DEP_1) | instskip(NEXT) | instid1(VALU_DEP_2)
	v_add_co_ci_u32_e64 v8, s5, 0, v8, s5
	v_sub_co_u32 v7, s5, v7, s6
	s_delay_alu instid0(VALU_DEP_1) | instskip(NEXT) | instid1(VALU_DEP_2)
	v_subrev_co_ci_u32_e64 v8, s5, s7, v8, s5
	v_add_co_u32 v7, s5, v7, 16
	s_delay_alu instid0(VALU_DEP_1) | instskip(NEXT) | instid1(VALU_DEP_1)
	v_add_co_ci_u32_e64 v8, s5, 0, v8, s5
	v_dual_cndmask_b32 v40, v7, v5 :: v_dual_cndmask_b32 v41, v8, v6
	s_branch .LBB190_94
.LBB190_89:
	ds_load_b128 v[7:10], v15
	s_waitcnt lgkmcnt(0)
	ds_store_b128 v17, v[7:10]
	s_or_b32 exec_lo, exec_lo, s8
	s_and_saveexec_b32 s4, s5
	s_cbranch_execz .LBB190_66
.LBB190_90:
	ds_load_b128 v[7:10], v24
	s_waitcnt lgkmcnt(0)
	ds_store_b128 v17, v[7:10] offset:16
	s_or_b32 exec_lo, exec_lo, s4
	s_and_saveexec_b32 s4, s6
	s_cbranch_execz .LBB190_67
.LBB190_91:
	v_add_nc_u32_e32 v7, 0x210, v24
	ds_load_b128 v[7:10], v7
	s_waitcnt lgkmcnt(0)
	ds_store_b128 v17, v[7:10] offset:32
	s_or_b32 exec_lo, exec_lo, s4
	v_add_nc_u32_e32 v25, 0x4700, v18
	s_and_saveexec_b32 s4, s7
	s_cbranch_execnz .LBB190_68
	s_branch .LBB190_69
.LBB190_92:
                                        ; implicit-def: $vgpr40_vgpr41
                                        ; implicit-def: $vgpr9
                                        ; implicit-def: $vgpr10
                                        ; implicit-def: $vgpr17
	s_cbranch_execz .LBB190_94
; %bb.93:
	flat_load_b128 v[7:10], v[5:6]
	s_lshl_b64 s[6:7], s[16:17], 7
	v_add_lshl_u32 v22, v12, v4, 4
	v_add_co_u32 v12, vcc_lo, v5, s6
	v_add_co_ci_u32_e32 v13, vcc_lo, s7, v6, vcc_lo
	s_delay_alu instid0(VALU_DEP_3)
	v_dual_mov_b32 v41, v6 :: v_dual_add_nc_u32 v4, 0x1080, v22
	v_mov_b32_e32 v40, v5
	s_waitcnt vmcnt(0) lgkmcnt(0)
	ds_store_2addr_b64 v22, v[7:8], v[9:10] offset1:1
	flat_load_b128 v[7:10], v[12:13]
	v_add_co_u32 v12, vcc_lo, v12, s6
	v_add_co_ci_u32_e32 v13, vcc_lo, s7, v13, vcc_lo
	s_waitcnt vmcnt(0) lgkmcnt(0)
	ds_store_2addr_b64 v4, v[7:8], v[9:10] offset1:1
	flat_load_b128 v[7:10], v[12:13]
	v_mad_u64_u32 v[12:13], null, 0x180, s16, v[5:6]
	s_delay_alu instid0(VALU_DEP_1) | instskip(NEXT) | instid1(VALU_DEP_1)
	v_mov_b32_e32 v4, v13
	v_mad_u64_u32 v[17:18], null, 0x180, s17, v[4:5]
	s_delay_alu instid0(VALU_DEP_1)
	v_dual_mov_b32 v13, v17 :: v_dual_add_nc_u32 v4, 0x2100, v22
	v_add_nc_u32_e32 v17, 24, v11
	s_waitcnt vmcnt(0) lgkmcnt(0)
	ds_store_2addr_b64 v4, v[7:8], v[9:10] offset1:1
	flat_load_b128 v[18:21], v[12:13]
	v_add_nc_u32_e32 v9, 8, v11
	v_add_nc_u32_e32 v10, 16, v11
	;; [unrolled: 1-line block ×3, first 2 shown]
	s_waitcnt vmcnt(0) lgkmcnt(0)
	ds_store_2addr_b64 v4, v[18:19], v[20:21] offset1:1
.LBB190_94:
	v_lshlrev_b32_e32 v4, 4, v11
	s_waitcnt lgkmcnt(0)
	s_barrier
	buffer_gl0_inv
	v_add_lshl_u32 v8, v9, v14, 4
	ds_load_b128 v[18:21], v4 offset:18176
	ds_load_b128 v[26:29], v44
	ds_load_b128 v[4:7], v24 offset:528
	ds_load_b128 v[30:33], v8
	v_lshlrev_b32_e32 v8, 4, v9
	s_waitcnt lgkmcnt(2)
	v_mul_f64 v[11:12], v[28:29], v[20:21]
	v_mul_f64 v[34:35], v[26:27], v[20:21]
	ds_load_b128 v[20:23], v8 offset:18176
	v_add_lshl_u32 v8, v10, v14, 4
	v_lshlrev_b32_e32 v10, 4, v10
	ds_load_b128 v[45:48], v8
	v_fma_f64 v[11:12], v[26:27], v[18:19], -v[11:12]
	v_fma_f64 v[18:19], v[28:29], v[18:19], v[34:35]
	ds_load_b128 v[26:29], v10 offset:18176
	v_add_lshl_u32 v10, v17, v14, 4
	ds_load_b128 v[49:52], v10
	s_waitcnt lgkmcnt(3)
	v_mul_f64 v[8:9], v[32:33], v[22:23]
	v_mul_f64 v[22:23], v[30:31], v[22:23]
	s_waitcnt lgkmcnt(1)
	v_mul_f64 v[13:14], v[47:48], v[28:29]
	v_mul_f64 v[28:29], v[45:46], v[28:29]
	v_add_f64 v[34:35], v[18:19], 0
	v_fma_f64 v[30:31], v[30:31], v[20:21], -v[8:9]
	v_fma_f64 v[21:22], v[32:33], v[20:21], v[22:23]
	v_add_f64 v[32:33], v[11:12], 0
	v_lshlrev_b32_e32 v8, 4, v17
	ds_load_b128 v[17:20], v8 offset:18176
	ds_load_b128 v[8:11], v16
	v_fma_f64 v[12:13], v[45:46], v[26:27], -v[13:14]
	v_fma_f64 v[26:27], v[47:48], v[26:27], v[28:29]
	s_waitcnt lgkmcnt(1)
	v_mul_f64 v[53:54], v[51:52], v[19:20]
	v_mul_f64 v[19:20], v[49:50], v[19:20]
	v_add_f64 v[21:22], v[34:35], v[21:22]
	v_add_f64 v[28:29], v[32:33], v[30:31]
	s_delay_alu instid0(VALU_DEP_4) | instskip(NEXT) | instid1(VALU_DEP_4)
	v_fma_f64 v[30:31], v[49:50], v[17:18], -v[53:54]
	v_fma_f64 v[16:17], v[51:52], v[17:18], v[19:20]
	s_delay_alu instid0(VALU_DEP_4) | instskip(NEXT) | instid1(VALU_DEP_4)
	v_add_f64 v[18:19], v[21:22], v[26:27]
	v_add_f64 v[12:13], v[28:29], v[12:13]
	s_delay_alu instid0(VALU_DEP_2) | instskip(NEXT) | instid1(VALU_DEP_2)
	v_add_f64 v[47:48], v[18:19], v[16:17]
	v_add_f64 v[45:46], v[12:13], v[30:31]
	ds_load_b128 v[20:23], v25 offset:528
	ds_load_b128 v[16:19], v25 offset:544
	;; [unrolled: 1-line block ×3, first 2 shown]
	ds_load_b128 v[32:35], v15
	ds_load_b128 v[12:15], v25 offset:560
	ds_load_b128 v[24:27], v24
	s_waitcnt lgkmcnt(0)
	s_barrier
	buffer_gl0_inv
	ds_store_b128 v44, v[45:48]
	s_waitcnt lgkmcnt(0)
	s_barrier
	buffer_gl0_inv
	s_and_saveexec_b32 s5, s4
	s_cbranch_execz .LBB190_96
; %bb.95:
	ds_load_b128 v[45:48], v43
	ds_load_b128 v[49:52], v43 offset:16
	s_waitcnt lgkmcnt(1)
	v_add_f64 v[0:1], v[0:1], v[45:46]
	v_add_f64 v[2:3], v[2:3], v[47:48]
	s_waitcnt lgkmcnt(0)
	s_delay_alu instid0(VALU_DEP_2) | instskip(NEXT) | instid1(VALU_DEP_2)
	v_add_f64 v[49:50], v[0:1], v[49:50]
	v_add_f64 v[51:52], v[2:3], v[51:52]
	ds_load_b128 v[0:3], v43 offset:32
	ds_load_b128 v[45:48], v43 offset:48
	s_waitcnt lgkmcnt(1)
	v_add_f64 v[0:1], v[49:50], v[0:1]
	v_add_f64 v[2:3], v[51:52], v[2:3]
	s_waitcnt lgkmcnt(0)
	s_delay_alu instid0(VALU_DEP_2) | instskip(NEXT) | instid1(VALU_DEP_2)
	v_add_f64 v[49:50], v[0:1], v[45:46]
	v_add_f64 v[51:52], v[2:3], v[47:48]
	ds_load_b128 v[0:3], v43 offset:64
	;; [unrolled: 9-line block ×3, first 2 shown]
	ds_load_b128 v[45:48], v43 offset:112
	s_waitcnt lgkmcnt(1)
	v_add_f64 v[0:1], v[49:50], v[0:1]
	v_add_f64 v[2:3], v[51:52], v[2:3]
	s_waitcnt lgkmcnt(0)
	s_delay_alu instid0(VALU_DEP_2) | instskip(NEXT) | instid1(VALU_DEP_2)
	v_add_f64 v[0:1], v[0:1], v[45:46]
	v_add_f64 v[2:3], v[2:3], v[47:48]
.LBB190_96:
	s_or_b32 exec_lo, exec_lo, s5
	v_mul_f64 v[45:46], v[30:31], v[34:35]
	v_mul_f64 v[34:35], v[28:29], v[34:35]
	;; [unrolled: 1-line block ×4, first 2 shown]
	s_barrier
	buffer_gl0_inv
	v_fma_f64 v[28:29], v[28:29], v[32:33], -v[45:46]
	v_fma_f64 v[30:31], v[30:31], v[32:33], v[34:35]
	v_mul_f64 v[32:33], v[18:19], v[6:7]
	v_mul_f64 v[6:7], v[16:17], v[6:7]
	v_fma_f64 v[20:21], v[20:21], v[24:25], -v[47:48]
	v_fma_f64 v[22:23], v[22:23], v[24:25], v[26:27]
	v_add_f64 v[24:25], v[28:29], 0
	v_add_f64 v[26:27], v[30:31], 0
	v_mul_f64 v[28:29], v[14:15], v[10:11]
	v_mul_f64 v[10:11], v[12:13], v[10:11]
	v_fma_f64 v[16:17], v[16:17], v[4:5], -v[32:33]
	v_fma_f64 v[4:5], v[18:19], v[4:5], v[6:7]
	v_add_f64 v[6:7], v[24:25], v[20:21]
	v_add_f64 v[18:19], v[26:27], v[22:23]
	v_fma_f64 v[12:13], v[12:13], v[8:9], -v[28:29]
	v_fma_f64 v[8:9], v[14:15], v[8:9], v[10:11]
	s_delay_alu instid0(VALU_DEP_4) | instskip(NEXT) | instid1(VALU_DEP_4)
	v_add_f64 v[6:7], v[6:7], v[16:17]
	v_add_f64 v[10:11], v[18:19], v[4:5]
	s_delay_alu instid0(VALU_DEP_2) | instskip(NEXT) | instid1(VALU_DEP_2)
	v_add_f64 v[4:5], v[6:7], v[12:13]
	v_add_f64 v[6:7], v[10:11], v[8:9]
	ds_store_b128 v44, v[4:7]
	s_waitcnt lgkmcnt(0)
	s_barrier
	buffer_gl0_inv
	s_and_saveexec_b32 s4, s3
	s_cbranch_execz .LBB190_98
; %bb.97:
	ds_load_b128 v[4:7], v43
	ds_load_b128 v[8:11], v43 offset:16
	s_waitcnt lgkmcnt(1)
	v_add_f64 v[0:1], v[0:1], v[4:5]
	v_add_f64 v[2:3], v[2:3], v[6:7]
	s_waitcnt lgkmcnt(0)
	s_delay_alu instid0(VALU_DEP_2) | instskip(NEXT) | instid1(VALU_DEP_2)
	v_add_f64 v[8:9], v[0:1], v[8:9]
	v_add_f64 v[10:11], v[2:3], v[10:11]
	ds_load_b128 v[0:3], v43 offset:32
	ds_load_b128 v[4:7], v43 offset:48
	s_waitcnt lgkmcnt(1)
	v_add_f64 v[0:1], v[8:9], v[0:1]
	v_add_f64 v[2:3], v[10:11], v[2:3]
	s_waitcnt lgkmcnt(0)
	s_delay_alu instid0(VALU_DEP_2) | instskip(NEXT) | instid1(VALU_DEP_2)
	v_add_f64 v[8:9], v[0:1], v[4:5]
	v_add_f64 v[10:11], v[2:3], v[6:7]
	ds_load_b128 v[0:3], v43 offset:64
	;; [unrolled: 9-line block ×3, first 2 shown]
	ds_load_b128 v[4:7], v43 offset:112
	s_waitcnt lgkmcnt(1)
	v_add_f64 v[0:1], v[8:9], v[0:1]
	v_add_f64 v[2:3], v[10:11], v[2:3]
	s_waitcnt lgkmcnt(0)
	s_delay_alu instid0(VALU_DEP_2) | instskip(NEXT) | instid1(VALU_DEP_2)
	v_add_f64 v[0:1], v[0:1], v[4:5]
	v_add_f64 v[2:3], v[2:3], v[6:7]
.LBB190_98:
	s_or_b32 exec_lo, exec_lo, s4
	s_load_b64 s[0:1], s[0:1], 0x78
	s_mul_hi_u32 s3, s24, s20
	s_mul_i32 s25, s25, s20
	s_mul_i32 s4, s24, s20
	s_add_i32 s3, s3, s25
	s_mul_hi_u32 s5, s4, s15
	s_mul_i32 s3, s3, s15
	s_mul_i32 s4, s4, s15
	s_add_i32 s5, s5, s3
	s_mul_hi_i32 s7, s24, s14
	s_lshl_b64 s[4:5], s[4:5], 4
	s_mul_i32 s6, s24, s14
	v_lshlrev_b32_e32 v185, 4, v183
	s_waitcnt lgkmcnt(0)
	s_barrier
	buffer_gl0_inv
	s_add_u32 s3, s0, s4
	s_addc_u32 s4, s1, s5
	s_lshl_b64 s[0:1], s[6:7], 4
	s_delay_alu instid0(SALU_CYCLE_1) | instskip(SKIP_2) | instid1(SALU_CYCLE_1)
	s_add_u32 s3, s3, s0
	s_addc_u32 s8, s4, s1
	s_add_i32 s0, s14, 1
	s_cmp_ge_u32 s0, s15
	s_cbranch_scc1 .LBB190_156
; %bb.99:
	scratch_load_b32 v7, off, off offset:4  ; 4-byte Folded Reload
	v_and_b32_e32 v10, 48, v183
	v_lshrrev_b32_e32 v12, 4, v42
	v_and_b32_e32 v11, 15, v183
	v_or_b32_e32 v5, 0xf0, v185
	s_mul_i32 s0, s18, s11
	v_lshlrev_b32_e32 v4, 4, v10
	v_lshlrev_b32_e32 v6, 6, v12
	s_mul_hi_u32 s1, s18, s10
	s_mul_i32 s4, s19, s10
	s_add_i32 s0, s1, s0
	v_mad_u32_u24 v191, 0x430, v11, v4
	v_mad_u32_u24 v4, 0x430, v11, v5
	;; [unrolled: 1-line block ×3, first 2 shown]
	s_add_i32 s1, s0, s4
	s_mul_i32 s0, s18, s10
	v_mul_i32_i24_e32 v16, 0xffffffd0, v12
	scratch_store_b32 off, v4, off          ; 4-byte Folded Spill
	s_lshl_b64 s[0:1], s[0:1], 4
	s_add_i32 s13, s15, -2
	v_sub_co_u32 v187, vcc_lo, v38, s0
	v_subrev_co_ci_u32_e32 v188, vcc_lo, s1, v39, vcc_lo
	v_cmp_gt_u32_e64 s0, 64, v42
	v_add_nc_u32_e32 v244, v193, v16
	s_add_i32 s18, s18, 64
	s_lshl_b64 s[4:5], s[16:17], 10
	s_waitcnt vmcnt(0)
	v_lshlrev_b32_e32 v15, 6, v7
	v_mad_u32_u24 v198, 0x10c0, v7, v185
	s_delay_alu instid0(VALU_DEP_2) | instskip(NEXT) | instid1(VALU_DEP_1)
	v_add_nc_u32_e32 v13, 0x220, v15
	v_mad_u64_u32 v[5:6], null, s16, v13, 0
	s_delay_alu instid0(VALU_DEP_1) | instskip(SKIP_1) | instid1(VALU_DEP_2)
	v_mov_b32_e32 v4, v6
	v_or_b32_e32 v211, v10, v11
	v_mad_u64_u32 v[8:9], null, s17, v13, v[4:5]
	v_mov_b32_e32 v4, 0
	v_add_nc_u32_e32 v14, 0x530, v15
	v_add_nc_u32_e32 v13, 0x210, v15
	;; [unrolled: 1-line block ×5, first 2 shown]
	s_delay_alu instid0(VALU_DEP_4) | instskip(SKIP_2) | instid1(VALU_DEP_1)
	v_mad_u64_u32 v[9:10], null, s16, v13, 0
	v_lshlrev_b32_e32 v186, 2, v7
	v_mad_u64_u32 v[6:7], null, s16, v14, 0
	v_mad_u64_u32 v[11:12], null, s17, v14, v[7:8]
	v_sub_co_u32 v7, vcc_lo, v5, v36
	v_mov_b32_e32 v5, v10
	v_sub_co_ci_u32_e32 v8, vcc_lo, v8, v37, vcc_lo
	s_delay_alu instid0(VALU_DEP_4) | instskip(NEXT) | instid1(VALU_DEP_4)
	v_dual_mov_b32 v14, v11 :: v_dual_add_nc_u32 v197, 0x4300, v15
	v_add_co_u32 v212, vcc_lo, v40, v7
	v_add_nc_u32_e32 v12, 0x500, v15
	s_delay_alu instid0(VALU_DEP_4) | instskip(SKIP_2) | instid1(VALU_DEP_4)
	v_add_co_ci_u32_e32 v213, vcc_lo, v41, v8, vcc_lo
	v_mad_u64_u32 v[7:8], null, s17, v13, v[5:6]
	v_sub_co_u32 v5, vcc_lo, v6, v36
	v_mad_u64_u32 v[10:11], null, s16, v12, 0
	v_sub_co_ci_u32_e32 v6, vcc_lo, v14, v37, vcc_lo
	s_delay_alu instid0(VALU_DEP_3) | instskip(SKIP_1) | instid1(VALU_DEP_3)
	v_add_co_u32 v214, vcc_lo, v40, v5
	v_dual_mov_b32 v8, v7 :: v_dual_add_nc_u32 v253, 16, v186
	v_add_co_ci_u32_e32 v215, vcc_lo, v41, v6, vcc_lo
	v_mad_u64_u32 v[6:7], null, s16, v17, 0
	v_mov_b32_e32 v5, v11
	v_sub_co_u32 v13, vcc_lo, v9, v36
	v_sub_co_ci_u32_e32 v14, vcc_lo, v8, v37, vcc_lo
	v_or_b32_e32 v189, 1, v186
	s_delay_alu instid0(VALU_DEP_4) | instskip(SKIP_3) | instid1(VALU_DEP_4)
	v_mad_u64_u32 v[8:9], null, s17, v12, v[5:6]
	v_mad_u64_u32 v[11:12], null, s16, v18, 0
	v_mov_b32_e32 v5, v7
	v_add_co_u32 v216, vcc_lo, v40, v13
	v_dual_mov_b32 v7, v8 :: v_dual_add_nc_u32 v190, 0x4700, v185
	v_add_co_ci_u32_e32 v217, vcc_lo, v41, v14, vcc_lo
	s_delay_alu instid0(VALU_DEP_4) | instskip(SKIP_3) | instid1(VALU_DEP_3)
	v_mad_u64_u32 v[13:14], null, s17, v17, v[5:6]
	v_dual_mov_b32 v5, v12 :: v_dual_add_nc_u32 v14, 0x230, v15
	v_sub_co_u32 v10, vcc_lo, v10, v36
	v_sub_co_ci_u32_e32 v12, vcc_lo, v7, v37, vcc_lo
	v_mad_u64_u32 v[7:8], null, s17, v18, v[5:6]
	s_delay_alu instid0(VALU_DEP_4) | instskip(NEXT) | instid1(VALU_DEP_4)
	v_mad_u64_u32 v[8:9], null, s16, v14, 0
	v_add_co_u32 v218, vcc_lo, v40, v10
	s_delay_alu instid0(VALU_DEP_4)
	v_add_co_ci_u32_e32 v219, vcc_lo, v41, v12, vcc_lo
	v_sub_co_u32 v12, vcc_lo, v6, v36
	v_mov_b32_e32 v6, v7
	v_dual_mov_b32 v5, v9 :: v_dual_add_nc_u32 v254, 17, v186
	v_sub_co_ci_u32_e32 v13, vcc_lo, v13, v37, vcc_lo
	v_sub_co_u32 v11, vcc_lo, v11, v36
	v_add_nc_u32_e32 v17, 0x320, v15
	v_sub_co_ci_u32_e32 v18, vcc_lo, v6, v37, vcc_lo
	v_mad_u64_u32 v[6:7], null, s17, v14, v[5:6]
	v_add_co_u32 v220, vcc_lo, v40, v12
	v_add_co_ci_u32_e32 v221, vcc_lo, v41, v13, vcc_lo
	v_mad_u64_u32 v[9:10], null, s16, v17, 0
	v_add_co_u32 v222, vcc_lo, v40, v11
	v_add_nc_u32_e32 v12, 0x520, v15
	v_add_co_ci_u32_e32 v223, vcc_lo, v41, v18, vcc_lo
	v_sub_co_u32 v8, vcc_lo, v8, v36
	v_sub_co_ci_u32_e32 v13, vcc_lo, v6, v37, vcc_lo
	s_delay_alu instid0(VALU_DEP_4) | instskip(SKIP_4) | instid1(VALU_DEP_4)
	v_mad_u64_u32 v[6:7], null, s16, v12, 0
	v_dual_mov_b32 v5, v10 :: v_dual_add_nc_u32 v184, 19, v186
	v_add_nc_u32_e32 v14, 0x430, v15
	v_add_nc_u32_e32 v204, 33, v186
	v_add_co_u32 v224, vcc_lo, v40, v8
	v_mad_u64_u32 v[10:11], null, s17, v17, v[5:6]
	v_mov_b32_e32 v5, v7
	v_mad_u64_u32 v[7:8], null, s16, v14, 0
	v_add_nc_u32_e32 v206, 35, v186
	v_add_co_ci_u32_e32 v225, vcc_lo, v41, v13, vcc_lo
	v_mov_b32_e32 v13, v10
	v_mad_u64_u32 v[10:11], null, s17, v12, v[5:6]
	v_sub_co_u32 v9, vcc_lo, v9, v36
	s_delay_alu instid0(VALU_DEP_3) | instskip(SKIP_1) | instid1(VALU_DEP_3)
	v_sub_co_ci_u32_e32 v11, vcc_lo, v13, v37, vcc_lo
	v_dual_mov_b32 v5, v8 :: v_dual_add_nc_u32 v12, 0x310, v15
	v_add_co_u32 v226, vcc_lo, v40, v9
	v_add_nc_u32_e32 v208, 49, v186
	s_delay_alu instid0(VALU_DEP_4) | instskip(SKIP_4) | instid1(VALU_DEP_4)
	v_add_co_ci_u32_e32 v227, vcc_lo, v41, v11, vcc_lo
	v_mov_b32_e32 v11, v10
	v_mad_u64_u32 v[8:9], null, s17, v14, v[5:6]
	v_mad_u64_u32 v[9:10], null, s16, v12, 0
	v_sub_co_u32 v5, vcc_lo, v6, v36
	v_sub_co_ci_u32_e32 v6, vcc_lo, v11, v37, vcc_lo
	v_add_nc_u32_e32 v13, 0x400, v15
	s_delay_alu instid0(VALU_DEP_3)
	v_add_co_u32 v228, vcc_lo, v40, v5
	v_add_nc_u32_e32 v255, 18, v186
	v_dual_mov_b32 v5, v10 :: v_dual_add_nc_u32 v210, 51, v186
	v_add_co_ci_u32_e32 v229, vcc_lo, v41, v6, vcc_lo
	v_mov_b32_e32 v6, v8
	v_mad_u64_u32 v[10:11], null, s16, v13, 0
	v_add_nc_u32_e32 v18, 0x300, v15
	v_sub_co_u32 v14, vcc_lo, v7, v36
	s_delay_alu instid0(VALU_DEP_4) | instskip(SKIP_1) | instid1(VALU_DEP_4)
	v_sub_co_ci_u32_e32 v17, vcc_lo, v6, v37, vcc_lo
	v_mad_u64_u32 v[6:7], null, s17, v12, v[5:6]
	v_mad_u64_u32 v[7:8], null, s16, v18, 0
	v_mov_b32_e32 v5, v11
	v_add_co_u32 v230, vcc_lo, v40, v14
	v_add_nc_u32_e32 v14, 0x410, v15
	v_add_co_ci_u32_e32 v231, vcc_lo, v41, v17, vcc_lo
	s_delay_alu instid0(VALU_DEP_4) | instskip(SKIP_3) | instid1(VALU_DEP_3)
	v_mad_u64_u32 v[11:12], null, s17, v13, v[5:6]
	v_mov_b32_e32 v5, v8
	v_sub_co_u32 v12, vcc_lo, v9, v36
	v_sub_co_ci_u32_e32 v13, vcc_lo, v6, v37, vcc_lo
	v_mad_u64_u32 v[8:9], null, s17, v18, v[5:6]
	v_mad_u64_u32 v[5:6], null, s16, v14, 0
	s_delay_alu instid0(VALU_DEP_4)
	v_add_co_u32 v232, vcc_lo, v40, v12
	v_add_nc_u32_e32 v15, 0x420, v15
	v_add_co_ci_u32_e32 v233, vcc_lo, v41, v13, vcc_lo
	v_sub_co_u32 v13, vcc_lo, v10, v36
	v_dual_mov_b32 v18, v8 :: v_dual_add_nc_u32 v203, 32, v186
	v_mad_u64_u32 v[8:9], null, s17, v14, v[6:7]
	v_sub_co_ci_u32_e32 v17, vcc_lo, v11, v37, vcc_lo
	v_mad_u64_u32 v[9:10], null, s16, v19, 0
	v_mad_u64_u32 v[11:12], null, s16, v15, 0
	v_add_co_u32 v234, vcc_lo, v40, v13
	s_delay_alu instid0(VALU_DEP_4) | instskip(NEXT) | instid1(VALU_DEP_4)
	v_add_co_ci_u32_e32 v235, vcc_lo, v41, v17, vcc_lo
	v_dual_mov_b32 v6, v10 :: v_dual_add_nc_u32 v205, 34, v186
	v_sub_co_u32 v14, vcc_lo, v7, v36
	v_mov_b32_e32 v7, v12
	v_sub_co_ci_u32_e32 v17, vcc_lo, v18, v37, vcc_lo
	v_sub_co_u32 v10, vcc_lo, v5, v36
	s_delay_alu instid0(VALU_DEP_3) | instskip(SKIP_3) | instid1(VALU_DEP_3)
	v_mad_u64_u32 v[12:13], null, s17, v19, v[6:7]
	v_sub_co_ci_u32_e32 v8, vcc_lo, v8, v37, vcc_lo
	v_add_co_u32 v236, vcc_lo, v40, v14
	v_add_co_ci_u32_e32 v237, vcc_lo, v41, v17, vcc_lo
	v_mad_u64_u32 v[5:6], null, s17, v15, v[7:8]
	v_dual_mov_b32 v6, v12 :: v_dual_add_nc_u32 v207, 48, v186
	v_add_co_u32 v238, vcc_lo, v40, v10
	v_add_co_ci_u32_e32 v239, vcc_lo, v41, v8, vcc_lo
	v_sub_co_u32 v7, vcc_lo, v9, v36
	s_delay_alu instid0(VALU_DEP_4) | instskip(SKIP_2) | instid1(VALU_DEP_4)
	v_sub_co_ci_u32_e32 v6, vcc_lo, v6, v37, vcc_lo
	v_sub_co_u32 v8, vcc_lo, v11, v36
	v_sub_co_ci_u32_e32 v5, vcc_lo, v5, v37, vcc_lo
	v_add_co_u32 v240, vcc_lo, v40, v7
	s_delay_alu instid0(VALU_DEP_4) | instskip(NEXT) | instid1(VALU_DEP_4)
	v_add_co_ci_u32_e32 v241, vcc_lo, v41, v6, vcc_lo
	v_add_co_u32 v242, vcc_lo, v40, v8
	v_or_b32_e32 v192, 2, v186
	v_or_b32_e32 v196, 3, v186
	v_add_nc_u32_e32 v209, 50, v186
	v_add_co_ci_u32_e32 v243, vcc_lo, v41, v5, vcc_lo
	s_cmp_eq_u32 s13, s14
	s_cselect_b32 s16, s21, 0
	s_and_saveexec_b32 s1, s2
	s_cbranch_execz .LBB190_104
.LBB190_100:
	v_cmp_le_i32_e32 vcc_lo, s16, v183
	s_cmp_lg_u32 s16, 0
	s_cselect_b32 s6, -1, 0
	s_delay_alu instid0(SALU_CYCLE_1) | instskip(NEXT) | instid1(SALU_CYCLE_1)
	s_and_b32 s6, s6, vcc_lo
	s_and_saveexec_b32 s7, s6
	s_delay_alu instid0(SALU_CYCLE_1)
	s_xor_b32 s6, exec_lo, s7
	s_cbranch_execz .LBB190_102
; %bb.101:
	v_dual_mov_b32 v5, v4 :: v_dual_add_nc_u32 v8, 0x4300, v185
	v_mov_b32_e32 v6, v4
	v_mov_b32_e32 v7, v4
	ds_store_b128 v8, v[4:7]
.LBB190_102:
	s_and_not1_saveexec_b32 s6, s6
	s_cbranch_execz .LBB190_104
; %bb.103:
	s_mul_i32 s6, s18, s11
	s_mul_hi_u32 s7, s18, s10
	s_ashr_i32 s17, s18, 31
	s_add_i32 s6, s7, s6
	s_mul_i32 s17, s17, s10
	v_add_nc_u32_e32 v9, 0x4300, v185
	s_add_i32 s7, s6, s17
	s_mul_i32 s6, s18, s10
	s_delay_alu instid0(SALU_CYCLE_1) | instskip(NEXT) | instid1(SALU_CYCLE_1)
	s_lshl_b64 s[6:7], s[6:7], 4
	v_add_co_u32 v5, vcc_lo, v187, s6
	v_add_co_ci_u32_e32 v6, vcc_lo, s7, v188, vcc_lo
	flat_load_b128 v[5:8], v[5:6]
	s_waitcnt vmcnt(0) lgkmcnt(0)
	ds_store_2addr_b64 v9, v[5:6], v[7:8] offset1:1
.LBB190_104:                            ; =>This Inner Loop Header: Depth=1
	s_or_b32 exec_lo, exec_lo, s1
	s_cmp_eq_u32 s16, 0
	v_add_co_u32 v17, vcc_lo, v220, v185
	s_cselect_b32 s17, -1, 0
	s_cmp_lg_u32 s16, 0
	v_add_co_ci_u32_e32 v18, vcc_lo, 0, v221, vcc_lo
	s_cselect_b32 s1, -1, 0
	s_waitcnt lgkmcnt(0)
	s_waitcnt_vscnt null, 0x0
	s_and_b32 vcc_lo, exec_lo, s1
	s_barrier
	buffer_gl0_inv
	s_cbranch_vccz .LBB190_112
; %bb.105:                              ;   in Loop: Header=BB190_104 Depth=1
	v_mov_b32_e32 v5, 0
	v_mov_b32_e32 v6, 0
	s_mov_b32 s6, exec_lo
	s_delay_alu instid0(VALU_DEP_1)
	v_dual_mov_b32 v10, v6 :: v_dual_mov_b32 v9, v5
	v_dual_mov_b32 v12, v6 :: v_dual_mov_b32 v11, v5
	v_cmpx_gt_i32_e64 s16, v186
	s_cbranch_execz .LBB190_107
; %bb.106:                              ;   in Loop: Header=BB190_104 Depth=1
	flat_load_b128 v[9:12], v[17:18]
.LBB190_107:                            ;   in Loop: Header=BB190_104 Depth=1
	s_or_b32 exec_lo, exec_lo, s6
	v_dual_mov_b32 v8, v6 :: v_dual_mov_b32 v7, v5
	s_mov_b32 s6, exec_lo
	v_cmpx_gt_i32_e64 s16, v189
	s_cbranch_execz .LBB190_109
; %bb.108:                              ;   in Loop: Header=BB190_104 Depth=1
	v_add_co_u32 v5, vcc_lo, v216, v185
	v_add_co_ci_u32_e32 v6, vcc_lo, 0, v217, vcc_lo
	flat_load_b128 v[5:8], v[5:6]
.LBB190_109:                            ;   in Loop: Header=BB190_104 Depth=1
	s_or_b32 exec_lo, exec_lo, s6
	v_mov_b32_e32 v13, 0
	v_mov_b32_e32 v14, 0
	s_mov_b64 s[6:7], 0
	s_mov_b32 s19, exec_lo
	s_delay_alu instid0(VALU_DEP_1)
	v_dual_mov_b32 v16, v14 :: v_dual_mov_b32 v15, v13
	v_cmpx_gt_i32_e64 s16, v192
	s_cbranch_execz .LBB190_111
; %bb.110:                              ;   in Loop: Header=BB190_104 Depth=1
	v_add_co_u32 v13, vcc_lo, v212, v185
	v_add_co_ci_u32_e32 v14, vcc_lo, 0, v213, vcc_lo
	flat_load_b128 v[13:16], v[13:14]
.LBB190_111:                            ;   in Loop: Header=BB190_104 Depth=1
	s_or_b32 exec_lo, exec_lo, s19
	v_cmp_gt_i32_e64 s19, s16, v196
	s_branch .LBB190_114
.LBB190_112:                            ;   in Loop: Header=BB190_104 Depth=1
	s_mov_b32 s19, 0
                                        ; implicit-def: $sgpr6_sgpr7
                                        ; implicit-def: $vgpr15_vgpr16
                                        ; implicit-def: $vgpr7_vgpr8
                                        ; implicit-def: $vgpr11_vgpr12
	s_cbranch_execz .LBB190_114
; %bb.113:                              ;   in Loop: Header=BB190_104 Depth=1
	s_waitcnt vmcnt(0) lgkmcnt(0)
	v_add_co_u32 v5, vcc_lo, v216, v185
	v_add_co_ci_u32_e32 v6, vcc_lo, 0, v217, vcc_lo
	v_add_co_u32 v13, vcc_lo, v212, v185
	v_add_co_ci_u32_e32 v14, vcc_lo, 0, v213, vcc_lo
	flat_load_b128 v[9:12], v[17:18]
	flat_load_b128 v[5:8], v[5:6]
	;; [unrolled: 1-line block ×3, first 2 shown]
	s_or_b32 s19, s19, exec_lo
                                        ; implicit-def: $sgpr6_sgpr7
.LBB190_114:                            ;   in Loop: Header=BB190_104 Depth=1
	v_dual_mov_b32 v18, s7 :: v_dual_mov_b32 v17, s6
	v_dual_mov_b32 v20, s7 :: v_dual_mov_b32 v19, s6
	s_delay_alu instid0(VALU_DEP_3)
	s_and_saveexec_b32 s6, s19
	s_cbranch_execz .LBB190_116
; %bb.115:                              ;   in Loop: Header=BB190_104 Depth=1
	v_add_co_u32 v17, vcc_lo, v224, v185
	v_add_co_ci_u32_e32 v18, vcc_lo, 0, v225, vcc_lo
	flat_load_b128 v[17:20], v[17:18]
.LBB190_116:                            ;   in Loop: Header=BB190_104 Depth=1
	s_or_b32 exec_lo, exec_lo, s6
	ds_load_b128 v[25:28], v190
	ds_load_b128 v[21:24], v197
	v_add_co_u32 v49, vcc_lo, v236, v185
	v_cndmask_b32_e64 v117, 0, 1, s1
	v_add_co_ci_u32_e32 v50, vcc_lo, 0, v237, vcc_lo
	s_and_not1_b32 vcc_lo, exec_lo, s1
	s_waitcnt vmcnt(0) lgkmcnt(1)
	v_mul_f64 v[29:30], v[11:12], v[27:28]
	v_mul_f64 v[31:32], v[9:10], v[27:28]
	;; [unrolled: 1-line block ×8, first 2 shown]
	v_fma_f64 v[27:28], v[9:10], v[25:26], -v[29:30]
	v_fma_f64 v[29:30], v[11:12], v[25:26], v[31:32]
	v_fma_f64 v[37:38], v[5:6], v[25:26], -v[33:34]
	v_fma_f64 v[39:40], v[7:8], v[25:26], v[35:36]
	;; [unrolled: 2-line block ×4, first 2 shown]
	ds_store_b128 v198, v[27:30]
	ds_load_b128 v[33:36], v197 offset:16
	ds_store_b128 v198, v[37:40] offset:1072
	ds_load_b128 v[29:32], v197 offset:32
	ds_store_b128 v198, v[41:44] offset:2144
	;; [unrolled: 2-line block ×3, first 2 shown]
	s_waitcnt lgkmcnt(0)
	s_barrier
	buffer_gl0_inv
	ds_load_b128 v[93:96], v193
	ds_load_b128 v[89:92], v193 offset:16
	ds_load_b128 v[81:84], v193 offset:32
	;; [unrolled: 1-line block ×3, first 2 shown]
	s_waitcnt lgkmcnt(0)
	s_barrier
	buffer_gl0_inv
	s_cbranch_vccnz .LBB190_124
; %bb.117:                              ;   in Loop: Header=BB190_104 Depth=1
	v_mov_b32_e32 v37, 0
	v_mov_b32_e32 v38, 0
	s_mov_b32 s1, exec_lo
	s_delay_alu instid0(VALU_DEP_1)
	v_dual_mov_b32 v42, v38 :: v_dual_mov_b32 v41, v37
	v_dual_mov_b32 v44, v38 :: v_dual_mov_b32 v43, v37
	v_cmpx_gt_i32_e64 s16, v253
	s_cbranch_execz .LBB190_119
; %bb.118:                              ;   in Loop: Header=BB190_104 Depth=1
	flat_load_b128 v[41:44], v[49:50]
.LBB190_119:                            ;   in Loop: Header=BB190_104 Depth=1
	s_or_b32 exec_lo, exec_lo, s1
	v_dual_mov_b32 v40, v38 :: v_dual_mov_b32 v39, v37
	s_mov_b32 s1, exec_lo
	v_cmpx_gt_i32_e64 s16, v254
	s_cbranch_execz .LBB190_121
; %bb.120:                              ;   in Loop: Header=BB190_104 Depth=1
	v_add_co_u32 v37, vcc_lo, v232, v185
	v_add_co_ci_u32_e32 v38, vcc_lo, 0, v233, vcc_lo
	flat_load_b128 v[37:40], v[37:38]
.LBB190_121:                            ;   in Loop: Header=BB190_104 Depth=1
	s_or_b32 exec_lo, exec_lo, s1
	v_mov_b32_e32 v45, 0
	v_mov_b32_e32 v46, 0
	s_mov_b64 s[6:7], 0
	s_mov_b32 s1, exec_lo
	s_delay_alu instid0(VALU_DEP_1)
	v_dual_mov_b32 v48, v46 :: v_dual_mov_b32 v47, v45
	v_cmpx_gt_i32_e64 s16, v255
	s_cbranch_execz .LBB190_123
; %bb.122:                              ;   in Loop: Header=BB190_104 Depth=1
	v_add_co_u32 v45, vcc_lo, v226, v185
	v_add_co_ci_u32_e32 v46, vcc_lo, 0, v227, vcc_lo
	flat_load_b128 v[45:48], v[45:46]
.LBB190_123:                            ;   in Loop: Header=BB190_104 Depth=1
	s_or_b32 exec_lo, exec_lo, s1
	v_cmp_gt_i32_e64 s1, s16, v184
	s_branch .LBB190_126
.LBB190_124:                            ;   in Loop: Header=BB190_104 Depth=1
	s_mov_b32 s1, 0
                                        ; implicit-def: $sgpr6_sgpr7
                                        ; implicit-def: $vgpr47_vgpr48
                                        ; implicit-def: $vgpr39_vgpr40
                                        ; implicit-def: $vgpr43_vgpr44
	s_cbranch_execz .LBB190_126
; %bb.125:                              ;   in Loop: Header=BB190_104 Depth=1
	s_waitcnt vmcnt(0) lgkmcnt(0)
	v_add_co_u32 v37, vcc_lo, v232, v185
	v_add_co_ci_u32_e32 v38, vcc_lo, 0, v233, vcc_lo
	v_add_co_u32 v45, vcc_lo, v226, v185
	v_add_co_ci_u32_e32 v46, vcc_lo, 0, v227, vcc_lo
	flat_load_b128 v[41:44], v[49:50]
	flat_load_b128 v[37:40], v[37:38]
	;; [unrolled: 1-line block ×3, first 2 shown]
	s_or_b32 s1, s1, exec_lo
                                        ; implicit-def: $sgpr6_sgpr7
.LBB190_126:                            ;   in Loop: Header=BB190_104 Depth=1
	v_dual_mov_b32 v50, s7 :: v_dual_mov_b32 v49, s6
	v_dual_mov_b32 v52, s7 :: v_dual_mov_b32 v51, s6
	s_delay_alu instid0(VALU_DEP_3)
	s_and_saveexec_b32 s6, s1
	s_cbranch_execz .LBB190_128
; %bb.127:                              ;   in Loop: Header=BB190_104 Depth=1
	v_add_co_u32 v49, vcc_lo, v240, v185
	v_add_co_ci_u32_e32 v50, vcc_lo, 0, v241, vcc_lo
	flat_load_b128 v[49:52], v[49:50]
.LBB190_128:                            ;   in Loop: Header=BB190_104 Depth=1
	s_or_b32 exec_lo, exec_lo, s6
	ds_load_b128 v[57:60], v190
	ds_load_b128 v[53:56], v197 offset:256
	v_cmp_ne_u32_e32 vcc_lo, 1, v117
	v_add_co_u32 v97, s1, v234, v185
	s_delay_alu instid0(VALU_DEP_1)
	v_add_co_ci_u32_e64 v98, s1, 0, v235, s1
	s_and_b32 vcc_lo, exec_lo, vcc_lo
	s_waitcnt vmcnt(0) lgkmcnt(1)
	v_mul_f64 v[61:62], v[43:44], v[59:60]
	v_mul_f64 v[63:64], v[41:42], v[59:60]
	;; [unrolled: 1-line block ×8, first 2 shown]
	v_fma_f64 v[59:60], v[41:42], v[57:58], -v[61:62]
	v_fma_f64 v[61:62], v[43:44], v[57:58], v[63:64]
	v_fma_f64 v[69:70], v[37:38], v[57:58], -v[65:66]
	v_fma_f64 v[71:72], v[39:40], v[57:58], v[67:68]
	;; [unrolled: 2-line block ×4, first 2 shown]
	ds_store_b128 v198, v[59:62]
	ds_load_b128 v[65:68], v197 offset:272
	ds_store_b128 v198, v[69:72] offset:1072
	ds_load_b128 v[61:64], v197 offset:288
	ds_store_b128 v198, v[73:76] offset:2144
	;; [unrolled: 2-line block ×3, first 2 shown]
	s_waitcnt lgkmcnt(0)
	s_barrier
	buffer_gl0_inv
	ds_load_b128 v[141:144], v193
	ds_load_b128 v[137:140], v193 offset:16
	ds_load_b128 v[133:136], v193 offset:32
	ds_load_b128 v[129:132], v193 offset:48
	s_waitcnt lgkmcnt(0)
	s_barrier
	buffer_gl0_inv
	s_cbranch_vccnz .LBB190_136
; %bb.129:                              ;   in Loop: Header=BB190_104 Depth=1
	v_mov_b32_e32 v69, 0
	v_mov_b32_e32 v70, 0
	s_mov_b32 s1, exec_lo
	s_delay_alu instid0(VALU_DEP_1)
	v_dual_mov_b32 v74, v70 :: v_dual_mov_b32 v73, v69
	v_dual_mov_b32 v76, v70 :: v_dual_mov_b32 v75, v69
	v_cmpx_gt_i32_e64 s16, v203
	s_cbranch_execz .LBB190_131
; %bb.130:                              ;   in Loop: Header=BB190_104 Depth=1
	flat_load_b128 v[73:76], v[97:98]
.LBB190_131:                            ;   in Loop: Header=BB190_104 Depth=1
	s_or_b32 exec_lo, exec_lo, s1
	v_dual_mov_b32 v72, v70 :: v_dual_mov_b32 v71, v69
	s_mov_b32 s1, exec_lo
	v_cmpx_gt_i32_e64 s16, v204
	s_cbranch_execz .LBB190_133
; %bb.132:                              ;   in Loop: Header=BB190_104 Depth=1
	v_add_co_u32 v69, vcc_lo, v238, v185
	v_add_co_ci_u32_e32 v70, vcc_lo, 0, v239, vcc_lo
	flat_load_b128 v[69:72], v[69:70]
.LBB190_133:                            ;   in Loop: Header=BB190_104 Depth=1
	s_or_b32 exec_lo, exec_lo, s1
	v_mov_b32_e32 v85, 0
	v_mov_b32_e32 v86, 0
	s_mov_b64 s[6:7], 0
	s_mov_b32 s1, exec_lo
	s_delay_alu instid0(VALU_DEP_1)
	v_dual_mov_b32 v88, v86 :: v_dual_mov_b32 v87, v85
	v_cmpx_gt_i32_e64 s16, v205
	s_cbranch_execz .LBB190_135
; %bb.134:                              ;   in Loop: Header=BB190_104 Depth=1
	v_add_co_u32 v85, vcc_lo, v242, v185
	v_add_co_ci_u32_e32 v86, vcc_lo, 0, v243, vcc_lo
	flat_load_b128 v[85:88], v[85:86]
.LBB190_135:                            ;   in Loop: Header=BB190_104 Depth=1
	s_or_b32 exec_lo, exec_lo, s1
	v_cmp_gt_i32_e64 s1, s16, v206
	s_branch .LBB190_138
.LBB190_136:                            ;   in Loop: Header=BB190_104 Depth=1
	s_mov_b32 s1, 0
                                        ; implicit-def: $sgpr6_sgpr7
                                        ; implicit-def: $vgpr87_vgpr88
                                        ; implicit-def: $vgpr71_vgpr72
                                        ; implicit-def: $vgpr75_vgpr76
	s_cbranch_execz .LBB190_138
; %bb.137:                              ;   in Loop: Header=BB190_104 Depth=1
	s_waitcnt vmcnt(0) lgkmcnt(0)
	v_add_co_u32 v69, vcc_lo, v238, v185
	v_add_co_ci_u32_e32 v70, vcc_lo, 0, v239, vcc_lo
	v_add_co_u32 v85, vcc_lo, v242, v185
	v_add_co_ci_u32_e32 v86, vcc_lo, 0, v243, vcc_lo
	flat_load_b128 v[73:76], v[97:98]
	flat_load_b128 v[69:72], v[69:70]
	;; [unrolled: 1-line block ×3, first 2 shown]
	s_or_b32 s1, s1, exec_lo
                                        ; implicit-def: $sgpr6_sgpr7
.LBB190_138:                            ;   in Loop: Header=BB190_104 Depth=1
	v_dual_mov_b32 v98, s7 :: v_dual_mov_b32 v97, s6
	v_dual_mov_b32 v100, s7 :: v_dual_mov_b32 v99, s6
	s_delay_alu instid0(VALU_DEP_3)
	s_and_saveexec_b32 s6, s1
	s_cbranch_execz .LBB190_140
; %bb.139:                              ;   in Loop: Header=BB190_104 Depth=1
	v_add_co_u32 v97, vcc_lo, v230, v185
	v_add_co_ci_u32_e32 v98, vcc_lo, 0, v231, vcc_lo
	flat_load_b128 v[97:100], v[97:98]
.LBB190_140:                            ;   in Loop: Header=BB190_104 Depth=1
	s_or_b32 exec_lo, exec_lo, s6
	ds_load_b128 v[105:108], v190
	ds_load_b128 v[101:104], v197 offset:512
	v_cmp_ne_u32_e32 vcc_lo, 1, v117
	s_and_b32 vcc_lo, exec_lo, vcc_lo
	s_waitcnt vmcnt(0) lgkmcnt(1)
	v_mul_f64 v[109:110], v[75:76], v[107:108]
	v_mul_f64 v[111:112], v[73:74], v[107:108]
	;; [unrolled: 1-line block ×8, first 2 shown]
	v_fma_f64 v[107:108], v[73:74], v[105:106], -v[109:110]
	v_fma_f64 v[109:110], v[75:76], v[105:106], v[111:112]
	v_fma_f64 v[118:119], v[69:70], v[105:106], -v[113:114]
	v_fma_f64 v[120:121], v[71:72], v[105:106], v[115:116]
	;; [unrolled: 2-line block ×4, first 2 shown]
	ds_store_b128 v198, v[107:110]
	ds_load_b128 v[113:116], v197 offset:528
	ds_store_b128 v198, v[118:121] offset:1072
	ds_load_b128 v[109:112], v197 offset:544
	ds_store_b128 v198, v[122:125] offset:2144
	ds_load_b128 v[105:108], v197 offset:560
	ds_store_b128 v198, v[145:148] offset:3216
	s_waitcnt lgkmcnt(0)
	s_barrier
	buffer_gl0_inv
	ds_load_b128 v[177:180], v193
	ds_load_b128 v[173:176], v193 offset:16
	ds_load_b128 v[169:172], v193 offset:32
	;; [unrolled: 1-line block ×3, first 2 shown]
	v_add_co_u32 v145, s1, v218, v185
	s_delay_alu instid0(VALU_DEP_1)
	v_add_co_ci_u32_e64 v146, s1, 0, v219, s1
	s_waitcnt lgkmcnt(0)
	s_barrier
	buffer_gl0_inv
	s_cbranch_vccnz .LBB190_148
; %bb.141:                              ;   in Loop: Header=BB190_104 Depth=1
	v_mov_b32_e32 v117, 0
	v_mov_b32_e32 v118, 0
	s_mov_b32 s1, exec_lo
	s_delay_alu instid0(VALU_DEP_1)
	v_dual_mov_b32 v122, v118 :: v_dual_mov_b32 v121, v117
	v_dual_mov_b32 v124, v118 :: v_dual_mov_b32 v123, v117
	v_cmpx_gt_i32_e64 s16, v207
	s_cbranch_execz .LBB190_143
; %bb.142:                              ;   in Loop: Header=BB190_104 Depth=1
	flat_load_b128 v[121:124], v[145:146]
.LBB190_143:                            ;   in Loop: Header=BB190_104 Depth=1
	s_or_b32 exec_lo, exec_lo, s1
	v_dual_mov_b32 v120, v118 :: v_dual_mov_b32 v119, v117
	s_mov_b32 s1, exec_lo
	v_cmpx_gt_i32_e64 s16, v208
	s_cbranch_execz .LBB190_145
; %bb.144:                              ;   in Loop: Header=BB190_104 Depth=1
	v_add_co_u32 v117, vcc_lo, v222, v185
	v_add_co_ci_u32_e32 v118, vcc_lo, 0, v223, vcc_lo
	flat_load_b128 v[117:120], v[117:118]
.LBB190_145:                            ;   in Loop: Header=BB190_104 Depth=1
	s_or_b32 exec_lo, exec_lo, s1
	v_mov_b32_e32 v125, 0
	v_mov_b32_e32 v126, 0
	s_mov_b64 s[6:7], 0
	s_mov_b32 s1, exec_lo
	s_delay_alu instid0(VALU_DEP_1)
	v_dual_mov_b32 v128, v126 :: v_dual_mov_b32 v127, v125
	v_cmpx_gt_i32_e64 s16, v209
	s_cbranch_execz .LBB190_147
; %bb.146:                              ;   in Loop: Header=BB190_104 Depth=1
	v_add_co_u32 v125, vcc_lo, v228, v185
	v_add_co_ci_u32_e32 v126, vcc_lo, 0, v229, vcc_lo
	flat_load_b128 v[125:128], v[125:126]
.LBB190_147:                            ;   in Loop: Header=BB190_104 Depth=1
	s_or_b32 exec_lo, exec_lo, s1
	v_cmp_gt_i32_e64 s1, s16, v210
	s_branch .LBB190_150
.LBB190_148:                            ;   in Loop: Header=BB190_104 Depth=1
	s_mov_b32 s1, 0
                                        ; implicit-def: $sgpr6_sgpr7
                                        ; implicit-def: $vgpr127_vgpr128
                                        ; implicit-def: $vgpr119_vgpr120
                                        ; implicit-def: $vgpr123_vgpr124
	s_cbranch_execz .LBB190_150
; %bb.149:                              ;   in Loop: Header=BB190_104 Depth=1
	s_waitcnt vmcnt(0) lgkmcnt(0)
	v_add_co_u32 v117, vcc_lo, v222, v185
	v_add_co_ci_u32_e32 v118, vcc_lo, 0, v223, vcc_lo
	v_add_co_u32 v125, vcc_lo, v228, v185
	v_add_co_ci_u32_e32 v126, vcc_lo, 0, v229, vcc_lo
	flat_load_b128 v[121:124], v[145:146]
	flat_load_b128 v[117:120], v[117:118]
	;; [unrolled: 1-line block ×3, first 2 shown]
	s_or_b32 s1, s1, exec_lo
                                        ; implicit-def: $sgpr6_sgpr7
.LBB190_150:                            ;   in Loop: Header=BB190_104 Depth=1
	v_dual_mov_b32 v146, s7 :: v_dual_mov_b32 v145, s6
	v_dual_mov_b32 v148, s7 :: v_dual_mov_b32 v147, s6
	s_delay_alu instid0(VALU_DEP_3)
	s_and_saveexec_b32 s6, s1
	s_cbranch_execz .LBB190_152
; %bb.151:                              ;   in Loop: Header=BB190_104 Depth=1
	v_add_co_u32 v145, vcc_lo, v214, v185
	v_add_co_ci_u32_e32 v146, vcc_lo, 0, v215, vcc_lo
	flat_load_b128 v[145:148], v[145:146]
.LBB190_152:                            ;   in Loop: Header=BB190_104 Depth=1
	s_or_b32 exec_lo, exec_lo, s6
	ds_load_b128 v[153:156], v190
	ds_load_b128 v[149:152], v197 offset:768
	v_add_f64 v[141:142], v[141:142], 0
	v_add_f64 v[143:144], v[143:144], 0
	;; [unrolled: 1-line block ×4, first 2 shown]
	v_cmp_gt_i32_e32 vcc_lo, s16, v183
	s_or_b32 s1, s17, vcc_lo
	s_delay_alu instid0(SALU_CYCLE_1)
	s_and_b32 s6, s0, s1
	s_waitcnt vmcnt(0) lgkmcnt(1)
	v_mul_f64 v[157:158], v[123:124], v[155:156]
	v_mul_f64 v[159:160], v[121:122], v[155:156]
	;; [unrolled: 1-line block ×8, first 2 shown]
	v_add_f64 v[137:138], v[141:142], v[137:138]
	v_add_f64 v[139:140], v[143:144], v[139:140]
	;; [unrolled: 1-line block ×4, first 2 shown]
	v_fma_f64 v[155:156], v[121:122], v[153:154], -v[157:158]
	v_fma_f64 v[157:158], v[123:124], v[153:154], v[159:160]
	v_fma_f64 v[245:246], v[117:118], v[153:154], -v[161:162]
	v_fma_f64 v[247:248], v[119:120], v[153:154], v[163:164]
	;; [unrolled: 2-line block ×4, first 2 shown]
	v_add_f64 v[181:182], v[93:94], 0
	v_add_f64 v[194:195], v[95:96], 0
	;; [unrolled: 1-line block ×6, first 2 shown]
	ds_store_b128 v198, v[155:158]
	ds_load_b128 v[161:164], v197 offset:784
	ds_store_b128 v198, v[245:248] offset:1072
	ds_load_b128 v[157:160], v197 offset:800
	ds_store_b128 v198, v[249:252] offset:2144
	;; [unrolled: 2-line block ×3, first 2 shown]
	s_waitcnt lgkmcnt(0)
	s_barrier
	buffer_gl0_inv
	ds_load_b128 v[199:202], v193
	ds_load_b128 v[93:96], v193 offset:16
	v_add_f64 v[141:142], v[181:182], v[89:90]
	v_add_f64 v[143:144], v[194:195], v[91:92]
	ds_load_b128 v[89:92], v193 offset:32
	s_waitcnt lgkmcnt(2)
	v_add_f64 v[199:200], v[199:200], 0
	v_add_f64 v[201:202], v[201:202], 0
	;; [unrolled: 1-line block ×4, first 2 shown]
	ds_load_b128 v[81:84], v193 offset:48
	s_waitcnt lgkmcnt(0)
	s_barrier
	buffer_gl0_inv
	v_add_f64 v[93:94], v[199:200], v[93:94]
	v_add_f64 v[95:96], v[201:202], v[95:96]
	;; [unrolled: 1-line block ×4, first 2 shown]
	s_delay_alu instid0(VALU_DEP_4) | instskip(NEXT) | instid1(VALU_DEP_4)
	v_add_f64 v[141:142], v[93:94], v[89:90]
	v_add_f64 v[143:144], v[95:96], v[91:92]
	;; [unrolled: 1-line block ×8, first 2 shown]
	ds_store_b128 v244, v[77:80]
	ds_store_b128 v244, v[93:96] offset:256
	ds_store_b128 v244, v[89:92] offset:512
	;; [unrolled: 1-line block ×3, first 2 shown]
	s_waitcnt lgkmcnt(0)
	s_barrier
	buffer_gl0_inv
	s_and_saveexec_b32 s1, s6
	s_cbranch_execz .LBB190_154
; %bb.153:                              ;   in Loop: Header=BB190_104 Depth=1
	ds_load_b128 v[77:80], v191
	ds_load_b128 v[81:84], v191 offset:16
	s_waitcnt lgkmcnt(0)
	v_add_f64 v[89:90], v[81:82], v[77:78]
	v_add_f64 v[91:92], v[83:84], v[79:80]
	ds_load_b128 v[77:80], v191 offset:32
	ds_load_b128 v[81:84], v191 offset:48
	s_waitcnt lgkmcnt(1)
	v_add_f64 v[77:78], v[89:90], v[77:78]
	v_add_f64 v[79:80], v[91:92], v[79:80]
	s_waitcnt lgkmcnt(0)
	s_delay_alu instid0(VALU_DEP_2) | instskip(NEXT) | instid1(VALU_DEP_2)
	v_add_f64 v[89:90], v[77:78], v[81:82]
	v_add_f64 v[91:92], v[79:80], v[83:84]
	ds_load_b128 v[77:80], v191 offset:64
	ds_load_b128 v[81:84], v191 offset:80
	s_waitcnt lgkmcnt(1)
	v_add_f64 v[77:78], v[89:90], v[77:78]
	v_add_f64 v[79:80], v[91:92], v[79:80]
	s_waitcnt lgkmcnt(0)
	s_delay_alu instid0(VALU_DEP_2) | instskip(NEXT) | instid1(VALU_DEP_2)
	;; [unrolled: 9-line block ×5, first 2 shown]
	v_add_f64 v[89:90], v[77:78], v[81:82]
	v_add_f64 v[91:92], v[79:80], v[83:84]
	ds_load_b128 v[77:80], v191 offset:192
	ds_load_b128 v[81:84], v191 offset:208
	s_waitcnt lgkmcnt(1)
	v_add_f64 v[77:78], v[89:90], v[77:78]
	v_add_f64 v[79:80], v[91:92], v[79:80]
	s_waitcnt lgkmcnt(0)
	s_delay_alu instid0(VALU_DEP_2)
	v_add_f64 v[89:90], v[77:78], v[81:82]
	scratch_load_b32 v81, off, off          ; 4-byte Folded Reload
	v_add_f64 v[91:92], v[79:80], v[83:84]
	ds_load_b128 v[77:80], v191 offset:224
	s_waitcnt vmcnt(0)
	ds_load_b128 v[81:84], v81
	s_waitcnt lgkmcnt(1)
	v_add_f64 v[77:78], v[89:90], v[77:78]
	v_add_f64 v[79:80], v[91:92], v[79:80]
	s_waitcnt lgkmcnt(0)
	s_delay_alu instid0(VALU_DEP_2) | instskip(NEXT) | instid1(VALU_DEP_2)
	v_add_f64 v[77:78], v[77:78], v[81:82]
	v_add_f64 v[79:80], v[79:80], v[83:84]
	v_add_nc_u32_e32 v81, s18, v211
	s_delay_alu instid0(VALU_DEP_1) | instskip(NEXT) | instid1(VALU_DEP_1)
	v_ashrrev_i32_e32 v82, 31, v81
	v_lshlrev_b64 v[81:82], 4, v[81:82]
	s_delay_alu instid0(VALU_DEP_1) | instskip(NEXT) | instid1(VALU_DEP_2)
	v_add_co_u32 v81, vcc_lo, s3, v81
	v_add_co_ci_u32_e32 v82, vcc_lo, s8, v82, vcc_lo
	global_store_b128 v[81:82], v[77:80], off
.LBB190_154:                            ;   in Loop: Header=BB190_104 Depth=1
	s_or_b32 exec_lo, exec_lo, s1
	v_mul_f64 v[77:78], v[11:12], v[23:24]
	v_mul_f64 v[23:24], v[9:10], v[23:24]
	;; [unrolled: 1-line block ×4, first 2 shown]
	v_add_co_u32 v212, vcc_lo, v212, s4
	v_add_co_ci_u32_e32 v213, vcc_lo, s5, v213, vcc_lo
	v_add_co_u32 v214, vcc_lo, v214, s4
	v_add_co_ci_u32_e32 v215, vcc_lo, s5, v215, vcc_lo
	;; [unrolled: 2-line block ×8, first 2 shown]
	v_add_co_u32 v228, vcc_lo, v228, s4
	v_fma_f64 v[9:10], v[9:10], v[21:22], -v[77:78]
	v_fma_f64 v[11:12], v[11:12], v[21:22], v[23:24]
	v_mul_f64 v[21:22], v[15:16], v[31:32]
	v_mul_f64 v[23:24], v[13:14], v[31:32]
	v_fma_f64 v[5:6], v[5:6], v[33:34], -v[79:80]
	v_fma_f64 v[7:8], v[7:8], v[33:34], v[35:36]
	v_add_co_ci_u32_e32 v229, vcc_lo, s5, v229, vcc_lo
	v_add_co_u32 v230, vcc_lo, v230, s4
	v_add_co_ci_u32_e32 v231, vcc_lo, s5, v231, vcc_lo
	v_add_co_u32 v232, vcc_lo, v232, s4
	;; [unrolled: 2-line block ×7, first 2 shown]
	v_add_co_ci_u32_e32 v243, vcc_lo, s5, v243, vcc_lo
	s_add_i32 s6, s14, 2
	s_add_i32 s1, s14, 1
	v_add_f64 v[0:1], v[0:1], v[9:10]
	v_add_f64 v[2:3], v[2:3], v[11:12]
	v_mul_f64 v[9:10], v[19:20], v[27:28]
	v_mul_f64 v[11:12], v[17:18], v[27:28]
	v_fma_f64 v[13:14], v[13:14], v[29:30], -v[21:22]
	v_fma_f64 v[15:16], v[15:16], v[29:30], v[23:24]
	s_add_i32 s18, s18, 64
	s_cmp_ge_u32 s6, s15
	s_waitcnt_vscnt null, 0x0
	s_barrier
	buffer_gl0_inv
	v_add_f64 v[0:1], v[0:1], v[5:6]
	v_add_f64 v[2:3], v[2:3], v[7:8]
	v_mul_f64 v[5:6], v[43:44], v[55:56]
	v_mul_f64 v[7:8], v[41:42], v[55:56]
	v_fma_f64 v[9:10], v[17:18], v[25:26], -v[9:10]
	v_fma_f64 v[11:12], v[19:20], v[25:26], v[11:12]
	v_add_f64 v[0:1], v[0:1], v[13:14]
	v_add_f64 v[2:3], v[2:3], v[15:16]
	v_mul_f64 v[13:14], v[39:40], v[67:68]
	v_mul_f64 v[15:16], v[37:38], v[67:68]
	v_fma_f64 v[5:6], v[41:42], v[53:54], -v[5:6]
	v_fma_f64 v[7:8], v[43:44], v[53:54], v[7:8]
	;; [unrolled: 6-line block ×12, first 2 shown]
	v_add_f64 v[0:1], v[0:1], v[5:6]
	v_add_f64 v[2:3], v[2:3], v[7:8]
	v_fma_f64 v[5:6], v[145:146], v[153:154], -v[9:10]
	v_fma_f64 v[7:8], v[147:148], v[153:154], v[11:12]
	s_delay_alu instid0(VALU_DEP_4) | instskip(NEXT) | instid1(VALU_DEP_4)
	v_add_f64 v[0:1], v[0:1], v[13:14]
	v_add_f64 v[2:3], v[2:3], v[15:16]
	s_delay_alu instid0(VALU_DEP_2) | instskip(NEXT) | instid1(VALU_DEP_2)
	v_add_f64 v[0:1], v[0:1], v[5:6]
	v_add_f64 v[2:3], v[2:3], v[7:8]
	s_cbranch_scc1 .LBB190_156
; %bb.155:                              ;   in Loop: Header=BB190_104 Depth=1
	s_mov_b32 s14, s1
	s_delay_alu instid0(SALU_CYCLE_1)
	s_cmp_eq_u32 s13, s14
	s_cselect_b32 s16, s21, 0
	s_and_saveexec_b32 s1, s2
	s_cbranch_execnz .LBB190_100
	s_branch .LBB190_104
.LBB190_156:
	scratch_load_b32 v4, off, off offset:4  ; 4-byte Folded Reload
	v_cmp_gt_i32_e32 vcc_lo, s12, v183
	s_or_b32 s0, s9, vcc_lo
	s_delay_alu instid0(SALU_CYCLE_1)
	s_and_b32 s0, s2, s0
	s_waitcnt vmcnt(0)
	v_mad_u32_u24 v4, 0x430, v4, v185
	ds_store_b128 v4, v[0:3]
	s_waitcnt lgkmcnt(0)
	s_barrier
	buffer_gl0_inv
	s_and_saveexec_b32 s1, s0
	s_cbranch_execz .LBB190_158
; %bb.157:
	ds_load_b128 v[0:3], v185 offset:1072
	ds_load_b128 v[4:7], v185
	s_waitcnt lgkmcnt(0)
	v_add_f64 v[8:9], v[0:1], v[4:5]
	v_add_f64 v[10:11], v[2:3], v[6:7]
	ds_load_b128 v[0:3], v185 offset:2144
	ds_load_b128 v[4:7], v185 offset:3216
	s_waitcnt lgkmcnt(1)
	v_add_f64 v[0:1], v[8:9], v[0:1]
	v_add_f64 v[2:3], v[10:11], v[2:3]
	s_waitcnt lgkmcnt(0)
	s_delay_alu instid0(VALU_DEP_2) | instskip(SKIP_4) | instid1(VALU_DEP_1)
	v_add_f64 v[0:1], v[0:1], v[4:5]
	scratch_load_b64 v[4:5], off, off offset:8 ; 8-byte Folded Reload
	v_add_f64 v[2:3], v[2:3], v[6:7]
	s_waitcnt vmcnt(0)
	v_lshlrev_b64 v[4:5], 4, v[4:5]
	v_add_co_u32 v4, vcc_lo, s3, v4
	s_delay_alu instid0(VALU_DEP_2)
	v_add_co_ci_u32_e32 v5, vcc_lo, s8, v5, vcc_lo
	global_store_b128 v[4:5], v[0:3], off
.LBB190_158:
	s_nop 0
	s_sendmsg sendmsg(MSG_DEALLOC_VGPRS)
	s_endpgm
	.section	.rodata,"a",@progbits
	.p2align	6, 0x0
	.amdhsa_kernel _ZL26rocblas_hemvn_kernel_upperILb0ELi64ELi4ELi33ELi32ELi16El19rocblas_complex_numIdEPKPKS1_PS1_EviT6_lT7_lT5_lS8_lS9_lS7_lT8_i
		.amdhsa_group_segment_fixed_size 19200
		.amdhsa_private_segment_fixed_size 20
		.amdhsa_kernarg_size 392
		.amdhsa_user_sgpr_count 14
		.amdhsa_user_sgpr_dispatch_ptr 0
		.amdhsa_user_sgpr_queue_ptr 0
		.amdhsa_user_sgpr_kernarg_segment_ptr 1
		.amdhsa_user_sgpr_dispatch_id 0
		.amdhsa_user_sgpr_private_segment_size 0
		.amdhsa_wavefront_size32 1
		.amdhsa_uses_dynamic_stack 0
		.amdhsa_enable_private_segment 1
		.amdhsa_system_sgpr_workgroup_id_x 1
		.amdhsa_system_sgpr_workgroup_id_y 0
		.amdhsa_system_sgpr_workgroup_id_z 1
		.amdhsa_system_sgpr_workgroup_info 0
		.amdhsa_system_vgpr_workitem_id 1
		.amdhsa_next_free_vgpr 256
		.amdhsa_next_free_sgpr 30
		.amdhsa_reserve_vcc 1
		.amdhsa_float_round_mode_32 0
		.amdhsa_float_round_mode_16_64 0
		.amdhsa_float_denorm_mode_32 3
		.amdhsa_float_denorm_mode_16_64 3
		.amdhsa_dx10_clamp 1
		.amdhsa_ieee_mode 1
		.amdhsa_fp16_overflow 0
		.amdhsa_workgroup_processor_mode 1
		.amdhsa_memory_ordered 1
		.amdhsa_forward_progress 0
		.amdhsa_shared_vgpr_count 0
		.amdhsa_exception_fp_ieee_invalid_op 0
		.amdhsa_exception_fp_denorm_src 0
		.amdhsa_exception_fp_ieee_div_zero 0
		.amdhsa_exception_fp_ieee_overflow 0
		.amdhsa_exception_fp_ieee_underflow 0
		.amdhsa_exception_fp_ieee_inexact 0
		.amdhsa_exception_int_div_zero 0
	.end_amdhsa_kernel
	.section	.text._ZL26rocblas_hemvn_kernel_upperILb0ELi64ELi4ELi33ELi32ELi16El19rocblas_complex_numIdEPKPKS1_PS1_EviT6_lT7_lT5_lS8_lS9_lS7_lT8_i,"axG",@progbits,_ZL26rocblas_hemvn_kernel_upperILb0ELi64ELi4ELi33ELi32ELi16El19rocblas_complex_numIdEPKPKS1_PS1_EviT6_lT7_lT5_lS8_lS9_lS7_lT8_i,comdat
.Lfunc_end190:
	.size	_ZL26rocblas_hemvn_kernel_upperILb0ELi64ELi4ELi33ELi32ELi16El19rocblas_complex_numIdEPKPKS1_PS1_EviT6_lT7_lT5_lS8_lS9_lS7_lT8_i, .Lfunc_end190-_ZL26rocblas_hemvn_kernel_upperILb0ELi64ELi4ELi33ELi32ELi16El19rocblas_complex_numIdEPKPKS1_PS1_EviT6_lT7_lT5_lS8_lS9_lS7_lT8_i
                                        ; -- End function
	.section	.AMDGPU.csdata,"",@progbits
; Kernel info:
; codeLenInByte = 12224
; NumSgprs: 32
; NumVgprs: 256
; ScratchSize: 20
; MemoryBound: 1
; FloatMode: 240
; IeeeMode: 1
; LDSByteSize: 19200 bytes/workgroup (compile time only)
; SGPRBlocks: 3
; VGPRBlocks: 31
; NumSGPRsForWavesPerEU: 32
; NumVGPRsForWavesPerEU: 256
; Occupancy: 5
; WaveLimiterHint : 0
; COMPUTE_PGM_RSRC2:SCRATCH_EN: 1
; COMPUTE_PGM_RSRC2:USER_SGPR: 14
; COMPUTE_PGM_RSRC2:TRAP_HANDLER: 0
; COMPUTE_PGM_RSRC2:TGID_X_EN: 1
; COMPUTE_PGM_RSRC2:TGID_Y_EN: 0
; COMPUTE_PGM_RSRC2:TGID_Z_EN: 1
; COMPUTE_PGM_RSRC2:TIDIG_COMP_CNT: 1
	.section	.text._ZL26rocblas_hemvn_kernel_upperILb0ELi64ELi4ELi33ELi32ELi16Ei19rocblas_complex_numIdEPKPKS1_PS1_EviT6_lT7_lT5_lS8_lS9_lS7_lT8_i,"axG",@progbits,_ZL26rocblas_hemvn_kernel_upperILb0ELi64ELi4ELi33ELi32ELi16Ei19rocblas_complex_numIdEPKPKS1_PS1_EviT6_lT7_lT5_lS8_lS9_lS7_lT8_i,comdat
	.globl	_ZL26rocblas_hemvn_kernel_upperILb0ELi64ELi4ELi33ELi32ELi16Ei19rocblas_complex_numIdEPKPKS1_PS1_EviT6_lT7_lT5_lS8_lS9_lS7_lT8_i ; -- Begin function _ZL26rocblas_hemvn_kernel_upperILb0ELi64ELi4ELi33ELi32ELi16Ei19rocblas_complex_numIdEPKPKS1_PS1_EviT6_lT7_lT5_lS8_lS9_lS7_lT8_i
	.p2align	8
	.type	_ZL26rocblas_hemvn_kernel_upperILb0ELi64ELi4ELi33ELi32ELi16Ei19rocblas_complex_numIdEPKPKS1_PS1_EviT6_lT7_lT5_lS8_lS9_lS7_lT8_i,@function
_ZL26rocblas_hemvn_kernel_upperILb0ELi64ELi4ELi33ELi32ELi16Ei19rocblas_complex_numIdEPKPKS1_PS1_EviT6_lT7_lT5_lS8_lS9_lS7_lT8_i: ; @_ZL26rocblas_hemvn_kernel_upperILb0ELi64ELi4ELi33ELi32ELi16Ei19rocblas_complex_numIdEPKPKS1_PS1_EviT6_lT7_lT5_lS8_lS9_lS7_lT8_i
; %bb.0:
	s_load_b64 s[4:5], s[0:1], 0x94
	s_add_u32 s2, s0, 0x88
	s_addc_u32 s3, s1, 0
	s_waitcnt lgkmcnt(0)
	s_lshr_b32 s6, s4, 16
	s_and_b32 s4, s4, 0xffff
	s_and_b32 s5, s5, 0xffff
	s_mul_i32 s4, s6, s4
	s_delay_alu instid0(SALU_CYCLE_1) | instskip(NEXT) | instid1(SALU_CYCLE_1)
	s_mul_i32 s4, s4, s5
	s_cmpk_lg_i32 s4, 0x100
	s_cbranch_scc1 .LBB191_158
; %bb.1:
	s_load_b128 s[4:7], s[0:1], 0x8
	s_mov_b32 s12, s15
	s_waitcnt lgkmcnt(0)
	v_cmp_neq_f64_e64 s4, s[4:5], 0
	v_cmp_neq_f64_e64 s5, s[6:7], 0
	s_delay_alu instid0(VALU_DEP_1)
	s_or_b32 s6, s4, s5
	s_mov_b64 s[4:5], 0
	s_and_b32 vcc_lo, exec_lo, s6
	s_cbranch_vccnz .LBB191_3
; %bb.2:
	s_load_b128 s[8:11], s[0:1], 0x60
	s_waitcnt lgkmcnt(0)
	v_cmp_neq_f64_e64 s7, s[8:9], 1.0
	v_cmp_neq_f64_e64 s8, s[10:11], 0
	s_delay_alu instid0(VALU_DEP_1)
	s_or_b32 s7, s7, s8
	s_cbranch_execz .LBB191_4
	s_branch .LBB191_5
.LBB191_3:
	s_mov_b32 s7, 0
                                        ; implicit-def: $sgpr4_sgpr5
.LBB191_4:
	s_load_b128 s[8:11], s[0:1], 0x20
	s_mov_b32 s13, 0
	s_mov_b32 s7, -1
	s_lshl_b64 s[4:5], s[12:13], 3
	s_waitcnt lgkmcnt(0)
	s_add_u32 s4, s8, s4
	s_addc_u32 s5, s9, s5
	s_lshl_b64 s[8:9], s[10:11], 4
	s_load_b64 s[4:5], s[4:5], 0x0
	s_waitcnt lgkmcnt(0)
	s_add_u32 s4, s4, s8
	s_addc_u32 s5, s5, s9
.LBB191_5:
	s_and_not1_b32 vcc_lo, exec_lo, s7
	s_cbranch_vccnz .LBB191_158
; %bb.6:
	v_cndmask_b32_e64 v1, 0, 1, s6
	s_and_not1_b32 vcc_lo, exec_lo, s6
	s_mov_b64 s[6:7], 0
	s_cbranch_vccnz .LBB191_8
; %bb.7:
	s_load_b128 s[8:11], s[0:1], 0x40
	s_mov_b32 s13, 0
	s_delay_alu instid0(SALU_CYCLE_1)
	s_lshl_b64 s[6:7], s[12:13], 3
	s_waitcnt lgkmcnt(0)
	s_add_u32 s6, s8, s6
	s_addc_u32 s7, s9, s7
	s_lshl_b64 s[8:9], s[10:11], 4
	s_load_b64 s[6:7], s[6:7], 0x0
	s_waitcnt lgkmcnt(0)
	s_add_u32 s6, s6, s8
	s_addc_u32 s7, s7, s9
.LBB191_8:
	s_delay_alu instid0(VALU_DEP_1)
	v_cmp_ne_u32_e32 vcc_lo, 1, v1
	s_cbranch_vccnz .LBB191_158
; %bb.9:
	s_clause 0x1
	s_load_b32 s9, s[0:1], 0x50
	s_load_b32 s13, s[0:1], 0x0
	v_and_b32_e32 v170, 0x3ff, v0
	s_lshl_b32 s16, s14, 6
	s_load_b32 s15, s[2:3], 0x0
	v_bfe_u32 v0, v0, 10, 10
	s_delay_alu instid0(VALU_DEP_2)
	v_add_nc_u32_e32 v2, s16, v170
	scratch_store_b32 off, v0, off offset:8 ; 4-byte Folded Spill
	v_mov_b32_e32 v1, v2
	scratch_store_b64 off, v[1:2], off offset:12 ; 8-byte Folded Spill
	s_waitcnt lgkmcnt(0)
	v_mul_lo_u32 v1, v2, s9
	s_ashr_i32 s28, s13, 31
	s_delay_alu instid0(SALU_CYCLE_1) | instskip(SKIP_2) | instid1(SALU_CYCLE_1)
	s_lshr_b32 s2, s28, 26
	s_add_i32 s3, s15, -1
	s_add_i32 s2, s13, s2
	s_and_not1_b32 s2, s2, 63
	s_delay_alu instid0(VALU_DEP_1)
	v_ashrrev_i32_e32 v2, 31, v1
	s_sub_i32 s26, s13, s2
	v_cmp_eq_u32_e64 s2, 0, v0
	s_cmp_eq_u32 s14, s3
	s_cselect_b32 s10, s26, 0
	v_lshlrev_b64 v[1:2], 4, v[1:2]
	s_delay_alu instid0(VALU_DEP_1) | instskip(NEXT) | instid1(VALU_DEP_2)
	v_add_co_u32 v36, vcc_lo, s6, v1
	v_add_co_ci_u32_e32 v37, vcc_lo, s7, v2, vcc_lo
	s_mov_b32 s6, -1
	s_and_saveexec_b32 s3, s2
	s_cbranch_execz .LBB191_14
; %bb.10:
	v_cmp_le_i32_e32 vcc_lo, s10, v170
	s_cmp_lg_u32 s10, 0
	v_lshl_add_u32 v0, v170, 4, 0x4700
	s_cselect_b32 s7, -1, 0
	s_delay_alu instid0(SALU_CYCLE_1) | instskip(NEXT) | instid1(SALU_CYCLE_1)
	s_and_b32 s7, s7, vcc_lo
	s_and_saveexec_b32 s8, s7
	s_delay_alu instid0(SALU_CYCLE_1)
	s_xor_b32 s7, exec_lo, s8
	s_cbranch_execz .LBB191_12
; %bb.11:
	v_mov_b32_e32 v1, 0
	s_delay_alu instid0(VALU_DEP_1)
	v_mov_b32_e32 v2, v1
	v_mov_b32_e32 v3, v1
	;; [unrolled: 1-line block ×3, first 2 shown]
	ds_store_b128 v0, v[1:4]
                                        ; implicit-def: $vgpr0
.LBB191_12:
	s_and_not1_saveexec_b32 s7, s7
	s_cbranch_execz .LBB191_14
; %bb.13:
	flat_load_b128 v[1:4], v[36:37]
	s_waitcnt vmcnt(0) lgkmcnt(0)
	ds_store_2addr_b64 v0, v[1:2], v[3:4] offset1:1
.LBB191_14:
	s_or_b32 exec_lo, exec_lo, s3
	scratch_load_b32 v0, off, off offset:8  ; 4-byte Folded Reload
	s_load_b32 s18, s[0:1], 0x30
	v_and_b32_e32 v4, 31, v170
	s_ashr_i32 s17, s16, 31
	s_delay_alu instid0(SALU_CYCLE_1) | instskip(NEXT) | instid1(SALU_CYCLE_1)
	s_lshl_b64 s[20:21], s[16:17], 4
	s_add_u32 s3, s4, s20
	s_addc_u32 s7, s5, s21
	v_lshlrev_b32_e32 v11, 4, v4
	s_waitcnt lgkmcnt(0)
	s_mul_i32 s4, s16, s18
	s_delay_alu instid0(SALU_CYCLE_1) | instskip(NEXT) | instid1(SALU_CYCLE_1)
	s_ashr_i32 s5, s4, 31
	s_lshl_b64 s[4:5], s[4:5], 4
	s_delay_alu instid0(SALU_CYCLE_1)
	s_add_u32 s4, s4, s3
	s_addc_u32 s5, s5, s7
	s_cmp_eq_u32 s10, 0
	v_cmp_gt_i32_e64 s3, s10, v4
	s_cselect_b32 s27, -1, 0
	s_cmp_lg_u32 s10, 0
	s_cselect_b32 s17, -1, 0
	s_delay_alu instid0(SALU_CYCLE_1) | instskip(SKIP_2) | instid1(VALU_DEP_1)
	s_and_b32 vcc_lo, exec_lo, s17
	s_waitcnt vmcnt(0)
	v_lshl_add_u32 v42, v0, 6, v170
	v_lshrrev_b32_e32 v9, 5, v42
	s_delay_alu instid0(VALU_DEP_1) | instskip(SKIP_1) | instid1(VALU_DEP_2)
	v_mad_u64_u32 v[0:1], null, v9, s18, v[4:5]
	v_mul_u32_u24_e32 v10, 33, v9
	v_ashrrev_i32_e32 v1, 31, v0
	s_delay_alu instid0(VALU_DEP_1) | instskip(NEXT) | instid1(VALU_DEP_1)
	v_lshlrev_b64 v[38:39], 4, v[0:1]
	v_add_co_u32 v0, s4, s4, v38
	s_delay_alu instid0(VALU_DEP_1)
	v_add_co_ci_u32_e64 v1, s4, s5, v39, s4
	s_cbranch_vccz .LBB191_32
; %bb.15:
	s_delay_alu instid0(VALU_DEP_2) | instskip(SKIP_1) | instid1(VALU_DEP_2)
	v_sub_co_u32 v2, vcc_lo, v0, v11
	s_ashr_i32 s11, s10, 31
	v_subrev_co_ci_u32_e32 v3, vcc_lo, 0, v1, vcc_lo
	s_lshl_b64 s[4:5], s[10:11], 4
	v_add_lshl_u32 v5, v10, v4, 4
	v_add_co_u32 v2, vcc_lo, v2, s4
	s_delay_alu instid0(VALU_DEP_3) | instskip(SKIP_1) | instid1(VALU_DEP_2)
	v_add_co_ci_u32_e32 v3, vcc_lo, s5, v3, vcc_lo
	s_mov_b32 s6, exec_lo
	v_add_co_u32 v2, vcc_lo, v2, -16
	s_delay_alu instid0(VALU_DEP_2) | instskip(NEXT) | instid1(VALU_DEP_2)
	v_add_co_ci_u32_e32 v3, vcc_lo, -1, v3, vcc_lo
	v_cndmask_b32_e64 v2, v2, v0, s3
	s_delay_alu instid0(VALU_DEP_2)
	v_cndmask_b32_e64 v3, v3, v1, s3
	v_cmpx_le_i32_e64 s10, v9
	s_xor_b32 s6, exec_lo, s6
	s_cbranch_execz .LBB191_17
; %bb.16:
	v_mov_b32_e32 v12, 0
	s_delay_alu instid0(VALU_DEP_1)
	v_mov_b32_e32 v13, v12
	v_mov_b32_e32 v14, v12
	v_mov_b32_e32 v15, v12
	ds_store_b128 v5, v[12:15]
.LBB191_17:
	s_and_not1_saveexec_b32 s6, s6
	s_cbranch_execz .LBB191_19
; %bb.18:
	flat_load_b128 v[12:15], v[2:3]
	s_waitcnt vmcnt(0) lgkmcnt(0)
	ds_store_2addr_b64 v5, v[12:13], v[14:15] offset1:1
.LBB191_19:
	s_or_b32 exec_lo, exec_lo, s6
	v_add_nc_u32_e32 v6, 8, v9
	s_mov_b32 s6, exec_lo
	s_delay_alu instid0(VALU_DEP_1)
	v_cmpx_le_i32_e64 s10, v6
	s_xor_b32 s6, exec_lo, s6
	s_cbranch_execz .LBB191_21
; %bb.20:
	v_mul_u32_u24_e32 v6, 33, v6
	v_mov_b32_e32 v12, 0
	s_delay_alu instid0(VALU_DEP_2) | instskip(NEXT) | instid1(VALU_DEP_2)
	v_add_lshl_u32 v6, v6, v4, 4
	v_mov_b32_e32 v13, v12
	v_mov_b32_e32 v14, v12
	v_mov_b32_e32 v15, v12
	ds_store_b128 v6, v[12:15]
.LBB191_21:
	s_and_not1_saveexec_b32 s6, s6
	s_cbranch_execz .LBB191_23
; %bb.22:
	s_lshl_b32 s20, s18, 3
	s_delay_alu instid0(SALU_CYCLE_1) | instskip(NEXT) | instid1(SALU_CYCLE_1)
	s_ashr_i32 s21, s20, 31
	s_lshl_b64 s[20:21], s[20:21], 4
	s_delay_alu instid0(SALU_CYCLE_1)
	v_add_co_u32 v6, vcc_lo, v2, s20
	v_add_co_ci_u32_e32 v7, vcc_lo, s21, v3, vcc_lo
	flat_load_b128 v[12:15], v[6:7]
	v_add_nc_u32_e32 v6, 0x1080, v5
	s_waitcnt vmcnt(0) lgkmcnt(0)
	ds_store_2addr_b64 v6, v[12:13], v[14:15] offset1:1
.LBB191_23:
	s_or_b32 exec_lo, exec_lo, s6
	v_add_nc_u32_e32 v6, 16, v9
	s_mov_b32 s6, exec_lo
	s_delay_alu instid0(VALU_DEP_1)
	v_cmpx_le_i32_e64 s10, v6
	s_xor_b32 s6, exec_lo, s6
	s_cbranch_execz .LBB191_25
; %bb.24:
	v_mul_u32_u24_e32 v6, 33, v6
	v_mov_b32_e32 v12, 0
	s_delay_alu instid0(VALU_DEP_2) | instskip(NEXT) | instid1(VALU_DEP_2)
	v_add_lshl_u32 v6, v6, v4, 4
	v_mov_b32_e32 v13, v12
	v_mov_b32_e32 v14, v12
	;; [unrolled: 1-line block ×3, first 2 shown]
	ds_store_b128 v6, v[12:15]
.LBB191_25:
	s_and_not1_saveexec_b32 s6, s6
	s_cbranch_execz .LBB191_27
; %bb.26:
	s_lshl_b32 s20, s18, 4
	s_delay_alu instid0(SALU_CYCLE_1) | instskip(NEXT) | instid1(SALU_CYCLE_1)
	s_ashr_i32 s21, s20, 31
	s_lshl_b64 s[20:21], s[20:21], 4
	s_delay_alu instid0(SALU_CYCLE_1)
	v_add_co_u32 v6, vcc_lo, v2, s20
	v_add_co_ci_u32_e32 v7, vcc_lo, s21, v3, vcc_lo
	flat_load_b128 v[12:15], v[6:7]
	v_add_nc_u32_e32 v6, 0x2100, v5
	s_waitcnt vmcnt(0) lgkmcnt(0)
	ds_store_2addr_b64 v6, v[12:13], v[14:15] offset1:1
.LBB191_27:
	s_or_b32 exec_lo, exec_lo, s6
	v_add_nc_u32_e32 v6, 24, v9
	s_mov_b32 s6, exec_lo
	s_delay_alu instid0(VALU_DEP_1)
	v_cmpx_le_i32_e64 s10, v6
	s_xor_b32 s6, exec_lo, s6
	s_cbranch_execz .LBB191_29
; %bb.28:
	v_mov_b32_e32 v12, 0
	s_delay_alu instid0(VALU_DEP_1)
	v_mov_b32_e32 v13, v12
	v_mov_b32_e32 v14, v12
	;; [unrolled: 1-line block ×3, first 2 shown]
	ds_store_b128 v5, v[12:15] offset:12672
                                        ; implicit-def: $vgpr5
.LBB191_29:
	s_and_not1_saveexec_b32 s6, s6
	s_cbranch_execz .LBB191_31
; %bb.30:
	s_mul_i32 s20, s18, 24
	v_add_nc_u32_e32 v5, 0x3180, v5
	s_ashr_i32 s21, s20, 31
	s_delay_alu instid0(SALU_CYCLE_1) | instskip(NEXT) | instid1(SALU_CYCLE_1)
	s_lshl_b64 s[20:21], s[20:21], 4
	v_add_co_u32 v6, vcc_lo, v2, s20
	v_add_co_ci_u32_e32 v7, vcc_lo, s21, v3, vcc_lo
	flat_load_b128 v[12:15], v[6:7]
	s_waitcnt vmcnt(0) lgkmcnt(0)
	ds_store_2addr_b64 v5, v[12:13], v[14:15] offset1:1
.LBB191_31:
	s_or_b32 exec_lo, exec_lo, s6
	v_add_co_u32 v2, vcc_lo, v2, v11
	v_add_co_ci_u32_e32 v3, vcc_lo, 0, v3, vcc_lo
	s_delay_alu instid0(VALU_DEP_2) | instskip(NEXT) | instid1(VALU_DEP_2)
	v_sub_co_u32 v2, vcc_lo, v2, s4
	v_subrev_co_ci_u32_e32 v3, vcc_lo, s5, v3, vcc_lo
	s_delay_alu instid0(VALU_DEP_2) | instskip(NEXT) | instid1(VALU_DEP_2)
	v_add_co_u32 v2, vcc_lo, v2, 16
	v_add_co_ci_u32_e32 v3, vcc_lo, 0, v3, vcc_lo
	s_delay_alu instid0(VALU_DEP_2) | instskip(NEXT) | instid1(VALU_DEP_2)
	v_cndmask_b32_e64 v5, v2, v0, s3
	v_cndmask_b32_e64 v6, v3, v1, s3
	s_branch .LBB191_34
.LBB191_32:
                                        ; implicit-def: $vgpr5_vgpr6
	s_and_b32 vcc_lo, exec_lo, s6
	s_cbranch_vccz .LBB191_34
; %bb.33:
	flat_load_b128 v[5:8], v[0:1]
	s_lshl_b32 s4, s18, 3
	v_add_lshl_u32 v16, v10, v4, 4
	s_ashr_i32 s5, s4, 31
	s_ashr_i32 s19, s18, 31
	s_lshl_b64 s[4:5], s[4:5], 4
	s_delay_alu instid0(SALU_CYCLE_1)
	v_add_co_u32 v2, vcc_lo, v0, s4
	v_add_co_ci_u32_e32 v3, vcc_lo, s5, v1, vcc_lo
	s_lshl_b64 s[4:5], s[18:19], 7
	v_add_nc_u32_e32 v12, 0x1080, v16
	s_waitcnt vmcnt(0) lgkmcnt(0)
	ds_store_2addr_b64 v16, v[5:6], v[7:8] offset1:1
	flat_load_b128 v[5:8], v[2:3]
	v_add_co_u32 v2, vcc_lo, v2, s4
	v_add_co_ci_u32_e32 v3, vcc_lo, s5, v3, vcc_lo
	s_waitcnt vmcnt(0) lgkmcnt(0)
	ds_store_2addr_b64 v12, v[5:6], v[7:8] offset1:1
	flat_load_b128 v[5:8], v[2:3]
	v_add_co_u32 v2, vcc_lo, v2, s4
	v_add_nc_u32_e32 v12, 0x2100, v16
	v_add_co_ci_u32_e32 v3, vcc_lo, s5, v3, vcc_lo
	s_waitcnt vmcnt(0) lgkmcnt(0)
	ds_store_2addr_b64 v12, v[5:6], v[7:8] offset1:1
	flat_load_b128 v[12:15], v[2:3]
	v_dual_mov_b32 v6, v1 :: v_dual_mov_b32 v5, v0
	v_add_nc_u32_e32 v2, 0x3180, v16
	s_waitcnt vmcnt(0) lgkmcnt(0)
	ds_store_2addr_b64 v2, v[12:13], v[14:15] offset1:1
.LBB191_34:
	v_lshlrev_b32_e32 v0, 2, v9
	v_mul_u32_u24_e32 v12, 33, v4
	v_mul_u32_u24_e32 v1, 0x84, v9
	s_waitcnt lgkmcnt(0)
	s_waitcnt_vscnt null, 0x0
	s_barrier
	v_cmp_gt_u32_e64 s4, v0, v4
	v_add_lshl_u32 v16, v0, v12, 4
	buffer_gl0_inv
	s_and_saveexec_b32 s3, s4
	s_cbranch_execz .LBB191_36
; %bb.35:
	v_add_lshl_u32 v2, v1, v4, 4
	ds_load_b128 v[17:20], v2
	s_waitcnt lgkmcnt(0)
	ds_store_b128 v16, v[17:20]
.LBB191_36:
	s_or_b32 exec_lo, exec_lo, s3
	v_cmp_ge_u32_e64 s5, v0, v4
	s_delay_alu instid0(VALU_DEP_1)
	s_and_saveexec_b32 s3, s5
	s_cbranch_execz .LBB191_38
; %bb.37:
	v_or_b32_e32 v2, 1, v0
	s_delay_alu instid0(VALU_DEP_1) | instskip(NEXT) | instid1(VALU_DEP_1)
	v_mul_u32_u24_e32 v2, 33, v2
	v_add_lshl_u32 v2, v2, v4, 4
	ds_load_b128 v[17:20], v2
	s_waitcnt lgkmcnt(0)
	ds_store_b128 v16, v[17:20] offset:16
.LBB191_38:
	s_or_b32 exec_lo, exec_lo, s3
	v_or_b32_e32 v2, 2, v0
	s_delay_alu instid0(VALU_DEP_1) | instskip(NEXT) | instid1(VALU_DEP_1)
	v_cmp_gt_u32_e64 s6, v2, v4
	s_and_saveexec_b32 s3, s6
	s_cbranch_execz .LBB191_40
; %bb.39:
	v_mul_u32_u24_e32 v2, 33, v2
	s_delay_alu instid0(VALU_DEP_1)
	v_add_lshl_u32 v2, v2, v4, 4
	ds_load_b128 v[17:20], v2
	s_waitcnt lgkmcnt(0)
	ds_store_b128 v16, v[17:20] offset:32
.LBB191_40:
	s_or_b32 exec_lo, exec_lo, s3
	v_or_b32_e32 v2, 3, v0
	s_delay_alu instid0(VALU_DEP_1) | instskip(SKIP_1) | instid1(VALU_DEP_2)
	v_mad_u32_u24 v3, v2, 33, v4
	v_cmp_gt_u32_e64 s7, v2, v4
	v_lshlrev_b32_e32 v14, 4, v3
	s_delay_alu instid0(VALU_DEP_2)
	s_and_saveexec_b32 s3, s7
	s_cbranch_execz .LBB191_42
; %bb.41:
	ds_load_b128 v[17:20], v14
	s_waitcnt lgkmcnt(0)
	ds_store_b128 v16, v[17:20] offset:48
.LBB191_42:
	s_or_b32 exec_lo, exec_lo, s3
	v_lshlrev_b32_e32 v15, 4, v0
	v_add_lshl_u32 v13, v1, v4, 4
	s_waitcnt lgkmcnt(0)
	s_barrier
	buffer_gl0_inv
	ds_load_b128 v[0:3], v15 offset:18176
	ds_load_b128 v[17:20], v13
	v_add_nc_u32_e32 v24, 0xfffffbe0, v14
	ds_load_b128 v[25:28], v24
	ds_load_b128 v[29:32], v24 offset:528
	v_cmp_gt_u32_e64 s3, 32, v42
	s_waitcnt lgkmcnt(2)
	v_mul_f64 v[7:8], v[2:3], v[19:20]
	v_mul_f64 v[33:34], v[0:1], v[19:20]
	ds_load_b128 v[19:22], v15 offset:18192
	ds_load_b128 v[43:46], v15 offset:18208
	s_waitcnt lgkmcnt(1)
	v_mul_f64 v[40:41], v[21:22], v[27:28]
	v_mul_f64 v[27:28], v[19:20], v[27:28]
	v_fma_f64 v[0:1], v[0:1], v[17:18], -v[7:8]
	v_fma_f64 v[2:3], v[2:3], v[17:18], v[33:34]
	s_waitcnt lgkmcnt(0)
	v_mul_f64 v[7:8], v[45:46], v[31:32]
	v_mul_f64 v[31:32], v[43:44], v[31:32]
	v_fma_f64 v[33:34], v[19:20], v[25:26], -v[40:41]
	v_fma_f64 v[21:22], v[21:22], v[25:26], v[27:28]
	v_add_f64 v[25:26], v[0:1], 0
	v_add_f64 v[27:28], v[2:3], 0
	ds_load_b128 v[0:3], v15 offset:18224
	ds_load_b128 v[17:20], v14
	v_fma_f64 v[7:8], v[43:44], v[29:30], -v[7:8]
	v_fma_f64 v[29:30], v[45:46], v[29:30], v[31:32]
	v_add_lshl_u32 v44, v9, v12, 4
	s_waitcnt lgkmcnt(0)
	s_barrier
	buffer_gl0_inv
	v_mul_f64 v[40:41], v[2:3], v[19:20]
	v_mul_f64 v[19:20], v[0:1], v[19:20]
	v_add_f64 v[25:26], v[25:26], v[33:34]
	v_add_f64 v[21:22], v[27:28], v[21:22]
	s_delay_alu instid0(VALU_DEP_4) | instskip(NEXT) | instid1(VALU_DEP_4)
	v_fma_f64 v[0:1], v[0:1], v[17:18], -v[40:41]
	v_fma_f64 v[2:3], v[2:3], v[17:18], v[19:20]
	s_delay_alu instid0(VALU_DEP_4) | instskip(NEXT) | instid1(VALU_DEP_4)
	v_add_f64 v[7:8], v[25:26], v[7:8]
	v_add_f64 v[19:20], v[21:22], v[29:30]
	s_delay_alu instid0(VALU_DEP_2) | instskip(NEXT) | instid1(VALU_DEP_2)
	v_add_f64 v[17:18], v[7:8], v[0:1]
	v_add_f64 v[19:20], v[19:20], v[2:3]
	v_mov_b32_e32 v0, 0
	v_mov_b32_e32 v1, 0
	v_lshlrev_b32_e32 v43, 4, v12
	s_delay_alu instid0(VALU_DEP_2)
	v_dual_mov_b32 v3, v1 :: v_dual_mov_b32 v2, v0
	ds_store_b128 v44, v[17:20]
	s_waitcnt lgkmcnt(0)
	s_barrier
	buffer_gl0_inv
	s_and_saveexec_b32 s8, s3
	s_cbranch_execz .LBB191_44
; %bb.43:
	ds_load_b128 v[0:3], v43
	ds_load_b128 v[17:20], v43 offset:16
	s_waitcnt lgkmcnt(0)
	v_add_f64 v[7:8], v[17:18], v[0:1]
	v_add_f64 v[21:22], v[19:20], v[2:3]
	ds_load_b128 v[0:3], v43 offset:32
	ds_load_b128 v[17:20], v43 offset:48
	s_waitcnt lgkmcnt(1)
	v_add_f64 v[0:1], v[7:8], v[0:1]
	v_add_f64 v[2:3], v[21:22], v[2:3]
	s_waitcnt lgkmcnt(0)
	s_delay_alu instid0(VALU_DEP_2) | instskip(NEXT) | instid1(VALU_DEP_2)
	v_add_f64 v[7:8], v[0:1], v[17:18]
	v_add_f64 v[21:22], v[2:3], v[19:20]
	ds_load_b128 v[0:3], v43 offset:64
	ds_load_b128 v[17:20], v43 offset:80
	s_waitcnt lgkmcnt(1)
	v_add_f64 v[0:1], v[7:8], v[0:1]
	v_add_f64 v[2:3], v[21:22], v[2:3]
	s_waitcnt lgkmcnt(0)
	s_delay_alu instid0(VALU_DEP_2) | instskip(NEXT) | instid1(VALU_DEP_2)
	;; [unrolled: 9-line block ×3, first 2 shown]
	v_add_f64 v[0:1], v[0:1], v[17:18]
	v_add_f64 v[2:3], v[2:3], v[19:20]
.LBB191_44:
	s_or_b32 exec_lo, exec_lo, s8
	s_lshl_b32 s22, s18, 5
	s_delay_alu instid0(SALU_CYCLE_1)
	s_ashr_i32 s23, s22, 31
	s_barrier
	s_lshl_b64 s[20:21], s[22:23], 4
	buffer_gl0_inv
	v_add_co_u32 v17, vcc_lo, v5, s20
	v_add_co_ci_u32_e32 v18, vcc_lo, s21, v6, vcc_lo
	s_delay_alu instid0(VALU_DEP_2) | instskip(NEXT) | instid1(VALU_DEP_2)
	v_add_co_u32 v7, vcc_lo, 0x200, v17
	v_add_co_ci_u32_e32 v8, vcc_lo, 0, v18, vcc_lo
	s_and_b32 vcc_lo, exec_lo, s17
	s_cbranch_vccz .LBB191_62
; %bb.45:
	v_or_b32_e32 v5, 32, v4
	s_ashr_i32 s11, s10, 31
	s_delay_alu instid0(SALU_CYCLE_1) | instskip(SKIP_1) | instid1(VALU_DEP_1)
	s_lshl_b64 s[24:25], s[10:11], 4
	s_sub_i32 s11, s10, 32
	v_lshlrev_b32_e32 v6, 4, v5
	v_cmp_le_i32_e64 s8, s11, v9
	s_delay_alu instid0(VALU_DEP_2) | instskip(SKIP_1) | instid1(VALU_DEP_2)
	v_sub_co_u32 v6, vcc_lo, v7, v6
	v_subrev_co_ci_u32_e32 v19, vcc_lo, 0, v8, vcc_lo
	v_add_co_u32 v6, vcc_lo, v6, s24
	s_delay_alu instid0(VALU_DEP_2) | instskip(NEXT) | instid1(VALU_DEP_2)
	v_add_co_ci_u32_e32 v19, vcc_lo, s25, v19, vcc_lo
	v_add_co_u32 v20, vcc_lo, v6, -16
	s_delay_alu instid0(VALU_DEP_2) | instskip(SKIP_2) | instid1(VALU_DEP_3)
	v_add_co_ci_u32_e32 v6, vcc_lo, -1, v19, vcc_lo
	v_cmp_gt_i32_e32 vcc_lo, s10, v5
	v_add_lshl_u32 v19, v10, v4, 4
	v_dual_cndmask_b32 v5, v20, v7 :: v_dual_cndmask_b32 v6, v6, v8
	s_and_saveexec_b32 s19, s8
	s_delay_alu instid0(SALU_CYCLE_1)
	s_xor_b32 s8, exec_lo, s19
	s_cbranch_execz .LBB191_47
; %bb.46:
	v_mov_b32_e32 v20, 0
	s_delay_alu instid0(VALU_DEP_1)
	v_mov_b32_e32 v21, v20
	v_mov_b32_e32 v22, v20
	;; [unrolled: 1-line block ×3, first 2 shown]
	ds_store_b128 v19, v[20:23]
.LBB191_47:
	s_and_not1_saveexec_b32 s8, s8
	s_cbranch_execz .LBB191_49
; %bb.48:
	flat_load_b128 v[20:23], v[5:6]
	s_waitcnt vmcnt(0) lgkmcnt(0)
	ds_store_2addr_b64 v19, v[20:21], v[22:23] offset1:1
.LBB191_49:
	s_or_b32 exec_lo, exec_lo, s8
	v_add_nc_u32_e32 v20, 8, v9
	s_delay_alu instid0(VALU_DEP_1) | instskip(NEXT) | instid1(VALU_DEP_1)
	v_cmp_le_i32_e64 s8, s11, v20
	s_and_saveexec_b32 s19, s8
	s_delay_alu instid0(SALU_CYCLE_1)
	s_xor_b32 s8, exec_lo, s19
	s_cbranch_execz .LBB191_51
; %bb.50:
	v_mul_u32_u24_e32 v21, 33, v20
	v_mov_b32_e32 v20, 0
	s_delay_alu instid0(VALU_DEP_2) | instskip(NEXT) | instid1(VALU_DEP_2)
	v_add_lshl_u32 v25, v21, v4, 4
	v_mov_b32_e32 v21, v20
	v_mov_b32_e32 v22, v20
	;; [unrolled: 1-line block ×3, first 2 shown]
	ds_store_b128 v25, v[20:23]
.LBB191_51:
	s_and_not1_saveexec_b32 s19, s8
	s_cbranch_execz .LBB191_53
; %bb.52:
	s_lshl_b32 s30, s18, 3
	v_add_nc_u32_e32 v25, 0x1080, v19
	s_ashr_i32 s31, s30, 31
	s_delay_alu instid0(SALU_CYCLE_1) | instskip(NEXT) | instid1(SALU_CYCLE_1)
	s_lshl_b64 s[30:31], s[30:31], 4
	v_add_co_u32 v20, s8, v5, s30
	s_delay_alu instid0(VALU_DEP_1)
	v_add_co_ci_u32_e64 v21, s8, s31, v6, s8
	flat_load_b128 v[20:23], v[20:21]
	s_waitcnt vmcnt(0) lgkmcnt(0)
	ds_store_2addr_b64 v25, v[20:21], v[22:23] offset1:1
.LBB191_53:
	s_or_b32 exec_lo, exec_lo, s19
	v_add_nc_u32_e32 v20, 16, v9
	s_delay_alu instid0(VALU_DEP_1) | instskip(NEXT) | instid1(VALU_DEP_1)
	v_cmp_le_i32_e64 s8, s11, v20
	s_and_saveexec_b32 s19, s8
	s_delay_alu instid0(SALU_CYCLE_1)
	s_xor_b32 s8, exec_lo, s19
	s_cbranch_execz .LBB191_55
; %bb.54:
	v_mul_u32_u24_e32 v21, 33, v20
	v_mov_b32_e32 v20, 0
	s_delay_alu instid0(VALU_DEP_2) | instskip(NEXT) | instid1(VALU_DEP_2)
	v_add_lshl_u32 v25, v21, v4, 4
	v_mov_b32_e32 v21, v20
	v_mov_b32_e32 v22, v20
	;; [unrolled: 1-line block ×3, first 2 shown]
	ds_store_b128 v25, v[20:23]
.LBB191_55:
	s_and_not1_saveexec_b32 s19, s8
	s_cbranch_execz .LBB191_57
; %bb.56:
	s_lshl_b32 s30, s18, 4
	v_add_nc_u32_e32 v25, 0x2100, v19
	s_ashr_i32 s31, s30, 31
	s_delay_alu instid0(SALU_CYCLE_1) | instskip(NEXT) | instid1(SALU_CYCLE_1)
	s_lshl_b64 s[30:31], s[30:31], 4
	v_add_co_u32 v20, s8, v5, s30
	s_delay_alu instid0(VALU_DEP_1)
	v_add_co_ci_u32_e64 v21, s8, s31, v6, s8
	flat_load_b128 v[20:23], v[20:21]
	s_waitcnt vmcnt(0) lgkmcnt(0)
	ds_store_2addr_b64 v25, v[20:21], v[22:23] offset1:1
.LBB191_57:
	s_or_b32 exec_lo, exec_lo, s19
	v_add_nc_u32_e32 v20, 24, v9
	s_delay_alu instid0(VALU_DEP_1) | instskip(NEXT) | instid1(VALU_DEP_1)
	v_cmp_le_i32_e64 s8, s11, v20
	s_and_saveexec_b32 s11, s8
	s_delay_alu instid0(SALU_CYCLE_1)
	s_xor_b32 s8, exec_lo, s11
	s_cbranch_execz .LBB191_59
; %bb.58:
	v_mov_b32_e32 v20, 0
	s_delay_alu instid0(VALU_DEP_1)
	v_mov_b32_e32 v21, v20
	v_mov_b32_e32 v22, v20
	;; [unrolled: 1-line block ×3, first 2 shown]
	ds_store_b128 v19, v[20:23] offset:12672
                                        ; implicit-def: $vgpr19
.LBB191_59:
	s_and_not1_saveexec_b32 s11, s8
	s_cbranch_execz .LBB191_61
; %bb.60:
	s_mul_i32 s30, s18, 24
	v_add_nc_u32_e32 v19, 0x3180, v19
	s_ashr_i32 s31, s30, 31
	s_delay_alu instid0(SALU_CYCLE_1) | instskip(NEXT) | instid1(SALU_CYCLE_1)
	s_lshl_b64 s[30:31], s[30:31], 4
	v_add_co_u32 v20, s8, v5, s30
	s_delay_alu instid0(VALU_DEP_1)
	v_add_co_ci_u32_e64 v21, s8, s31, v6, s8
	flat_load_b128 v[20:23], v[20:21]
	s_waitcnt vmcnt(0) lgkmcnt(0)
	ds_store_2addr_b64 v19, v[20:21], v[22:23] offset1:1
.LBB191_61:
	s_or_b32 exec_lo, exec_lo, s11
	v_add_co_u32 v5, s8, v5, v11
	s_delay_alu instid0(VALU_DEP_1) | instskip(NEXT) | instid1(VALU_DEP_2)
	v_add_co_ci_u32_e64 v6, s8, 0, v6, s8
	v_sub_co_u32 v5, s8, v5, s24
	s_delay_alu instid0(VALU_DEP_1) | instskip(NEXT) | instid1(VALU_DEP_2)
	v_subrev_co_ci_u32_e64 v6, s8, s25, v6, s8
	v_add_co_u32 v5, s8, 0x210, v5
	s_delay_alu instid0(VALU_DEP_1) | instskip(NEXT) | instid1(VALU_DEP_1)
	v_add_co_ci_u32_e64 v6, s8, 0, v6, s8
	v_dual_cndmask_b32 v5, v5, v7 :: v_dual_cndmask_b32 v6, v6, v8
	s_branch .LBB191_64
.LBB191_62:
                                        ; implicit-def: $vgpr5_vgpr6
	s_cbranch_execz .LBB191_64
; %bb.63:
	flat_load_b128 v[19:22], v[7:8]
	s_lshl_b32 s24, s18, 3
	v_add_lshl_u32 v23, v10, v4, 4
	s_ashr_i32 s25, s24, 31
	s_ashr_i32 s19, s18, 31
	s_lshl_b64 s[24:25], s[24:25], 4
	s_delay_alu instid0(SALU_CYCLE_1)
	v_add_co_u32 v5, vcc_lo, v17, s24
	v_add_co_ci_u32_e32 v6, vcc_lo, s25, v18, vcc_lo
	s_lshl_b64 s[24:25], s[18:19], 7
	s_waitcnt vmcnt(0) lgkmcnt(0)
	ds_store_2addr_b64 v23, v[19:20], v[21:22] offset1:1
	flat_load_b128 v[17:20], v[5:6] offset:512
	v_add_co_u32 v5, vcc_lo, v5, s24
	v_add_nc_u32_e32 v21, 0x1080, v23
	v_add_co_ci_u32_e32 v6, vcc_lo, s25, v6, vcc_lo
	s_waitcnt vmcnt(0) lgkmcnt(0)
	ds_store_2addr_b64 v21, v[17:18], v[19:20] offset1:1
	flat_load_b128 v[17:20], v[5:6] offset:512
	v_add_co_u32 v5, vcc_lo, v5, s24
	v_add_nc_u32_e32 v21, 0x2100, v23
	v_add_co_ci_u32_e32 v6, vcc_lo, s25, v6, vcc_lo
	s_waitcnt vmcnt(0) lgkmcnt(0)
	ds_store_2addr_b64 v21, v[17:18], v[19:20] offset1:1
	flat_load_b128 v[17:20], v[5:6] offset:512
	v_dual_mov_b32 v5, v7 :: v_dual_mov_b32 v6, v8
	v_add_nc_u32_e32 v21, 0x3180, v23
	s_waitcnt vmcnt(0) lgkmcnt(0)
	ds_store_2addr_b64 v21, v[17:18], v[19:20] offset1:1
.LBB191_64:
	s_waitcnt lgkmcnt(0)
	s_barrier
	buffer_gl0_inv
	s_and_saveexec_b32 s8, s4
	s_cbranch_execnz .LBB191_89
; %bb.65:
	s_or_b32 exec_lo, exec_lo, s8
	s_and_saveexec_b32 s4, s5
	s_cbranch_execnz .LBB191_90
.LBB191_66:
	s_or_b32 exec_lo, exec_lo, s4
	s_and_saveexec_b32 s4, s6
	s_cbranch_execnz .LBB191_91
.LBB191_67:
	s_or_b32 exec_lo, exec_lo, s4
	v_add_nc_u32_e32 v15, 0x4700, v15
	s_and_saveexec_b32 s4, s7
	s_cbranch_execz .LBB191_69
.LBB191_68:
	ds_load_b128 v[17:20], v14
	s_waitcnt lgkmcnt(0)
	ds_store_b128 v16, v[17:20] offset:48
.LBB191_69:
	s_or_b32 exec_lo, exec_lo, s4
	s_waitcnt lgkmcnt(0)
	s_barrier
	buffer_gl0_inv
	ds_load_b128 v[16:19], v15 offset:512
	ds_load_b128 v[20:23], v13
	ds_load_b128 v[25:28], v24
	ds_load_b128 v[29:32], v15 offset:528
	ds_load_b128 v[45:48], v15 offset:544
	v_cmp_eq_u32_e64 s4, 1, v9
	s_waitcnt lgkmcnt(1)
	v_mul_f64 v[33:34], v[31:32], v[27:28]
	v_mul_f64 v[7:8], v[18:19], v[22:23]
	;; [unrolled: 1-line block ×4, first 2 shown]
	s_delay_alu instid0(VALU_DEP_4) | instskip(NEXT) | instid1(VALU_DEP_4)
	v_fma_f64 v[29:30], v[29:30], v[25:26], -v[33:34]
	v_fma_f64 v[7:8], v[16:17], v[20:21], -v[7:8]
	s_delay_alu instid0(VALU_DEP_4)
	v_fma_f64 v[40:41], v[18:19], v[20:21], v[22:23]
	ds_load_b128 v[16:19], v24 offset:528
	ds_load_b128 v[20:23], v14
	v_fma_f64 v[31:32], v[31:32], v[25:26], v[27:28]
	ds_load_b128 v[25:28], v15 offset:560
	s_waitcnt lgkmcnt(0)
	s_barrier
	buffer_gl0_inv
	v_mul_f64 v[49:50], v[47:48], v[18:19]
	v_mul_f64 v[18:19], v[45:46], v[18:19]
	v_add_f64 v[7:8], v[7:8], 0
	v_add_f64 v[33:34], v[40:41], 0
	v_mul_f64 v[40:41], v[27:28], v[22:23]
	v_mul_f64 v[22:23], v[25:26], v[22:23]
	v_fma_f64 v[45:46], v[45:46], v[16:17], -v[49:50]
	v_fma_f64 v[16:17], v[47:48], v[16:17], v[18:19]
	v_add_f64 v[7:8], v[7:8], v[29:30]
	v_add_f64 v[18:19], v[33:34], v[31:32]
	v_fma_f64 v[25:26], v[25:26], v[20:21], -v[40:41]
	v_fma_f64 v[20:21], v[27:28], v[20:21], v[22:23]
	s_delay_alu instid0(VALU_DEP_4) | instskip(NEXT) | instid1(VALU_DEP_4)
	v_add_f64 v[7:8], v[7:8], v[45:46]
	v_add_f64 v[18:19], v[18:19], v[16:17]
	s_delay_alu instid0(VALU_DEP_2) | instskip(NEXT) | instid1(VALU_DEP_2)
	v_add_f64 v[16:17], v[7:8], v[25:26]
	v_add_f64 v[18:19], v[18:19], v[20:21]
	ds_store_b128 v44, v[16:19]
	s_waitcnt lgkmcnt(0)
	s_barrier
	buffer_gl0_inv
	s_and_saveexec_b32 s5, s4
	s_cbranch_execz .LBB191_71
; %bb.70:
	ds_load_b128 v[0:3], v43
	ds_load_b128 v[16:19], v43 offset:16
	s_waitcnt lgkmcnt(0)
	v_add_f64 v[7:8], v[16:17], v[0:1]
	v_add_f64 v[20:21], v[18:19], v[2:3]
	ds_load_b128 v[0:3], v43 offset:32
	ds_load_b128 v[16:19], v43 offset:48
	s_waitcnt lgkmcnt(1)
	v_add_f64 v[0:1], v[7:8], v[0:1]
	v_add_f64 v[2:3], v[20:21], v[2:3]
	s_waitcnt lgkmcnt(0)
	s_delay_alu instid0(VALU_DEP_2) | instskip(NEXT) | instid1(VALU_DEP_2)
	v_add_f64 v[7:8], v[0:1], v[16:17]
	v_add_f64 v[20:21], v[2:3], v[18:19]
	ds_load_b128 v[0:3], v43 offset:64
	ds_load_b128 v[16:19], v43 offset:80
	s_waitcnt lgkmcnt(1)
	v_add_f64 v[0:1], v[7:8], v[0:1]
	v_add_f64 v[2:3], v[20:21], v[2:3]
	s_waitcnt lgkmcnt(0)
	s_delay_alu instid0(VALU_DEP_2) | instskip(NEXT) | instid1(VALU_DEP_2)
	;; [unrolled: 9-line block ×3, first 2 shown]
	v_add_f64 v[0:1], v[0:1], v[16:17]
	v_add_f64 v[2:3], v[2:3], v[18:19]
.LBB191_71:
	s_or_b32 exec_lo, exec_lo, s5
	v_add_co_u32 v5, vcc_lo, 0xfffffe00, v5
	v_add_co_ci_u32_e32 v6, vcc_lo, -1, v6, vcc_lo
	s_and_b32 vcc_lo, exec_lo, s17
	s_barrier
	buffer_gl0_inv
	s_cbranch_vccz .LBB191_92
; %bb.72:
	v_sub_co_u32 v7, vcc_lo, v5, v11
	s_ashr_i32 s11, s10, 31
	v_subrev_co_ci_u32_e32 v8, vcc_lo, 0, v6, vcc_lo
	s_lshl_b64 s[6:7], s[10:11], 4
	s_sub_i32 s8, s10, 32
	v_add_co_u32 v7, vcc_lo, v7, s6
	s_delay_alu instid0(VALU_DEP_2) | instskip(SKIP_1) | instid1(VALU_DEP_3)
	v_add_co_ci_u32_e32 v8, vcc_lo, s7, v8, vcc_lo
	v_cmp_le_i32_e64 s5, s8, v9
	v_add_co_u32 v7, vcc_lo, v7, -16
	s_delay_alu instid0(VALU_DEP_3) | instskip(SKIP_2) | instid1(VALU_DEP_3)
	v_add_co_ci_u32_e32 v8, vcc_lo, -1, v8, vcc_lo
	v_cmp_gt_i32_e32 vcc_lo, s10, v4
	v_add_lshl_u32 v19, v10, v4, 4
	v_dual_cndmask_b32 v8, v8, v6 :: v_dual_cndmask_b32 v7, v7, v5
	s_and_saveexec_b32 s11, s5
	s_delay_alu instid0(SALU_CYCLE_1)
	s_xor_b32 s5, exec_lo, s11
	s_cbranch_execz .LBB191_74
; %bb.73:
	v_mov_b32_e32 v20, 0
	s_delay_alu instid0(VALU_DEP_1)
	v_mov_b32_e32 v21, v20
	v_mov_b32_e32 v22, v20
	v_mov_b32_e32 v23, v20
	ds_store_b128 v19, v[20:23]
.LBB191_74:
	s_and_not1_saveexec_b32 s5, s5
	s_cbranch_execz .LBB191_76
; %bb.75:
	flat_load_b128 v[20:23], v[7:8]
	s_waitcnt vmcnt(0) lgkmcnt(0)
	ds_store_2addr_b64 v19, v[20:21], v[22:23] offset1:1
.LBB191_76:
	s_or_b32 exec_lo, exec_lo, s5
	v_add_nc_u32_e32 v16, 8, v9
	s_delay_alu instid0(VALU_DEP_1) | instskip(NEXT) | instid1(VALU_DEP_1)
	v_cmp_le_i32_e64 s5, s8, v16
	s_and_saveexec_b32 s11, s5
	s_delay_alu instid0(SALU_CYCLE_1)
	s_xor_b32 s5, exec_lo, s11
	s_cbranch_execz .LBB191_78
; %bb.77:
	v_mul_u32_u24_e32 v17, 33, v16
	v_mov_b32_e32 v20, 0
	s_delay_alu instid0(VALU_DEP_2) | instskip(NEXT) | instid1(VALU_DEP_2)
	v_add_lshl_u32 v17, v17, v4, 4
	v_mov_b32_e32 v21, v20
	v_mov_b32_e32 v22, v20
	;; [unrolled: 1-line block ×3, first 2 shown]
	ds_store_b128 v17, v[20:23]
.LBB191_78:
	s_and_not1_saveexec_b32 s11, s5
	s_cbranch_execz .LBB191_80
; %bb.79:
	s_lshl_b32 s24, s18, 3
	s_delay_alu instid0(SALU_CYCLE_1) | instskip(NEXT) | instid1(SALU_CYCLE_1)
	s_ashr_i32 s25, s24, 31
	s_lshl_b64 s[24:25], s[24:25], 4
	s_delay_alu instid0(SALU_CYCLE_1) | instskip(NEXT) | instid1(VALU_DEP_1)
	v_add_co_u32 v17, s5, v7, s24
	v_add_co_ci_u32_e64 v18, s5, s25, v8, s5
	flat_load_b128 v[20:23], v[17:18]
	v_add_nc_u32_e32 v17, 0x1080, v19
	s_waitcnt vmcnt(0) lgkmcnt(0)
	ds_store_2addr_b64 v17, v[20:21], v[22:23] offset1:1
.LBB191_80:
	s_or_b32 exec_lo, exec_lo, s11
	v_add_nc_u32_e32 v17, 16, v9
	s_delay_alu instid0(VALU_DEP_1) | instskip(NEXT) | instid1(VALU_DEP_1)
	v_cmp_le_i32_e64 s5, s8, v17
	s_and_saveexec_b32 s11, s5
	s_delay_alu instid0(SALU_CYCLE_1)
	s_xor_b32 s5, exec_lo, s11
	s_cbranch_execz .LBB191_82
; %bb.81:
	v_mul_u32_u24_e32 v18, 33, v17
	v_mov_b32_e32 v20, 0
	s_delay_alu instid0(VALU_DEP_2) | instskip(NEXT) | instid1(VALU_DEP_2)
	v_add_lshl_u32 v18, v18, v4, 4
	v_mov_b32_e32 v21, v20
	v_mov_b32_e32 v22, v20
	;; [unrolled: 1-line block ×3, first 2 shown]
	ds_store_b128 v18, v[20:23]
.LBB191_82:
	s_and_not1_saveexec_b32 s11, s5
	s_cbranch_execz .LBB191_84
; %bb.83:
	s_lshl_b32 s24, s18, 4
	v_add_nc_u32_e32 v18, 0x2100, v19
	s_ashr_i32 s25, s24, 31
	s_delay_alu instid0(SALU_CYCLE_1) | instskip(NEXT) | instid1(SALU_CYCLE_1)
	s_lshl_b64 s[24:25], s[24:25], 4
	v_add_co_u32 v20, s5, v7, s24
	s_delay_alu instid0(VALU_DEP_1)
	v_add_co_ci_u32_e64 v21, s5, s25, v8, s5
	flat_load_b128 v[20:23], v[20:21]
	s_waitcnt vmcnt(0) lgkmcnt(0)
	ds_store_2addr_b64 v18, v[20:21], v[22:23] offset1:1
.LBB191_84:
	s_or_b32 exec_lo, exec_lo, s11
	v_add_nc_u32_e32 v18, 24, v9
	s_delay_alu instid0(VALU_DEP_1) | instskip(NEXT) | instid1(VALU_DEP_1)
	v_cmp_le_i32_e64 s5, s8, v18
	s_and_saveexec_b32 s8, s5
	s_delay_alu instid0(SALU_CYCLE_1)
	s_xor_b32 s5, exec_lo, s8
	s_cbranch_execz .LBB191_86
; %bb.85:
	v_mov_b32_e32 v20, 0
	s_delay_alu instid0(VALU_DEP_1)
	v_mov_b32_e32 v21, v20
	v_mov_b32_e32 v22, v20
	;; [unrolled: 1-line block ×3, first 2 shown]
	ds_store_b128 v19, v[20:23] offset:12672
                                        ; implicit-def: $vgpr19
.LBB191_86:
	s_and_not1_saveexec_b32 s8, s5
	s_cbranch_execz .LBB191_88
; %bb.87:
	s_mul_i32 s24, s18, 24
	v_add_nc_u32_e32 v19, 0x3180, v19
	s_ashr_i32 s25, s24, 31
	s_delay_alu instid0(SALU_CYCLE_1) | instskip(NEXT) | instid1(SALU_CYCLE_1)
	s_lshl_b64 s[24:25], s[24:25], 4
	v_add_co_u32 v20, s5, v7, s24
	s_delay_alu instid0(VALU_DEP_1)
	v_add_co_ci_u32_e64 v21, s5, s25, v8, s5
	flat_load_b128 v[20:23], v[20:21]
	s_waitcnt vmcnt(0) lgkmcnt(0)
	ds_store_2addr_b64 v19, v[20:21], v[22:23] offset1:1
.LBB191_88:
	s_or_b32 exec_lo, exec_lo, s8
	v_add_co_u32 v7, s5, v7, v11
	s_delay_alu instid0(VALU_DEP_1) | instskip(NEXT) | instid1(VALU_DEP_2)
	v_add_co_ci_u32_e64 v8, s5, 0, v8, s5
	v_sub_co_u32 v7, s5, v7, s6
	s_delay_alu instid0(VALU_DEP_1) | instskip(NEXT) | instid1(VALU_DEP_2)
	v_subrev_co_ci_u32_e64 v8, s5, s7, v8, s5
	v_add_co_u32 v7, s5, v7, 16
	s_delay_alu instid0(VALU_DEP_1) | instskip(NEXT) | instid1(VALU_DEP_1)
	v_add_co_ci_u32_e64 v8, s5, 0, v8, s5
	v_dual_cndmask_b32 v40, v7, v5 :: v_dual_cndmask_b32 v41, v8, v6
	s_branch .LBB191_94
.LBB191_89:
	ds_load_b128 v[17:20], v13
	s_waitcnt lgkmcnt(0)
	ds_store_b128 v16, v[17:20]
	s_or_b32 exec_lo, exec_lo, s8
	s_and_saveexec_b32 s4, s5
	s_cbranch_execz .LBB191_66
.LBB191_90:
	ds_load_b128 v[17:20], v24
	s_waitcnt lgkmcnt(0)
	ds_store_b128 v16, v[17:20] offset:16
	s_or_b32 exec_lo, exec_lo, s4
	s_and_saveexec_b32 s4, s6
	s_cbranch_execz .LBB191_67
.LBB191_91:
	v_add_nc_u32_e32 v7, 0x210, v24
	ds_load_b128 v[17:20], v7
	s_waitcnt lgkmcnt(0)
	ds_store_b128 v16, v[17:20] offset:32
	s_or_b32 exec_lo, exec_lo, s4
	v_add_nc_u32_e32 v15, 0x4700, v15
	s_and_saveexec_b32 s4, s7
	s_cbranch_execnz .LBB191_68
	s_branch .LBB191_69
.LBB191_92:
                                        ; implicit-def: $vgpr40_vgpr41
                                        ; implicit-def: $vgpr16
                                        ; implicit-def: $vgpr17
                                        ; implicit-def: $vgpr18
	s_cbranch_execz .LBB191_94
; %bb.93:
	flat_load_b128 v[16:19], v[5:6]
	s_lshl_b32 s6, s18, 3
	v_add_lshl_u32 v4, v10, v4, 4
	s_ashr_i32 s7, s6, 31
	s_ashr_i32 s19, s18, 31
	s_lshl_b64 s[6:7], s[6:7], 4
	v_mov_b32_e32 v41, v6
	v_add_co_u32 v7, vcc_lo, v5, s6
	v_add_co_ci_u32_e32 v8, vcc_lo, s7, v6, vcc_lo
	s_lshl_b64 s[6:7], s[18:19], 7
	v_add_nc_u32_e32 v10, 0x1080, v4
	v_mov_b32_e32 v40, v5
	s_waitcnt vmcnt(0) lgkmcnt(0)
	ds_store_2addr_b64 v4, v[16:17], v[18:19] offset1:1
	flat_load_b128 v[16:19], v[7:8]
	v_add_co_u32 v7, vcc_lo, v7, s6
	v_add_co_ci_u32_e32 v8, vcc_lo, s7, v8, vcc_lo
	s_waitcnt vmcnt(0) lgkmcnt(0)
	ds_store_2addr_b64 v10, v[16:17], v[18:19] offset1:1
	flat_load_b128 v[16:19], v[7:8]
	v_add_co_u32 v7, vcc_lo, v7, s6
	v_add_nc_u32_e32 v10, 0x2100, v4
	v_add_co_ci_u32_e32 v8, vcc_lo, s7, v8, vcc_lo
	v_add_nc_u32_e32 v4, 0x3180, v4
	s_waitcnt vmcnt(0) lgkmcnt(0)
	ds_store_2addr_b64 v10, v[16:17], v[18:19] offset1:1
	flat_load_b128 v[19:22], v[7:8]
	v_add_nc_u32_e32 v16, 8, v9
	v_add_nc_u32_e32 v17, 16, v9
	;; [unrolled: 1-line block ×3, first 2 shown]
	s_waitcnt vmcnt(0) lgkmcnt(0)
	ds_store_2addr_b64 v4, v[19:20], v[21:22] offset1:1
.LBB191_94:
	v_lshlrev_b32_e32 v4, 4, v9
	s_waitcnt lgkmcnt(0)
	s_barrier
	buffer_gl0_inv
	v_add_lshl_u32 v23, v16, v12, 4
	ds_load_b128 v[8:11], v4 offset:18176
	ds_load_b128 v[19:22], v44
	v_lshlrev_b32_e32 v16, 4, v16
	ds_load_b128 v[4:7], v24 offset:528
	ds_load_b128 v[25:28], v23
	ds_load_b128 v[29:32], v16 offset:18176
	s_waitcnt lgkmcnt(3)
	v_mul_f64 v[33:34], v[21:22], v[10:11]
	v_mul_f64 v[10:11], v[19:20], v[10:11]
	s_delay_alu instid0(VALU_DEP_2) | instskip(NEXT) | instid1(VALU_DEP_2)
	v_fma_f64 v[53:54], v[19:20], v[8:9], -v[33:34]
	v_fma_f64 v[8:9], v[21:22], v[8:9], v[10:11]
	v_lshlrev_b32_e32 v10, 4, v17
	ds_load_b128 v[19:22], v10 offset:18176
	s_waitcnt lgkmcnt(1)
	v_mul_f64 v[49:50], v[27:28], v[31:32]
	v_mul_f64 v[51:52], v[25:26], v[31:32]
	v_add_lshl_u32 v16, v17, v12, 4
	v_add_lshl_u32 v10, v18, v12, 4
	ds_load_b128 v[45:48], v16
	ds_load_b128 v[31:34], v10
	s_waitcnt lgkmcnt(1)
	v_mul_f64 v[16:17], v[47:48], v[21:22]
	v_mul_f64 v[21:22], v[45:46], v[21:22]
	v_fma_f64 v[49:50], v[25:26], v[29:30], -v[49:50]
	v_fma_f64 v[29:30], v[27:28], v[29:30], v[51:52]
	v_add_f64 v[51:52], v[53:54], 0
	v_add_f64 v[53:54], v[8:9], 0
	v_lshlrev_b32_e32 v8, 4, v18
	ds_load_b128 v[25:28], v8 offset:18176
	ds_load_b128 v[8:11], v14
	v_fma_f64 v[16:17], v[45:46], v[19:20], -v[16:17]
	s_waitcnt lgkmcnt(1)
	v_mul_f64 v[55:56], v[33:34], v[27:28]
	v_mul_f64 v[27:28], v[31:32], v[27:28]
	v_fma_f64 v[18:19], v[47:48], v[19:20], v[21:22]
	v_add_f64 v[20:21], v[51:52], v[49:50]
	v_add_f64 v[22:23], v[53:54], v[29:30]
	v_fma_f64 v[29:30], v[31:32], v[25:26], -v[55:56]
	v_fma_f64 v[25:26], v[33:34], v[25:26], v[27:28]
	s_delay_alu instid0(VALU_DEP_4) | instskip(NEXT) | instid1(VALU_DEP_4)
	v_add_f64 v[16:17], v[20:21], v[16:17]
	v_add_f64 v[18:19], v[22:23], v[18:19]
	s_delay_alu instid0(VALU_DEP_2) | instskip(NEXT) | instid1(VALU_DEP_2)
	v_add_f64 v[45:46], v[16:17], v[29:30]
	v_add_f64 v[47:48], v[18:19], v[25:26]
	ds_load_b128 v[20:23], v15 offset:528
	ds_load_b128 v[16:19], v15 offset:544
	;; [unrolled: 1-line block ×3, first 2 shown]
	ds_load_b128 v[32:35], v13
	ds_load_b128 v[12:15], v15 offset:560
	ds_load_b128 v[24:27], v24
	s_waitcnt lgkmcnt(0)
	s_barrier
	buffer_gl0_inv
	ds_store_b128 v44, v[45:48]
	s_waitcnt lgkmcnt(0)
	s_barrier
	buffer_gl0_inv
	s_and_saveexec_b32 s5, s4
	s_cbranch_execz .LBB191_96
; %bb.95:
	ds_load_b128 v[45:48], v43
	ds_load_b128 v[49:52], v43 offset:16
	s_waitcnt lgkmcnt(1)
	v_add_f64 v[0:1], v[0:1], v[45:46]
	v_add_f64 v[2:3], v[2:3], v[47:48]
	s_waitcnt lgkmcnt(0)
	s_delay_alu instid0(VALU_DEP_2) | instskip(NEXT) | instid1(VALU_DEP_2)
	v_add_f64 v[49:50], v[0:1], v[49:50]
	v_add_f64 v[51:52], v[2:3], v[51:52]
	ds_load_b128 v[0:3], v43 offset:32
	ds_load_b128 v[45:48], v43 offset:48
	s_waitcnt lgkmcnt(1)
	v_add_f64 v[0:1], v[49:50], v[0:1]
	v_add_f64 v[2:3], v[51:52], v[2:3]
	s_waitcnt lgkmcnt(0)
	s_delay_alu instid0(VALU_DEP_2) | instskip(NEXT) | instid1(VALU_DEP_2)
	v_add_f64 v[49:50], v[0:1], v[45:46]
	v_add_f64 v[51:52], v[2:3], v[47:48]
	ds_load_b128 v[0:3], v43 offset:64
	;; [unrolled: 9-line block ×3, first 2 shown]
	ds_load_b128 v[45:48], v43 offset:112
	s_waitcnt lgkmcnt(1)
	v_add_f64 v[0:1], v[49:50], v[0:1]
	v_add_f64 v[2:3], v[51:52], v[2:3]
	s_waitcnt lgkmcnt(0)
	s_delay_alu instid0(VALU_DEP_2) | instskip(NEXT) | instid1(VALU_DEP_2)
	v_add_f64 v[0:1], v[0:1], v[45:46]
	v_add_f64 v[2:3], v[2:3], v[47:48]
.LBB191_96:
	s_or_b32 exec_lo, exec_lo, s5
	v_mul_f64 v[45:46], v[30:31], v[34:35]
	v_mul_f64 v[34:35], v[28:29], v[34:35]
	;; [unrolled: 1-line block ×4, first 2 shown]
	s_barrier
	buffer_gl0_inv
	v_fma_f64 v[28:29], v[28:29], v[32:33], -v[45:46]
	v_fma_f64 v[30:31], v[30:31], v[32:33], v[34:35]
	v_mul_f64 v[32:33], v[18:19], v[6:7]
	v_mul_f64 v[6:7], v[16:17], v[6:7]
	v_fma_f64 v[20:21], v[20:21], v[24:25], -v[47:48]
	v_fma_f64 v[22:23], v[22:23], v[24:25], v[26:27]
	v_add_f64 v[24:25], v[28:29], 0
	v_add_f64 v[26:27], v[30:31], 0
	v_mul_f64 v[28:29], v[14:15], v[10:11]
	v_mul_f64 v[10:11], v[12:13], v[10:11]
	v_fma_f64 v[16:17], v[16:17], v[4:5], -v[32:33]
	v_fma_f64 v[4:5], v[18:19], v[4:5], v[6:7]
	v_add_f64 v[6:7], v[24:25], v[20:21]
	v_add_f64 v[18:19], v[26:27], v[22:23]
	v_fma_f64 v[12:13], v[12:13], v[8:9], -v[28:29]
	v_fma_f64 v[8:9], v[14:15], v[8:9], v[10:11]
	s_delay_alu instid0(VALU_DEP_4) | instskip(NEXT) | instid1(VALU_DEP_4)
	v_add_f64 v[6:7], v[6:7], v[16:17]
	v_add_f64 v[10:11], v[18:19], v[4:5]
	s_delay_alu instid0(VALU_DEP_2) | instskip(NEXT) | instid1(VALU_DEP_2)
	v_add_f64 v[4:5], v[6:7], v[12:13]
	v_add_f64 v[6:7], v[10:11], v[8:9]
	ds_store_b128 v44, v[4:7]
	s_waitcnt lgkmcnt(0)
	s_barrier
	buffer_gl0_inv
	s_and_saveexec_b32 s4, s3
	s_cbranch_execz .LBB191_98
; %bb.97:
	ds_load_b128 v[4:7], v43
	ds_load_b128 v[8:11], v43 offset:16
	s_waitcnt lgkmcnt(1)
	v_add_f64 v[0:1], v[0:1], v[4:5]
	v_add_f64 v[2:3], v[2:3], v[6:7]
	s_waitcnt lgkmcnt(0)
	s_delay_alu instid0(VALU_DEP_2) | instskip(NEXT) | instid1(VALU_DEP_2)
	v_add_f64 v[8:9], v[0:1], v[8:9]
	v_add_f64 v[10:11], v[2:3], v[10:11]
	ds_load_b128 v[0:3], v43 offset:32
	ds_load_b128 v[4:7], v43 offset:48
	s_waitcnt lgkmcnt(1)
	v_add_f64 v[0:1], v[8:9], v[0:1]
	v_add_f64 v[2:3], v[10:11], v[2:3]
	s_waitcnt lgkmcnt(0)
	s_delay_alu instid0(VALU_DEP_2) | instskip(NEXT) | instid1(VALU_DEP_2)
	v_add_f64 v[8:9], v[0:1], v[4:5]
	v_add_f64 v[10:11], v[2:3], v[6:7]
	ds_load_b128 v[0:3], v43 offset:64
	;; [unrolled: 9-line block ×3, first 2 shown]
	ds_load_b128 v[4:7], v43 offset:112
	s_waitcnt lgkmcnt(1)
	v_add_f64 v[0:1], v[8:9], v[0:1]
	v_add_f64 v[2:3], v[10:11], v[2:3]
	s_waitcnt lgkmcnt(0)
	s_delay_alu instid0(VALU_DEP_2) | instskip(NEXT) | instid1(VALU_DEP_2)
	v_add_f64 v[0:1], v[0:1], v[4:5]
	v_add_f64 v[2:3], v[2:3], v[6:7]
.LBB191_98:
	s_or_b32 exec_lo, exec_lo, s4
	s_load_b64 s[0:1], s[0:1], 0x78
	s_mul_hi_u32 s3, s13, s12
	s_mul_i32 s28, s28, s12
	s_mul_i32 s4, s13, s12
	s_add_i32 s3, s3, s28
	s_mul_hi_u32 s5, s4, s15
	s_mul_i32 s3, s3, s15
	s_mul_i32 s4, s4, s15
	s_add_i32 s5, s5, s3
	s_mul_hi_i32 s7, s13, s14
	s_lshl_b64 s[4:5], s[4:5], 4
	s_mul_i32 s6, s13, s14
	v_lshlrev_b32_e32 v172, 4, v170
	s_waitcnt lgkmcnt(0)
	s_barrier
	buffer_gl0_inv
	s_add_u32 s3, s0, s4
	s_addc_u32 s4, s1, s5
	s_lshl_b64 s[0:1], s[6:7], 4
	s_delay_alu instid0(SALU_CYCLE_1) | instskip(SKIP_2) | instid1(SALU_CYCLE_1)
	s_add_u32 s3, s3, s0
	s_addc_u32 s11, s4, s1
	s_add_i32 s1, s14, 1
	s_cmp_ge_u32 s1, s15
	s_cbranch_scc1 .LBB191_156
; %bb.99:
	scratch_load_b32 v12, off, off offset:8 ; 4-byte Folded Reload
	v_and_b32_e32 v8, 48, v170
	v_add_nc_u32_e32 v9, 0x4300, v172
	v_and_b32_e32 v6, 15, v170
	v_lshrrev_b32_e32 v7, 4, v42
	v_or_b32_e32 v10, 0xf0, v172
	s_mul_i32 s4, s16, s9
	scratch_store_b32 off, v9, off          ; 4-byte Folded Spill
	v_lshlrev_b32_e32 v9, 4, v8
	s_ashr_i32 s5, s4, 31
	v_lshlrev_b32_e32 v11, 6, v7
	s_lshl_b64 s[4:5], s[4:5], 4
	s_ashr_i32 s19, s18, 31
	v_mad_u32_u24 v180, 0x430, v6, v9
	v_mad_u32_u24 v9, 0x430, v6, v10
	v_mul_i32_i24_e32 v10, 0xffffffd0, v7
	v_add_nc_u32_e32 v7, s16, v8
	v_sub_co_u32 v176, vcc_lo, v36, s4
	v_subrev_co_ci_u32_e32 v177, vcc_lo, s5, v37, vcc_lo
	v_mad_u32_u24 v182, 0x430, v6, v11
	s_lshl_b32 s12, s18, 4
	s_lshl_b32 s28, s18, 1
	s_mul_i32 s30, s18, 3
	s_mul_i32 s1, s9, s1
	s_lshl_b64 s[34:35], s[18:19], 5
	s_add_i32 s24, s15, -2
	s_lshl_b32 s25, s9, 6
	s_ashr_i32 s13, s12, 31
	s_ashr_i32 s29, s28, 31
	;; [unrolled: 1-line block ×3, first 2 shown]
	s_lshl_b64 s[8:9], s[18:19], 4
	s_lshl_b32 s4, s1, 6
	s_add_u32 s1, s34, s20
	scratch_store_b32 off, v9, off offset:4 ; 4-byte Folded Spill
	s_addc_u32 s5, s35, s21
	s_lshl_b64 s[16:17], s[30:31], 4
	s_lshl_b64 s[6:7], s[12:13], 6
	s_add_u32 s30, s8, s20
	s_addc_u32 s31, s9, s21
	s_mul_i32 s33, s18, 0x300
	s_mul_hi_i32 s36, s12, 48
	v_add_nc_u32_e32 v179, 0x4700, v172
	v_cmp_gt_u32_e64 s0, 64, v42
	v_add_nc_u32_e32 v242, v182, v10
	s_waitcnt vmcnt(0)
	v_lshlrev_b32_e32 v175, 2, v12
	v_lshl_add_u32 v186, v12, 6, 0x4300
	v_mad_u32_u24 v187, 0x10c0, v12, v172
	s_delay_alu instid0(VALU_DEP_3) | instskip(SKIP_2) | instid1(VALU_DEP_2)
	v_mad_u64_u32 v[4:5], null, v175, s18, v[170:171]
	v_add3_u32 v171, v7, v6, 64
	s_lshl_b64 s[18:19], s[28:29], 4
	v_ashrrev_i32_e32 v5, 31, v4
	s_delay_alu instid0(VALU_DEP_1) | instskip(SKIP_4) | instid1(VALU_DEP_3)
	v_lshlrev_b64 v[6:7], 4, v[4:5]
	v_add_co_u32 v4, vcc_lo, s22, v4
	v_add_co_ci_u32_e32 v5, vcc_lo, s23, v5, vcc_lo
	v_sub_co_u32 v200, vcc_lo, 0, v38
	v_sub_co_ci_u32_e32 v201, vcc_lo, 0, v39, vcc_lo
	v_lshlrev_b64 v[4:5], 4, v[4:5]
	v_add_co_u32 v11, vcc_lo, s1, v6
	v_add_co_ci_u32_e32 v12, vcc_lo, s5, v7, vcc_lo
	s_add_u32 s22, s20, s18
	s_delay_alu instid0(VALU_DEP_3) | instskip(NEXT) | instid1(VALU_DEP_3)
	v_mad_i64_i32 v[8:9], null, s12, 48, v[4:5]
	v_add_co_u32 v202, vcc_lo, v40, v11
	s_delay_alu instid0(VALU_DEP_3) | instskip(SKIP_2) | instid1(VALU_DEP_3)
	v_add_co_ci_u32_e32 v203, vcc_lo, v41, v12, vcc_lo
	s_addc_u32 s23, s21, s19
	s_add_u32 s28, s20, s16
	v_add_co_u32 v11, vcc_lo, v8, s16
	s_delay_alu instid0(VALU_DEP_4) | instskip(SKIP_2) | instid1(VALU_DEP_4)
	v_add_co_ci_u32_e32 v12, vcc_lo, s17, v9, vcc_lo
	v_add_co_u32 v13, vcc_lo, s30, v6
	v_add_co_ci_u32_e32 v14, vcc_lo, s31, v7, vcc_lo
	v_add_co_u32 v204, vcc_lo, v40, v11
	s_delay_alu instid0(VALU_DEP_4) | instskip(NEXT) | instid1(VALU_DEP_4)
	v_add_co_ci_u32_e32 v205, vcc_lo, v41, v12, vcc_lo
	v_add_co_u32 v206, vcc_lo, v40, v13
	s_delay_alu instid0(VALU_DEP_4) | instskip(SKIP_4) | instid1(VALU_DEP_4)
	v_add_co_ci_u32_e32 v207, vcc_lo, v41, v14, vcc_lo
	v_add_co_u32 v11, vcc_lo, v8, s18
	v_add_co_ci_u32_e32 v12, vcc_lo, s19, v9, vcc_lo
	v_add_co_u32 v13, vcc_lo, s20, v6
	;; [unrolled: 2-line block ×3, first 2 shown]
	s_delay_alu instid0(VALU_DEP_4) | instskip(NEXT) | instid1(VALU_DEP_4)
	v_add_co_ci_u32_e32 v209, vcc_lo, v41, v12, vcc_lo
	v_add_co_u32 v210, vcc_lo, v40, v13
	s_delay_alu instid0(VALU_DEP_4)
	v_add_co_ci_u32_e32 v211, vcc_lo, v41, v14, vcc_lo
	v_add_co_u32 v212, vcc_lo, v40, v8
	v_add_co_ci_u32_e32 v213, vcc_lo, v41, v9, vcc_lo
	v_add_co_u32 v11, vcc_lo, s22, v6
	;; [unrolled: 2-line block ×3, first 2 shown]
	v_add_co_ci_u32_e32 v9, vcc_lo, s9, v9, vcc_lo
	s_delay_alu instid0(VALU_DEP_4) | instskip(NEXT) | instid1(VALU_DEP_4)
	v_add_co_u32 v214, vcc_lo, v40, v11
	v_add_co_ci_u32_e32 v215, vcc_lo, v41, v12, vcc_lo
	s_delay_alu instid0(VALU_DEP_4) | instskip(NEXT) | instid1(VALU_DEP_4)
	v_add_co_u32 v216, vcc_lo, v40, v8
	v_add_co_ci_u32_e32 v217, vcc_lo, v41, v9, vcc_lo
	s_addc_u32 s29, s21, s17
	s_lshl_b64 s[22:23], s[12:13], 4
	v_add_co_u32 v8, vcc_lo, s28, v6
	s_add_u32 s28, s1, s22
	v_add_co_ci_u32_e32 v9, vcc_lo, s29, v7, vcc_lo
	s_addc_u32 s29, s5, s23
	v_add_co_u32 v11, vcc_lo, s28, v6
	v_add_co_ci_u32_e32 v12, vcc_lo, s29, v7, vcc_lo
	v_add_co_u32 v218, vcc_lo, v40, v8
	v_add_co_ci_u32_e32 v219, vcc_lo, v41, v9, vcc_lo
	s_delay_alu instid0(VALU_DEP_4)
	v_add_co_u32 v220, vcc_lo, v40, v11
	s_add_u32 s28, s33, s34
	v_add_co_ci_u32_e32 v221, vcc_lo, v41, v12, vcc_lo
	s_addc_u32 s29, s36, s35
	s_lshl_b64 s[12:13], s[12:13], 5
	v_add_co_u32 v4, vcc_lo, s28, v4
	s_add_u32 s28, s12, s20
	v_add_co_ci_u32_e32 v5, vcc_lo, s29, v5, vcc_lo
	s_addc_u32 s29, s13, s21
	s_add_u32 s33, s28, s16
	s_addc_u32 s34, s29, s17
	v_add_co_u32 v8, vcc_lo, s33, v6
	v_add_co_ci_u32_e32 v9, vcc_lo, s34, v7, vcc_lo
	v_add_co_u32 v222, vcc_lo, v40, v4
	v_add_co_ci_u32_e32 v223, vcc_lo, v41, v5, vcc_lo
	s_delay_alu instid0(VALU_DEP_4)
	v_add_co_u32 v224, vcc_lo, v40, v8
	s_add_u32 s30, s30, s22
	v_add_co_ci_u32_e32 v225, vcc_lo, v41, v9, vcc_lo
	s_addc_u32 s31, s31, s23
	v_add_co_u32 v4, vcc_lo, s30, v6
	s_add_u32 s30, s28, s18
	v_add_co_ci_u32_e32 v5, vcc_lo, s31, v7, vcc_lo
	s_addc_u32 s31, s29, s19
	v_add_co_u32 v8, vcc_lo, s30, v6
	v_add_co_ci_u32_e32 v9, vcc_lo, s31, v7, vcc_lo
	v_add_co_u32 v226, vcc_lo, v40, v4
	v_add_co_ci_u32_e32 v227, vcc_lo, v41, v5, vcc_lo
	s_delay_alu instid0(VALU_DEP_4)
	v_add_co_u32 v228, vcc_lo, v40, v8
	s_add_u32 s20, s20, s22
	v_add_co_ci_u32_e32 v229, vcc_lo, v41, v9, vcc_lo
	s_addc_u32 s21, s21, s23
	v_add_co_u32 v4, vcc_lo, s20, v6
	v_add_co_ci_u32_e32 v5, vcc_lo, s21, v7, vcc_lo
	v_add_co_u32 v8, vcc_lo, s28, v6
	v_add_co_ci_u32_e32 v9, vcc_lo, s29, v7, vcc_lo
	s_delay_alu instid0(VALU_DEP_4) | instskip(NEXT) | instid1(VALU_DEP_4)
	v_add_co_u32 v230, vcc_lo, v40, v4
	v_add_co_ci_u32_e32 v231, vcc_lo, v41, v5, vcc_lo
	s_delay_alu instid0(VALU_DEP_4)
	v_add_co_u32 v232, vcc_lo, v40, v8
	s_add_u32 s18, s20, s18
	v_add_co_ci_u32_e32 v233, vcc_lo, v41, v9, vcc_lo
	s_addc_u32 s19, s21, s19
	v_add_co_u32 v4, vcc_lo, s18, v6
	s_add_u32 s8, s28, s8
	v_add_co_ci_u32_e32 v5, vcc_lo, s19, v7, vcc_lo
	s_addc_u32 s9, s29, s9
	v_add_co_u32 v8, vcc_lo, s8, v6
	v_add_co_ci_u32_e32 v9, vcc_lo, s9, v7, vcc_lo
	v_add_co_u32 v234, vcc_lo, v40, v4
	v_add_co_ci_u32_e32 v235, vcc_lo, v41, v5, vcc_lo
	s_delay_alu instid0(VALU_DEP_4)
	v_add_co_u32 v236, vcc_lo, v40, v8
	s_add_u32 s8, s20, s16
	v_add_co_ci_u32_e32 v237, vcc_lo, v41, v9, vcc_lo
	s_addc_u32 s9, s21, s17
	v_add_co_u32 v4, vcc_lo, s8, v6
	s_add_u32 s1, s1, s12
	v_add_co_ci_u32_e32 v5, vcc_lo, s9, v7, vcc_lo
	s_addc_u32 s5, s5, s13
	v_add_co_u32 v6, vcc_lo, s1, v6
	v_add_co_ci_u32_e32 v7, vcc_lo, s5, v7, vcc_lo
	v_add_co_u32 v238, vcc_lo, v40, v4
	v_mov_b32_e32 v4, 0
	v_add_co_ci_u32_e32 v239, vcc_lo, v41, v5, vcc_lo
	v_add_co_u32 v240, vcc_lo, v40, v6
	v_or_b32_e32 v185, 3, v175
	v_add_nc_u32_e32 v255, 16, v175
	v_add_nc_u32_e32 v169, 17, v175
	;; [unrolled: 1-line block ×12, first 2 shown]
	v_add_co_ci_u32_e32 v241, vcc_lo, v41, v7, vcc_lo
	s_cmp_eq_u32 s24, s14
	s_cselect_b32 s12, s26, 0
	s_and_saveexec_b32 s1, s2
	s_cbranch_execz .LBB191_104
.LBB191_100:
	v_cmp_le_i32_e32 vcc_lo, s12, v170
	s_cmp_lg_u32 s12, 0
	s_cselect_b32 s5, -1, 0
	s_delay_alu instid0(SALU_CYCLE_1) | instskip(NEXT) | instid1(SALU_CYCLE_1)
	s_and_b32 s5, s5, vcc_lo
	s_and_saveexec_b32 s8, s5
	s_delay_alu instid0(SALU_CYCLE_1)
	s_xor_b32 s5, exec_lo, s8
	s_cbranch_execz .LBB191_102
; %bb.101:
	scratch_load_b32 v8, off, off           ; 4-byte Folded Reload
	v_mov_b32_e32 v5, v4
	v_mov_b32_e32 v6, v4
	;; [unrolled: 1-line block ×3, first 2 shown]
	s_waitcnt vmcnt(0)
	ds_store_b128 v8, v[4:7]
.LBB191_102:
	s_and_not1_saveexec_b32 s5, s5
	s_cbranch_execz .LBB191_104
; %bb.103:
	s_ashr_i32 s5, s4, 31
	s_delay_alu instid0(SALU_CYCLE_1) | instskip(NEXT) | instid1(SALU_CYCLE_1)
	s_lshl_b64 s[8:9], s[4:5], 4
	v_add_co_u32 v5, vcc_lo, v176, s8
	v_add_co_ci_u32_e32 v6, vcc_lo, s9, v177, vcc_lo
	flat_load_b128 v[5:8], v[5:6]
	scratch_load_b32 v9, off, off           ; 4-byte Folded Reload
	s_waitcnt vmcnt(0) lgkmcnt(0)
	ds_store_2addr_b64 v9, v[5:6], v[7:8] offset1:1
.LBB191_104:                            ; =>This Inner Loop Header: Depth=1
	s_or_b32 exec_lo, exec_lo, s1
	s_cmp_eq_u32 s12, 0
	v_add_co_u32 v17, vcc_lo, v210, v200
	s_cselect_b32 s5, -1, 0
	s_cmp_lg_u32 s12, 0
	v_add_co_ci_u32_e32 v18, vcc_lo, v211, v201, vcc_lo
	s_cselect_b32 s1, -1, 0
	s_waitcnt lgkmcnt(0)
	s_waitcnt_vscnt null, 0x0
	s_and_b32 vcc_lo, exec_lo, s1
	s_barrier
	buffer_gl0_inv
	s_cbranch_vccz .LBB191_112
; %bb.105:                              ;   in Loop: Header=BB191_104 Depth=1
	v_mov_b32_e32 v5, 0
	v_mov_b32_e32 v6, 0
	s_mov_b32 s8, exec_lo
	s_delay_alu instid0(VALU_DEP_1)
	v_dual_mov_b32 v10, v6 :: v_dual_mov_b32 v9, v5
	v_dual_mov_b32 v12, v6 :: v_dual_mov_b32 v11, v5
	v_cmpx_gt_i32_e64 s12, v175
	s_cbranch_execz .LBB191_107
; %bb.106:                              ;   in Loop: Header=BB191_104 Depth=1
	flat_load_b128 v[9:12], v[17:18]
.LBB191_107:                            ;   in Loop: Header=BB191_104 Depth=1
	s_or_b32 exec_lo, exec_lo, s8
	v_or_b32_e32 v7, 1, v175
	s_delay_alu instid0(VALU_DEP_1)
	v_cmp_gt_i32_e32 vcc_lo, s12, v7
	v_dual_mov_b32 v8, v6 :: v_dual_mov_b32 v7, v5
	s_and_saveexec_b32 s8, vcc_lo
	s_cbranch_execz .LBB191_109
; %bb.108:                              ;   in Loop: Header=BB191_104 Depth=1
	v_add_co_u32 v5, vcc_lo, v206, v200
	v_add_co_ci_u32_e32 v6, vcc_lo, v207, v201, vcc_lo
	flat_load_b128 v[5:8], v[5:6]
.LBB191_109:                            ;   in Loop: Header=BB191_104 Depth=1
	s_or_b32 exec_lo, exec_lo, s8
	v_mov_b32_e32 v13, 0
	v_mov_b32_e32 v14, 0
	v_or_b32_e32 v15, 2, v175
	s_mov_b64 s[8:9], 0
	s_delay_alu instid0(VALU_DEP_1) | instskip(NEXT) | instid1(VALU_DEP_3)
	v_cmp_gt_i32_e32 vcc_lo, s12, v15
	v_dual_mov_b32 v16, v14 :: v_dual_mov_b32 v15, v13
	s_and_saveexec_b32 s13, vcc_lo
	s_cbranch_execz .LBB191_111
; %bb.110:                              ;   in Loop: Header=BB191_104 Depth=1
	v_add_co_u32 v13, vcc_lo, v214, v200
	v_add_co_ci_u32_e32 v14, vcc_lo, v215, v201, vcc_lo
	flat_load_b128 v[13:16], v[13:14]
.LBB191_111:                            ;   in Loop: Header=BB191_104 Depth=1
	s_or_b32 exec_lo, exec_lo, s13
	v_cmp_gt_i32_e64 s13, s12, v185
	s_branch .LBB191_114
.LBB191_112:                            ;   in Loop: Header=BB191_104 Depth=1
	s_mov_b32 s13, 0
                                        ; implicit-def: $sgpr8_sgpr9
                                        ; implicit-def: $vgpr15_vgpr16
                                        ; implicit-def: $vgpr7_vgpr8
                                        ; implicit-def: $vgpr11_vgpr12
	s_cbranch_execz .LBB191_114
; %bb.113:                              ;   in Loop: Header=BB191_104 Depth=1
	s_waitcnt vmcnt(0) lgkmcnt(0)
	v_add_co_u32 v5, vcc_lo, v206, v200
	v_add_co_ci_u32_e32 v6, vcc_lo, v207, v201, vcc_lo
	v_add_co_u32 v13, vcc_lo, v202, v200
	v_add_co_ci_u32_e32 v14, vcc_lo, v203, v201, vcc_lo
	flat_load_b128 v[9:12], v[17:18]
	flat_load_b128 v[5:8], v[5:6]
	;; [unrolled: 1-line block ×3, first 2 shown]
	s_or_b32 s13, s13, exec_lo
                                        ; implicit-def: $sgpr8_sgpr9
.LBB191_114:                            ;   in Loop: Header=BB191_104 Depth=1
	v_dual_mov_b32 v18, s9 :: v_dual_mov_b32 v17, s8
	v_dual_mov_b32 v20, s9 :: v_dual_mov_b32 v19, s8
	s_delay_alu instid0(VALU_DEP_3)
	s_and_saveexec_b32 s8, s13
	s_cbranch_execz .LBB191_116
; %bb.115:                              ;   in Loop: Header=BB191_104 Depth=1
	v_add_co_u32 v17, vcc_lo, v218, v200
	v_add_co_ci_u32_e32 v18, vcc_lo, v219, v201, vcc_lo
	flat_load_b128 v[17:20], v[17:18]
.LBB191_116:                            ;   in Loop: Header=BB191_104 Depth=1
	s_or_b32 exec_lo, exec_lo, s8
	ds_load_b128 v[25:28], v179
	ds_load_b128 v[21:24], v186
	v_add_co_u32 v49, vcc_lo, v230, v200
	v_cndmask_b32_e64 v117, 0, 1, s1
	v_add_co_ci_u32_e32 v50, vcc_lo, v231, v201, vcc_lo
	s_and_not1_b32 vcc_lo, exec_lo, s1
	s_waitcnt vmcnt(0) lgkmcnt(1)
	v_mul_f64 v[29:30], v[11:12], v[27:28]
	v_mul_f64 v[31:32], v[9:10], v[27:28]
	;; [unrolled: 1-line block ×8, first 2 shown]
	v_fma_f64 v[27:28], v[9:10], v[25:26], -v[29:30]
	v_fma_f64 v[29:30], v[11:12], v[25:26], v[31:32]
	v_fma_f64 v[37:38], v[5:6], v[25:26], -v[33:34]
	v_fma_f64 v[39:40], v[7:8], v[25:26], v[35:36]
	;; [unrolled: 2-line block ×4, first 2 shown]
	ds_store_b128 v187, v[27:30]
	ds_load_b128 v[33:36], v186 offset:16
	ds_store_b128 v187, v[37:40] offset:1072
	ds_load_b128 v[29:32], v186 offset:32
	ds_store_b128 v187, v[41:44] offset:2144
	;; [unrolled: 2-line block ×3, first 2 shown]
	s_waitcnt lgkmcnt(0)
	s_barrier
	buffer_gl0_inv
	ds_load_b128 v[93:96], v182
	ds_load_b128 v[89:92], v182 offset:16
	ds_load_b128 v[85:88], v182 offset:32
	;; [unrolled: 1-line block ×3, first 2 shown]
	s_waitcnt lgkmcnt(0)
	s_barrier
	buffer_gl0_inv
	s_cbranch_vccnz .LBB191_124
; %bb.117:                              ;   in Loop: Header=BB191_104 Depth=1
	v_mov_b32_e32 v37, 0
	v_mov_b32_e32 v38, 0
	s_mov_b32 s1, exec_lo
	s_delay_alu instid0(VALU_DEP_1)
	v_dual_mov_b32 v42, v38 :: v_dual_mov_b32 v41, v37
	v_dual_mov_b32 v44, v38 :: v_dual_mov_b32 v43, v37
	v_cmpx_gt_i32_e64 s12, v255
	s_cbranch_execz .LBB191_119
; %bb.118:                              ;   in Loop: Header=BB191_104 Depth=1
	flat_load_b128 v[41:44], v[49:50]
.LBB191_119:                            ;   in Loop: Header=BB191_104 Depth=1
	s_or_b32 exec_lo, exec_lo, s1
	v_dual_mov_b32 v40, v38 :: v_dual_mov_b32 v39, v37
	s_mov_b32 s1, exec_lo
	v_cmpx_gt_i32_e64 s12, v169
	s_cbranch_execz .LBB191_121
; %bb.120:                              ;   in Loop: Header=BB191_104 Depth=1
	v_add_co_u32 v37, vcc_lo, v226, v200
	v_add_co_ci_u32_e32 v38, vcc_lo, v227, v201, vcc_lo
	flat_load_b128 v[37:40], v[37:38]
.LBB191_121:                            ;   in Loop: Header=BB191_104 Depth=1
	s_or_b32 exec_lo, exec_lo, s1
	v_mov_b32_e32 v45, 0
	v_mov_b32_e32 v46, 0
	s_mov_b64 s[8:9], 0
	s_mov_b32 s1, exec_lo
	s_delay_alu instid0(VALU_DEP_1)
	v_dual_mov_b32 v48, v46 :: v_dual_mov_b32 v47, v45
	v_cmpx_gt_i32_e64 s12, v173
	s_cbranch_execz .LBB191_123
; %bb.122:                              ;   in Loop: Header=BB191_104 Depth=1
	v_add_co_u32 v45, vcc_lo, v234, v200
	v_add_co_ci_u32_e32 v46, vcc_lo, v235, v201, vcc_lo
	flat_load_b128 v[45:48], v[45:46]
.LBB191_123:                            ;   in Loop: Header=BB191_104 Depth=1
	s_or_b32 exec_lo, exec_lo, s1
	v_cmp_gt_i32_e64 s1, s12, v174
	s_branch .LBB191_126
.LBB191_124:                            ;   in Loop: Header=BB191_104 Depth=1
	s_mov_b32 s1, 0
                                        ; implicit-def: $sgpr8_sgpr9
                                        ; implicit-def: $vgpr47_vgpr48
                                        ; implicit-def: $vgpr39_vgpr40
                                        ; implicit-def: $vgpr43_vgpr44
	s_cbranch_execz .LBB191_126
; %bb.125:                              ;   in Loop: Header=BB191_104 Depth=1
	s_waitcnt vmcnt(0) lgkmcnt(0)
	v_add_co_u32 v37, vcc_lo, v226, v200
	v_add_co_ci_u32_e32 v38, vcc_lo, v227, v201, vcc_lo
	v_add_co_u32 v45, vcc_lo, v220, v200
	v_add_co_ci_u32_e32 v46, vcc_lo, v221, v201, vcc_lo
	flat_load_b128 v[41:44], v[49:50]
	flat_load_b128 v[37:40], v[37:38]
	;; [unrolled: 1-line block ×3, first 2 shown]
	s_or_b32 s1, s1, exec_lo
                                        ; implicit-def: $sgpr8_sgpr9
.LBB191_126:                            ;   in Loop: Header=BB191_104 Depth=1
	v_dual_mov_b32 v50, s9 :: v_dual_mov_b32 v49, s8
	v_dual_mov_b32 v52, s9 :: v_dual_mov_b32 v51, s8
	s_delay_alu instid0(VALU_DEP_3)
	s_and_saveexec_b32 s8, s1
	s_cbranch_execz .LBB191_128
; %bb.127:                              ;   in Loop: Header=BB191_104 Depth=1
	v_add_co_u32 v49, vcc_lo, v238, v200
	v_add_co_ci_u32_e32 v50, vcc_lo, v239, v201, vcc_lo
	flat_load_b128 v[49:52], v[49:50]
.LBB191_128:                            ;   in Loop: Header=BB191_104 Depth=1
	s_or_b32 exec_lo, exec_lo, s8
	ds_load_b128 v[57:60], v179
	ds_load_b128 v[53:56], v186 offset:256
	v_cmp_ne_u32_e32 vcc_lo, 1, v117
	v_add_co_u32 v97, s1, v232, v200
	s_delay_alu instid0(VALU_DEP_1)
	v_add_co_ci_u32_e64 v98, s1, v233, v201, s1
	s_and_b32 vcc_lo, exec_lo, vcc_lo
	s_waitcnt vmcnt(0) lgkmcnt(1)
	v_mul_f64 v[61:62], v[43:44], v[59:60]
	v_mul_f64 v[63:64], v[41:42], v[59:60]
	;; [unrolled: 1-line block ×8, first 2 shown]
	v_fma_f64 v[59:60], v[41:42], v[57:58], -v[61:62]
	v_fma_f64 v[61:62], v[43:44], v[57:58], v[63:64]
	v_fma_f64 v[69:70], v[37:38], v[57:58], -v[65:66]
	v_fma_f64 v[71:72], v[39:40], v[57:58], v[67:68]
	;; [unrolled: 2-line block ×4, first 2 shown]
	ds_store_b128 v187, v[59:62]
	ds_load_b128 v[65:68], v186 offset:272
	ds_store_b128 v187, v[69:72] offset:1072
	ds_load_b128 v[61:64], v186 offset:288
	ds_store_b128 v187, v[73:76] offset:2144
	;; [unrolled: 2-line block ×3, first 2 shown]
	s_waitcnt lgkmcnt(0)
	s_barrier
	buffer_gl0_inv
	ds_load_b128 v[141:144], v182
	ds_load_b128 v[137:140], v182 offset:16
	ds_load_b128 v[133:136], v182 offset:32
	;; [unrolled: 1-line block ×3, first 2 shown]
	s_waitcnt lgkmcnt(0)
	s_barrier
	buffer_gl0_inv
	s_cbranch_vccnz .LBB191_136
; %bb.129:                              ;   in Loop: Header=BB191_104 Depth=1
	v_mov_b32_e32 v69, 0
	v_mov_b32_e32 v70, 0
	s_mov_b32 s1, exec_lo
	s_delay_alu instid0(VALU_DEP_1)
	v_dual_mov_b32 v74, v70 :: v_dual_mov_b32 v73, v69
	v_dual_mov_b32 v76, v70 :: v_dual_mov_b32 v75, v69
	v_cmpx_gt_i32_e64 s12, v178
	s_cbranch_execz .LBB191_131
; %bb.130:                              ;   in Loop: Header=BB191_104 Depth=1
	flat_load_b128 v[73:76], v[97:98]
.LBB191_131:                            ;   in Loop: Header=BB191_104 Depth=1
	s_or_b32 exec_lo, exec_lo, s1
	v_dual_mov_b32 v72, v70 :: v_dual_mov_b32 v71, v69
	s_mov_b32 s1, exec_lo
	v_cmpx_gt_i32_e64 s12, v181
	s_cbranch_execz .LBB191_133
; %bb.132:                              ;   in Loop: Header=BB191_104 Depth=1
	v_add_co_u32 v69, vcc_lo, v236, v200
	v_add_co_ci_u32_e32 v70, vcc_lo, v237, v201, vcc_lo
	flat_load_b128 v[69:72], v[69:70]
.LBB191_133:                            ;   in Loop: Header=BB191_104 Depth=1
	s_or_b32 exec_lo, exec_lo, s1
	v_mov_b32_e32 v77, 0
	v_mov_b32_e32 v78, 0
	s_mov_b64 s[8:9], 0
	s_mov_b32 s1, exec_lo
	s_delay_alu instid0(VALU_DEP_1)
	v_dual_mov_b32 v80, v78 :: v_dual_mov_b32 v79, v77
	v_cmpx_gt_i32_e64 s12, v183
	s_cbranch_execz .LBB191_135
; %bb.134:                              ;   in Loop: Header=BB191_104 Depth=1
	v_add_co_u32 v77, vcc_lo, v228, v200
	v_add_co_ci_u32_e32 v78, vcc_lo, v229, v201, vcc_lo
	flat_load_b128 v[77:80], v[77:78]
.LBB191_135:                            ;   in Loop: Header=BB191_104 Depth=1
	s_or_b32 exec_lo, exec_lo, s1
	v_cmp_gt_i32_e64 s1, s12, v184
	s_branch .LBB191_138
.LBB191_136:                            ;   in Loop: Header=BB191_104 Depth=1
	s_mov_b32 s1, 0
                                        ; implicit-def: $sgpr8_sgpr9
                                        ; implicit-def: $vgpr79_vgpr80
                                        ; implicit-def: $vgpr71_vgpr72
                                        ; implicit-def: $vgpr75_vgpr76
	s_cbranch_execz .LBB191_138
; %bb.137:                              ;   in Loop: Header=BB191_104 Depth=1
	s_waitcnt vmcnt(0) lgkmcnt(0)
	v_add_co_u32 v69, vcc_lo, v236, v200
	v_add_co_ci_u32_e32 v70, vcc_lo, v237, v201, vcc_lo
	v_add_co_u32 v77, vcc_lo, v240, v200
	v_add_co_ci_u32_e32 v78, vcc_lo, v241, v201, vcc_lo
	flat_load_b128 v[73:76], v[97:98]
	flat_load_b128 v[69:72], v[69:70]
	;; [unrolled: 1-line block ×3, first 2 shown]
	s_or_b32 s1, s1, exec_lo
                                        ; implicit-def: $sgpr8_sgpr9
.LBB191_138:                            ;   in Loop: Header=BB191_104 Depth=1
	v_dual_mov_b32 v98, s9 :: v_dual_mov_b32 v97, s8
	v_dual_mov_b32 v100, s9 :: v_dual_mov_b32 v99, s8
	s_delay_alu instid0(VALU_DEP_3)
	s_and_saveexec_b32 s8, s1
	s_cbranch_execz .LBB191_140
; %bb.139:                              ;   in Loop: Header=BB191_104 Depth=1
	v_add_co_u32 v97, vcc_lo, v224, v200
	v_add_co_ci_u32_e32 v98, vcc_lo, v225, v201, vcc_lo
	flat_load_b128 v[97:100], v[97:98]
.LBB191_140:                            ;   in Loop: Header=BB191_104 Depth=1
	s_or_b32 exec_lo, exec_lo, s8
	ds_load_b128 v[105:108], v179
	ds_load_b128 v[101:104], v186 offset:512
	v_cmp_ne_u32_e32 vcc_lo, 1, v117
	s_and_b32 vcc_lo, exec_lo, vcc_lo
	s_waitcnt vmcnt(0) lgkmcnt(1)
	v_mul_f64 v[109:110], v[75:76], v[107:108]
	v_mul_f64 v[111:112], v[73:74], v[107:108]
	;; [unrolled: 1-line block ×8, first 2 shown]
	v_fma_f64 v[107:108], v[73:74], v[105:106], -v[109:110]
	v_fma_f64 v[109:110], v[75:76], v[105:106], v[111:112]
	v_fma_f64 v[118:119], v[69:70], v[105:106], -v[113:114]
	v_fma_f64 v[120:121], v[71:72], v[105:106], v[115:116]
	;; [unrolled: 2-line block ×4, first 2 shown]
	ds_store_b128 v187, v[107:110]
	ds_load_b128 v[113:116], v186 offset:528
	ds_store_b128 v187, v[118:121] offset:1072
	ds_load_b128 v[109:112], v186 offset:544
	ds_store_b128 v187, v[122:125] offset:2144
	ds_load_b128 v[105:108], v186 offset:560
	ds_store_b128 v187, v[145:148] offset:3216
	s_waitcnt lgkmcnt(0)
	s_barrier
	buffer_gl0_inv
	ds_load_b128 v[165:168], v182
	ds_load_b128 v[161:164], v182 offset:16
	ds_load_b128 v[153:156], v182 offset:32
	;; [unrolled: 1-line block ×3, first 2 shown]
	v_add_co_u32 v145, s1, v212, v200
	s_delay_alu instid0(VALU_DEP_1)
	v_add_co_ci_u32_e64 v146, s1, v213, v201, s1
	s_waitcnt lgkmcnt(0)
	s_barrier
	buffer_gl0_inv
	s_cbranch_vccnz .LBB191_148
; %bb.141:                              ;   in Loop: Header=BB191_104 Depth=1
	v_mov_b32_e32 v117, 0
	v_mov_b32_e32 v118, 0
	s_mov_b32 s1, exec_lo
	s_delay_alu instid0(VALU_DEP_1)
	v_dual_mov_b32 v122, v118 :: v_dual_mov_b32 v121, v117
	v_dual_mov_b32 v124, v118 :: v_dual_mov_b32 v123, v117
	v_cmpx_gt_i32_e64 s12, v196
	s_cbranch_execz .LBB191_143
; %bb.142:                              ;   in Loop: Header=BB191_104 Depth=1
	flat_load_b128 v[121:124], v[145:146]
.LBB191_143:                            ;   in Loop: Header=BB191_104 Depth=1
	s_or_b32 exec_lo, exec_lo, s1
	v_dual_mov_b32 v120, v118 :: v_dual_mov_b32 v119, v117
	s_mov_b32 s1, exec_lo
	v_cmpx_gt_i32_e64 s12, v197
	s_cbranch_execz .LBB191_145
; %bb.144:                              ;   in Loop: Header=BB191_104 Depth=1
	v_add_co_u32 v117, vcc_lo, v216, v200
	v_add_co_ci_u32_e32 v118, vcc_lo, v217, v201, vcc_lo
	flat_load_b128 v[117:120], v[117:118]
.LBB191_145:                            ;   in Loop: Header=BB191_104 Depth=1
	s_or_b32 exec_lo, exec_lo, s1
	v_mov_b32_e32 v125, 0
	v_mov_b32_e32 v126, 0
	s_mov_b64 s[8:9], 0
	s_mov_b32 s1, exec_lo
	s_delay_alu instid0(VALU_DEP_1)
	v_dual_mov_b32 v128, v126 :: v_dual_mov_b32 v127, v125
	v_cmpx_gt_i32_e64 s12, v198
	s_cbranch_execz .LBB191_147
; %bb.146:                              ;   in Loop: Header=BB191_104 Depth=1
	v_add_co_u32 v125, vcc_lo, v208, v200
	v_add_co_ci_u32_e32 v126, vcc_lo, v209, v201, vcc_lo
	flat_load_b128 v[125:128], v[125:126]
.LBB191_147:                            ;   in Loop: Header=BB191_104 Depth=1
	s_or_b32 exec_lo, exec_lo, s1
	v_cmp_gt_i32_e64 s1, s12, v199
	s_branch .LBB191_150
.LBB191_148:                            ;   in Loop: Header=BB191_104 Depth=1
	s_mov_b32 s1, 0
                                        ; implicit-def: $sgpr8_sgpr9
                                        ; implicit-def: $vgpr127_vgpr128
                                        ; implicit-def: $vgpr119_vgpr120
                                        ; implicit-def: $vgpr123_vgpr124
	s_cbranch_execz .LBB191_150
; %bb.149:                              ;   in Loop: Header=BB191_104 Depth=1
	s_waitcnt vmcnt(0) lgkmcnt(0)
	v_add_co_u32 v117, vcc_lo, v216, v200
	v_add_co_ci_u32_e32 v118, vcc_lo, v217, v201, vcc_lo
	v_add_co_u32 v125, vcc_lo, v222, v200
	v_add_co_ci_u32_e32 v126, vcc_lo, v223, v201, vcc_lo
	flat_load_b128 v[121:124], v[145:146]
	flat_load_b128 v[117:120], v[117:118]
	;; [unrolled: 1-line block ×3, first 2 shown]
	s_or_b32 s1, s1, exec_lo
                                        ; implicit-def: $sgpr8_sgpr9
.LBB191_150:                            ;   in Loop: Header=BB191_104 Depth=1
	v_dual_mov_b32 v146, s9 :: v_dual_mov_b32 v145, s8
	v_dual_mov_b32 v148, s9 :: v_dual_mov_b32 v147, s8
	s_delay_alu instid0(VALU_DEP_3)
	s_and_saveexec_b32 s8, s1
	s_cbranch_execz .LBB191_152
; %bb.151:                              ;   in Loop: Header=BB191_104 Depth=1
	v_add_co_u32 v145, vcc_lo, v204, v200
	v_add_co_ci_u32_e32 v146, vcc_lo, v205, v201, vcc_lo
	flat_load_b128 v[145:148], v[145:146]
.LBB191_152:                            ;   in Loop: Header=BB191_104 Depth=1
	s_or_b32 exec_lo, exec_lo, s8
	v_add_f64 v[93:94], v[93:94], 0
	v_add_f64 v[95:96], v[95:96], 0
	ds_load_b128 v[243:246], v179
	ds_load_b128 v[157:160], v186 offset:768
	v_add_f64 v[165:166], v[165:166], 0
	v_add_f64 v[167:168], v[167:168], 0
	v_cmp_gt_i32_e32 vcc_lo, s12, v170
	s_or_b32 s1, s5, vcc_lo
	s_delay_alu instid0(SALU_CYCLE_1)
	s_and_b32 s5, s0, s1
	s_waitcnt vmcnt(0) lgkmcnt(1)
	v_mul_f64 v[188:189], v[123:124], v[245:246]
	v_mul_f64 v[190:191], v[121:122], v[245:246]
	;; [unrolled: 1-line block ×4, first 2 shown]
	v_add_f64 v[89:90], v[93:94], v[89:90]
	v_add_f64 v[91:92], v[95:96], v[91:92]
	;; [unrolled: 1-line block ×4, first 2 shown]
	v_fma_f64 v[247:248], v[121:122], v[243:244], -v[188:189]
	v_fma_f64 v[249:250], v[123:124], v[243:244], v[190:191]
	v_mul_f64 v[188:189], v[119:120], v[245:246]
	v_mul_f64 v[190:191], v[117:118], v[245:246]
	v_fma_f64 v[192:193], v[145:146], v[243:244], -v[192:193]
	v_fma_f64 v[194:195], v[147:148], v[243:244], v[194:195]
	v_add_f64 v[85:86], v[89:90], v[85:86]
	v_add_f64 v[87:88], v[91:92], v[87:88]
	;; [unrolled: 1-line block ×4, first 2 shown]
	ds_store_b128 v187, v[247:250]
	v_fma_f64 v[251:252], v[117:118], v[243:244], -v[188:189]
	v_fma_f64 v[253:254], v[119:120], v[243:244], v[190:191]
	v_mul_f64 v[188:189], v[127:128], v[245:246]
	v_mul_f64 v[190:191], v[125:126], v[245:246]
	ds_load_b128 v[89:92], v186 offset:784
	v_add_f64 v[93:94], v[85:86], v[81:82]
	v_add_f64 v[95:96], v[87:88], v[83:84]
	;; [unrolled: 1-line block ×6, first 2 shown]
	ds_store_b128 v187, v[251:254] offset:1072
	v_fma_f64 v[188:189], v[125:126], v[243:244], -v[188:189]
	v_fma_f64 v[190:191], v[127:128], v[243:244], v[190:191]
	ds_load_b128 v[85:88], v186 offset:800
	v_add_f64 v[81:82], v[81:82], v[137:138]
	v_add_f64 v[83:84], v[83:84], v[139:140]
	ds_store_b128 v187, v[188:191] offset:2144
	v_add_f64 v[81:82], v[81:82], v[133:134]
	v_add_f64 v[83:84], v[83:84], v[135:136]
	s_delay_alu instid0(VALU_DEP_2) | instskip(NEXT) | instid1(VALU_DEP_2)
	v_add_f64 v[129:130], v[81:82], v[129:130]
	v_add_f64 v[131:132], v[83:84], v[131:132]
	ds_load_b128 v[81:84], v186 offset:816
	ds_store_b128 v187, v[192:195] offset:3216
	s_waitcnt lgkmcnt(0)
	s_barrier
	buffer_gl0_inv
	ds_load_b128 v[133:136], v182
	ds_load_b128 v[137:140], v182 offset:16
	s_waitcnt lgkmcnt(1)
	v_add_f64 v[133:134], v[133:134], 0
	v_add_f64 v[135:136], v[135:136], 0
	s_waitcnt lgkmcnt(0)
	s_delay_alu instid0(VALU_DEP_2) | instskip(NEXT) | instid1(VALU_DEP_2)
	v_add_f64 v[141:142], v[133:134], v[137:138]
	v_add_f64 v[143:144], v[135:136], v[139:140]
	ds_load_b128 v[133:136], v182 offset:32
	ds_load_b128 v[137:140], v182 offset:48
	s_waitcnt lgkmcnt(0)
	s_barrier
	buffer_gl0_inv
	ds_store_b128 v242, v[93:96]
	ds_store_b128 v242, v[129:132] offset:256
	ds_store_b128 v242, v[149:152] offset:512
	v_add_f64 v[133:134], v[141:142], v[133:134]
	v_add_f64 v[135:136], v[143:144], v[135:136]
	s_delay_alu instid0(VALU_DEP_2) | instskip(NEXT) | instid1(VALU_DEP_2)
	v_add_f64 v[133:134], v[133:134], v[137:138]
	v_add_f64 v[135:136], v[135:136], v[139:140]
	ds_store_b128 v242, v[133:136] offset:768
	s_waitcnt lgkmcnt(0)
	s_barrier
	buffer_gl0_inv
	s_and_saveexec_b32 s1, s5
	s_cbranch_execz .LBB191_154
; %bb.153:                              ;   in Loop: Header=BB191_104 Depth=1
	ds_load_b128 v[93:96], v180
	ds_load_b128 v[129:132], v180 offset:16
	s_waitcnt lgkmcnt(0)
	v_add_f64 v[133:134], v[129:130], v[93:94]
	v_add_f64 v[135:136], v[131:132], v[95:96]
	ds_load_b128 v[93:96], v180 offset:32
	ds_load_b128 v[129:132], v180 offset:48
	s_waitcnt lgkmcnt(1)
	v_add_f64 v[93:94], v[133:134], v[93:94]
	v_add_f64 v[95:96], v[135:136], v[95:96]
	s_waitcnt lgkmcnt(0)
	s_delay_alu instid0(VALU_DEP_2) | instskip(NEXT) | instid1(VALU_DEP_2)
	v_add_f64 v[133:134], v[93:94], v[129:130]
	v_add_f64 v[135:136], v[95:96], v[131:132]
	ds_load_b128 v[93:96], v180 offset:64
	ds_load_b128 v[129:132], v180 offset:80
	s_waitcnt lgkmcnt(1)
	v_add_f64 v[93:94], v[133:134], v[93:94]
	v_add_f64 v[95:96], v[135:136], v[95:96]
	s_waitcnt lgkmcnt(0)
	s_delay_alu instid0(VALU_DEP_2) | instskip(NEXT) | instid1(VALU_DEP_2)
	;; [unrolled: 9-line block ×5, first 2 shown]
	v_add_f64 v[133:134], v[93:94], v[129:130]
	v_add_f64 v[135:136], v[95:96], v[131:132]
	ds_load_b128 v[93:96], v180 offset:192
	ds_load_b128 v[129:132], v180 offset:208
	s_waitcnt lgkmcnt(1)
	v_add_f64 v[93:94], v[133:134], v[93:94]
	v_add_f64 v[95:96], v[135:136], v[95:96]
	s_waitcnt lgkmcnt(0)
	s_delay_alu instid0(VALU_DEP_2)
	v_add_f64 v[133:134], v[93:94], v[129:130]
	scratch_load_b32 v129, off, off offset:4 ; 4-byte Folded Reload
	v_add_f64 v[135:136], v[95:96], v[131:132]
	ds_load_b128 v[93:96], v180 offset:224
	s_waitcnt vmcnt(0)
	ds_load_b128 v[129:132], v129
	s_waitcnt lgkmcnt(1)
	v_add_f64 v[93:94], v[133:134], v[93:94]
	v_add_f64 v[95:96], v[135:136], v[95:96]
	s_waitcnt lgkmcnt(0)
	s_delay_alu instid0(VALU_DEP_2) | instskip(NEXT) | instid1(VALU_DEP_2)
	v_add_f64 v[93:94], v[93:94], v[129:130]
	v_add_f64 v[95:96], v[95:96], v[131:132]
	v_mov_b32_e32 v131, v172
	v_ashrrev_i32_e32 v172, 31, v171
	s_delay_alu instid0(VALU_DEP_1) | instskip(NEXT) | instid1(VALU_DEP_3)
	v_lshlrev_b64 v[129:130], 4, v[171:172]
	v_mov_b32_e32 v172, v131
	s_delay_alu instid0(VALU_DEP_2) | instskip(NEXT) | instid1(VALU_DEP_3)
	v_add_co_u32 v129, vcc_lo, s3, v129
	v_add_co_ci_u32_e32 v130, vcc_lo, s11, v130, vcc_lo
	global_store_b128 v[129:130], v[93:96], off
.LBB191_154:                            ;   in Loop: Header=BB191_104 Depth=1
	s_or_b32 exec_lo, exec_lo, s1
	v_mul_f64 v[93:94], v[11:12], v[23:24]
	v_mul_f64 v[23:24], v[9:10], v[23:24]
	;; [unrolled: 1-line block ×4, first 2 shown]
	v_add_co_u32 v202, vcc_lo, v202, s6
	v_add_co_ci_u32_e32 v203, vcc_lo, s7, v203, vcc_lo
	v_add_co_u32 v204, vcc_lo, v204, s6
	v_add_co_ci_u32_e32 v205, vcc_lo, s7, v205, vcc_lo
	;; [unrolled: 2-line block ×8, first 2 shown]
	v_add_co_u32 v218, vcc_lo, v218, s6
	v_fma_f64 v[9:10], v[9:10], v[21:22], -v[93:94]
	v_fma_f64 v[11:12], v[11:12], v[21:22], v[23:24]
	v_mul_f64 v[21:22], v[15:16], v[31:32]
	v_mul_f64 v[23:24], v[13:14], v[31:32]
	v_fma_f64 v[5:6], v[5:6], v[33:34], -v[95:96]
	v_fma_f64 v[7:8], v[7:8], v[33:34], v[35:36]
	v_add_co_ci_u32_e32 v219, vcc_lo, s7, v219, vcc_lo
	v_add_co_u32 v220, vcc_lo, v220, s6
	v_add_co_ci_u32_e32 v221, vcc_lo, s7, v221, vcc_lo
	v_add_co_u32 v222, vcc_lo, v222, s6
	;; [unrolled: 2-line block ×8, first 2 shown]
	v_add_f64 v[0:1], v[0:1], v[9:10]
	v_add_f64 v[2:3], v[2:3], v[11:12]
	v_mul_f64 v[9:10], v[19:20], v[27:28]
	v_mul_f64 v[11:12], v[17:18], v[27:28]
	v_fma_f64 v[13:14], v[13:14], v[29:30], -v[21:22]
	v_fma_f64 v[15:16], v[15:16], v[29:30], v[23:24]
	v_add_co_ci_u32_e32 v235, vcc_lo, s7, v235, vcc_lo
	v_add_co_u32 v236, vcc_lo, v236, s6
	v_add_co_ci_u32_e32 v237, vcc_lo, s7, v237, vcc_lo
	v_add_co_u32 v238, vcc_lo, v238, s6
	;; [unrolled: 2-line block ×3, first 2 shown]
	v_add_nc_u32_e32 v171, 64, v171
	v_add_co_ci_u32_e32 v241, vcc_lo, s7, v241, vcc_lo
	s_add_i32 s5, s14, 2
	s_add_i32 s1, s14, 1
	s_add_i32 s4, s4, s25
	s_cmp_ge_u32 s5, s15
	s_waitcnt_vscnt null, 0x0
	s_barrier
	buffer_gl0_inv
	v_add_f64 v[0:1], v[0:1], v[5:6]
	v_add_f64 v[2:3], v[2:3], v[7:8]
	v_mul_f64 v[5:6], v[43:44], v[55:56]
	v_mul_f64 v[7:8], v[41:42], v[55:56]
	v_fma_f64 v[9:10], v[17:18], v[25:26], -v[9:10]
	v_fma_f64 v[11:12], v[19:20], v[25:26], v[11:12]
	v_add_f64 v[0:1], v[0:1], v[13:14]
	v_add_f64 v[2:3], v[2:3], v[15:16]
	v_mul_f64 v[13:14], v[39:40], v[67:68]
	v_mul_f64 v[15:16], v[37:38], v[67:68]
	v_fma_f64 v[5:6], v[41:42], v[53:54], -v[5:6]
	v_fma_f64 v[7:8], v[43:44], v[53:54], v[7:8]
	;; [unrolled: 6-line block ×12, first 2 shown]
	v_add_f64 v[0:1], v[0:1], v[5:6]
	v_add_f64 v[2:3], v[2:3], v[7:8]
	v_fma_f64 v[5:6], v[145:146], v[81:82], -v[9:10]
	v_fma_f64 v[7:8], v[147:148], v[81:82], v[11:12]
	s_delay_alu instid0(VALU_DEP_4) | instskip(NEXT) | instid1(VALU_DEP_4)
	v_add_f64 v[0:1], v[0:1], v[13:14]
	v_add_f64 v[2:3], v[2:3], v[15:16]
	s_delay_alu instid0(VALU_DEP_2) | instskip(NEXT) | instid1(VALU_DEP_2)
	v_add_f64 v[0:1], v[0:1], v[5:6]
	v_add_f64 v[2:3], v[2:3], v[7:8]
	s_cbranch_scc1 .LBB191_156
; %bb.155:                              ;   in Loop: Header=BB191_104 Depth=1
	s_mov_b32 s14, s1
	s_delay_alu instid0(SALU_CYCLE_1)
	s_cmp_eq_u32 s24, s14
	s_cselect_b32 s12, s26, 0
	s_and_saveexec_b32 s1, s2
	s_cbranch_execnz .LBB191_100
	s_branch .LBB191_104
.LBB191_156:
	scratch_load_b32 v4, off, off offset:8  ; 4-byte Folded Reload
	v_cmp_gt_i32_e32 vcc_lo, s10, v170
	s_or_b32 s0, s27, vcc_lo
	s_delay_alu instid0(SALU_CYCLE_1)
	s_and_b32 s0, s2, s0
	s_waitcnt vmcnt(0)
	v_mad_u32_u24 v4, 0x430, v4, v172
	ds_store_b128 v4, v[0:3]
	s_waitcnt lgkmcnt(0)
	s_barrier
	buffer_gl0_inv
	s_and_saveexec_b32 s1, s0
	s_cbranch_execz .LBB191_158
; %bb.157:
	ds_load_b128 v[0:3], v172 offset:1072
	ds_load_b128 v[4:7], v172
	s_waitcnt lgkmcnt(0)
	v_add_f64 v[8:9], v[0:1], v[4:5]
	v_add_f64 v[10:11], v[2:3], v[6:7]
	ds_load_b128 v[0:3], v172 offset:2144
	ds_load_b128 v[4:7], v172 offset:3216
	s_waitcnt lgkmcnt(1)
	v_add_f64 v[0:1], v[8:9], v[0:1]
	v_add_f64 v[2:3], v[10:11], v[2:3]
	s_waitcnt lgkmcnt(0)
	s_delay_alu instid0(VALU_DEP_2) | instskip(SKIP_4) | instid1(VALU_DEP_1)
	v_add_f64 v[0:1], v[0:1], v[4:5]
	scratch_load_b64 v[4:5], off, off offset:12 ; 8-byte Folded Reload
	v_add_f64 v[2:3], v[2:3], v[6:7]
	s_waitcnt vmcnt(0)
	v_ashrrev_i32_e32 v5, 31, v4
	v_lshlrev_b64 v[4:5], 4, v[4:5]
	s_delay_alu instid0(VALU_DEP_1) | instskip(NEXT) | instid1(VALU_DEP_2)
	v_add_co_u32 v4, vcc_lo, s3, v4
	v_add_co_ci_u32_e32 v5, vcc_lo, s11, v5, vcc_lo
	global_store_b128 v[4:5], v[0:3], off
.LBB191_158:
	s_nop 0
	s_sendmsg sendmsg(MSG_DEALLOC_VGPRS)
	s_endpgm
	.section	.rodata,"a",@progbits
	.p2align	6, 0x0
	.amdhsa_kernel _ZL26rocblas_hemvn_kernel_upperILb0ELi64ELi4ELi33ELi32ELi16Ei19rocblas_complex_numIdEPKPKS1_PS1_EviT6_lT7_lT5_lS8_lS9_lS7_lT8_i
		.amdhsa_group_segment_fixed_size 19200
		.amdhsa_private_segment_fixed_size 24
		.amdhsa_kernarg_size 392
		.amdhsa_user_sgpr_count 14
		.amdhsa_user_sgpr_dispatch_ptr 0
		.amdhsa_user_sgpr_queue_ptr 0
		.amdhsa_user_sgpr_kernarg_segment_ptr 1
		.amdhsa_user_sgpr_dispatch_id 0
		.amdhsa_user_sgpr_private_segment_size 0
		.amdhsa_wavefront_size32 1
		.amdhsa_uses_dynamic_stack 0
		.amdhsa_enable_private_segment 1
		.amdhsa_system_sgpr_workgroup_id_x 1
		.amdhsa_system_sgpr_workgroup_id_y 0
		.amdhsa_system_sgpr_workgroup_id_z 1
		.amdhsa_system_sgpr_workgroup_info 0
		.amdhsa_system_vgpr_workitem_id 1
		.amdhsa_next_free_vgpr 256
		.amdhsa_next_free_sgpr 37
		.amdhsa_reserve_vcc 1
		.amdhsa_float_round_mode_32 0
		.amdhsa_float_round_mode_16_64 0
		.amdhsa_float_denorm_mode_32 3
		.amdhsa_float_denorm_mode_16_64 3
		.amdhsa_dx10_clamp 1
		.amdhsa_ieee_mode 1
		.amdhsa_fp16_overflow 0
		.amdhsa_workgroup_processor_mode 1
		.amdhsa_memory_ordered 1
		.amdhsa_forward_progress 0
		.amdhsa_shared_vgpr_count 0
		.amdhsa_exception_fp_ieee_invalid_op 0
		.amdhsa_exception_fp_denorm_src 0
		.amdhsa_exception_fp_ieee_div_zero 0
		.amdhsa_exception_fp_ieee_overflow 0
		.amdhsa_exception_fp_ieee_underflow 0
		.amdhsa_exception_fp_ieee_inexact 0
		.amdhsa_exception_int_div_zero 0
	.end_amdhsa_kernel
	.section	.text._ZL26rocblas_hemvn_kernel_upperILb0ELi64ELi4ELi33ELi32ELi16Ei19rocblas_complex_numIdEPKPKS1_PS1_EviT6_lT7_lT5_lS8_lS9_lS7_lT8_i,"axG",@progbits,_ZL26rocblas_hemvn_kernel_upperILb0ELi64ELi4ELi33ELi32ELi16Ei19rocblas_complex_numIdEPKPKS1_PS1_EviT6_lT7_lT5_lS8_lS9_lS7_lT8_i,comdat
.Lfunc_end191:
	.size	_ZL26rocblas_hemvn_kernel_upperILb0ELi64ELi4ELi33ELi32ELi16Ei19rocblas_complex_numIdEPKPKS1_PS1_EviT6_lT7_lT5_lS8_lS9_lS7_lT8_i, .Lfunc_end191-_ZL26rocblas_hemvn_kernel_upperILb0ELi64ELi4ELi33ELi32ELi16Ei19rocblas_complex_numIdEPKPKS1_PS1_EviT6_lT7_lT5_lS8_lS9_lS7_lT8_i
                                        ; -- End function
	.section	.AMDGPU.csdata,"",@progbits
; Kernel info:
; codeLenInByte = 12192
; NumSgprs: 39
; NumVgprs: 256
; ScratchSize: 24
; MemoryBound: 1
; FloatMode: 240
; IeeeMode: 1
; LDSByteSize: 19200 bytes/workgroup (compile time only)
; SGPRBlocks: 4
; VGPRBlocks: 31
; NumSGPRsForWavesPerEU: 39
; NumVGPRsForWavesPerEU: 256
; Occupancy: 5
; WaveLimiterHint : 1
; COMPUTE_PGM_RSRC2:SCRATCH_EN: 1
; COMPUTE_PGM_RSRC2:USER_SGPR: 14
; COMPUTE_PGM_RSRC2:TRAP_HANDLER: 0
; COMPUTE_PGM_RSRC2:TGID_X_EN: 1
; COMPUTE_PGM_RSRC2:TGID_Y_EN: 0
; COMPUTE_PGM_RSRC2:TGID_Z_EN: 1
; COMPUTE_PGM_RSRC2:TIDIG_COMP_CNT: 1
	.section	.text._ZL26rocblas_hemvn_kernel_lowerILb0ELi64ELi4ELi33ELi32ELi16ElPK19rocblas_complex_numIdEPKS3_PS1_EviT6_lT7_lT5_lS8_lS9_lS7_lT8_i,"axG",@progbits,_ZL26rocblas_hemvn_kernel_lowerILb0ELi64ELi4ELi33ELi32ELi16ElPK19rocblas_complex_numIdEPKS3_PS1_EviT6_lT7_lT5_lS8_lS9_lS7_lT8_i,comdat
	.globl	_ZL26rocblas_hemvn_kernel_lowerILb0ELi64ELi4ELi33ELi32ELi16ElPK19rocblas_complex_numIdEPKS3_PS1_EviT6_lT7_lT5_lS8_lS9_lS7_lT8_i ; -- Begin function _ZL26rocblas_hemvn_kernel_lowerILb0ELi64ELi4ELi33ELi32ELi16ElPK19rocblas_complex_numIdEPKS3_PS1_EviT6_lT7_lT5_lS8_lS9_lS7_lT8_i
	.p2align	8
	.type	_ZL26rocblas_hemvn_kernel_lowerILb0ELi64ELi4ELi33ELi32ELi16ElPK19rocblas_complex_numIdEPKS3_PS1_EviT6_lT7_lT5_lS8_lS9_lS7_lT8_i,@function
_ZL26rocblas_hemvn_kernel_lowerILb0ELi64ELi4ELi33ELi32ELi16ElPK19rocblas_complex_numIdEPKS3_PS1_EviT6_lT7_lT5_lS8_lS9_lS7_lT8_i: ; @_ZL26rocblas_hemvn_kernel_lowerILb0ELi64ELi4ELi33ELi32ELi16ElPK19rocblas_complex_numIdEPKS3_PS1_EviT6_lT7_lT5_lS8_lS9_lS7_lT8_i
; %bb.0:
	s_load_b64 s[2:3], s[0:1], 0x84
	s_add_u32 s20, s0, 0x78
	s_addc_u32 s21, s1, 0
	s_waitcnt lgkmcnt(0)
	s_lshr_b32 s4, s2, 16
	s_and_b32 s2, s2, 0xffff
	s_and_b32 s3, s3, 0xffff
	s_mul_i32 s2, s4, s2
	s_delay_alu instid0(SALU_CYCLE_1) | instskip(NEXT) | instid1(SALU_CYCLE_1)
	s_mul_i32 s2, s2, s3
	s_cmpk_lg_i32 s2, 0x100
	s_cbranch_scc1 .LBB192_107
; %bb.1:
	s_load_b256 s[4:11], s[0:1], 0x8
	s_mov_b32 s16, s15
	s_mov_b32 s17, 0
	s_waitcnt lgkmcnt(0)
	s_mul_i32 s3, s15, s7
	s_mul_hi_u32 s7, s15, s6
	s_mul_i32 s2, s15, s6
	s_add_i32 s3, s7, s3
	s_delay_alu instid0(SALU_CYCLE_1) | instskip(NEXT) | instid1(SALU_CYCLE_1)
	s_lshl_b64 s[2:3], s[2:3], 4
	s_add_u32 s2, s4, s2
	s_addc_u32 s3, s5, s3
	s_load_b128 s[4:7], s[2:3], 0x0
	s_waitcnt lgkmcnt(0)
	v_cmp_neq_f64_e64 s2, s[4:5], 0
	v_cmp_neq_f64_e64 s3, s[6:7], 0
	s_clause 0x2
	s_load_b64 s[18:19], s[0:1], 0x68
	s_load_b64 s[12:13], s[0:1], 0x28
	s_load_b128 s[4:7], s[0:1], 0x58
	s_delay_alu instid0(VALU_DEP_1)
	s_or_b32 s15, s2, s3
	s_mov_b64 s[2:3], 0
	s_and_b32 vcc_lo, exec_lo, s15
	s_cbranch_vccnz .LBB192_3
; %bb.2:
	s_waitcnt lgkmcnt(0)
	s_mul_i32 s7, s16, s7
	s_mul_hi_u32 s22, s16, s6
	s_mul_i32 s6, s16, s6
	s_add_i32 s7, s22, s7
	s_delay_alu instid0(SALU_CYCLE_1) | instskip(NEXT) | instid1(SALU_CYCLE_1)
	s_lshl_b64 s[6:7], s[6:7], 4
	s_add_u32 s4, s4, s6
	s_addc_u32 s5, s5, s7
	s_load_b128 s[4:7], s[4:5], 0x0
	s_waitcnt lgkmcnt(0)
	v_cmp_neq_f64_e64 s4, s[4:5], 1.0
	v_cmp_neq_f64_e64 s5, s[6:7], 0
	s_delay_alu instid0(VALU_DEP_1)
	s_or_b32 s4, s4, s5
	s_cbranch_execz .LBB192_4
	s_branch .LBB192_5
.LBB192_3:
	s_waitcnt lgkmcnt(0)
	s_mov_b32 s4, s17
                                        ; implicit-def: $sgpr2_sgpr3
.LBB192_4:
	s_lshl_b64 s[2:3], s[16:17], 3
	s_delay_alu instid0(SALU_CYCLE_1)
	s_add_u32 s2, s8, s2
	s_addc_u32 s3, s9, s3
	s_lshl_b64 s[4:5], s[10:11], 4
	s_load_b64 s[2:3], s[2:3], 0x0
	s_waitcnt lgkmcnt(0)
	s_add_u32 s2, s2, s4
	s_addc_u32 s3, s3, s5
	s_mov_b32 s4, -1
.LBB192_5:
	s_delay_alu instid0(SALU_CYCLE_1)
	s_and_not1_b32 vcc_lo, exec_lo, s4
	s_cbranch_vccnz .LBB192_107
; %bb.6:
	s_clause 0x1
	s_load_b128 s[4:7], s[0:1], 0x38
	s_load_b64 s[8:9], s[0:1], 0x48
	v_cndmask_b32_e64 v1, 0, 1, s15
	s_and_not1_b32 vcc_lo, exec_lo, s15
	s_mov_b64 s[22:23], 0
	s_cbranch_vccnz .LBB192_8
; %bb.7:
	s_lshl_b64 s[10:11], s[16:17], 3
	s_waitcnt lgkmcnt(0)
	s_add_u32 s4, s4, s10
	s_addc_u32 s5, s5, s11
	s_lshl_b64 s[6:7], s[6:7], 4
	s_load_b64 s[4:5], s[4:5], 0x0
	s_waitcnt lgkmcnt(0)
	s_add_u32 s22, s4, s6
	s_addc_u32 s23, s5, s7
.LBB192_8:
	s_delay_alu instid0(VALU_DEP_1)
	v_cmp_ne_u32_e32 vcc_lo, 1, v1
	s_cbranch_vccnz .LBB192_107
; %bb.9:
	v_and_b32_e32 v42, 0x3ff, v0
	s_lshl_b32 s10, s14, 6
	s_load_b32 s15, s[0:1], 0x0
	s_load_b32 s17, s[20:21], 0x0
	v_bfe_u32 v150, v0, 10, 10
	v_add_nc_u32_e32 v144, s10, v42
	s_delay_alu instid0(VALU_DEP_1) | instskip(SKIP_3) | instid1(VALU_DEP_3)
	v_ashrrev_i32_e32 v145, 31, v144
	s_waitcnt lgkmcnt(0)
	v_mul_lo_u32 v3, v144, s9
	v_mad_u64_u32 v[1:2], null, v144, s8, 0
	v_mul_lo_u32 v4, v145, s8
	s_ashr_i32 s26, s15, 31
	s_delay_alu instid0(VALU_DEP_1)
	v_add3_u32 v2, v2, v3, v4
	s_lshr_b32 s0, s26, 26
	s_add_i32 s4, s17, -1
	s_add_i32 s1, s15, s0
	v_cmp_ne_u32_e64 s0, 0, v150
	v_lshlrev_b64 v[0:1], 4, v[1:2]
	s_and_not1_b32 s1, s1, 63
	s_delay_alu instid0(SALU_CYCLE_1) | instskip(SKIP_2) | instid1(VALU_DEP_2)
	s_sub_i32 s5, s15, s1
	v_cmp_eq_u32_e64 s1, 0, v150
	s_cmp_eq_u32 s14, s4
	v_add_co_u32 v36, vcc_lo, s22, v0
	v_add_co_ci_u32_e32 v37, vcc_lo, s23, v1, vcc_lo
	s_mov_b32 s4, -1
	s_cselect_b32 s20, s5, 0
	s_and_saveexec_b32 s5, s1
	s_cbranch_execz .LBB192_14
; %bb.10:
	v_cmp_le_i32_e32 vcc_lo, s20, v42
	s_cmp_lg_u32 s20, 0
	v_lshl_add_u32 v0, v42, 4, 0x4700
	s_cselect_b32 s6, -1, 0
	s_delay_alu instid0(SALU_CYCLE_1) | instskip(NEXT) | instid1(SALU_CYCLE_1)
	s_and_b32 s6, s6, vcc_lo
	s_and_saveexec_b32 s7, s6
	s_delay_alu instid0(SALU_CYCLE_1)
	s_xor_b32 s6, exec_lo, s7
	s_cbranch_execz .LBB192_12
; %bb.11:
	v_mov_b32_e32 v1, 0
	s_delay_alu instid0(VALU_DEP_1)
	v_mov_b32_e32 v2, v1
	v_mov_b32_e32 v3, v1
	;; [unrolled: 1-line block ×3, first 2 shown]
	ds_store_b128 v0, v[1:4]
                                        ; implicit-def: $vgpr0
.LBB192_12:
	s_and_not1_saveexec_b32 s6, s6
	s_cbranch_execz .LBB192_14
; %bb.13:
	flat_load_b128 v[1:4], v[36:37]
	s_waitcnt vmcnt(0) lgkmcnt(0)
	ds_store_2addr_b64 v0, v[1:2], v[3:4] offset1:1
.LBB192_14:
	s_or_b32 exec_lo, exec_lo, s5
	v_lshl_add_u32 v43, v150, 6, v42
	v_dual_mov_b32 v5, 0 :: v_dual_and_b32 v4, 31, v42
	s_ashr_i32 s11, s10, 31
	s_mul_i32 s5, s10, s13
	s_delay_alu instid0(VALU_DEP_2)
	v_lshrrev_b32_e32 v9, 5, v43
	s_lshl_b64 s[6:7], s[10:11], 4
	s_mul_hi_u32 s21, s10, s12
	s_add_u32 s6, s2, s6
	s_mul_i32 s22, s11, s12
	v_mad_u64_u32 v[0:1], null, v9, s12, v[4:5]
	s_addc_u32 s7, s3, s7
	s_add_i32 s3, s21, s5
	s_mul_i32 s2, s10, s12
	s_add_i32 s3, s3, s22
	s_delay_alu instid0(SALU_CYCLE_1) | instskip(NEXT) | instid1(VALU_DEP_1)
	s_lshl_b64 s[22:23], s[2:3], 4
	v_mad_u64_u32 v[2:3], null, v9, s13, v[1:2]
	s_add_u32 s2, s22, s6
	s_addc_u32 s3, s23, s7
	s_cmp_lg_u32 s20, 0
	s_cselect_b32 s27, -1, 0
	s_cmp_eq_u32 s20, 0
	s_delay_alu instid0(VALU_DEP_1) | instskip(SKIP_1) | instid1(VALU_DEP_1)
	v_mov_b32_e32 v1, v2
	s_cselect_b32 s7, -1, 0
	v_lshlrev_b64 v[38:39], 4, v[0:1]
	s_delay_alu instid0(VALU_DEP_1) | instskip(NEXT) | instid1(VALU_DEP_2)
	v_add_co_u32 v5, vcc_lo, s2, v38
	v_add_co_ci_u32_e32 v6, vcc_lo, s3, v39, vcc_lo
	s_and_b32 vcc_lo, exec_lo, s27
	s_cbranch_vccnz .LBB192_16
; %bb.15:
	flat_load_b128 v[0:3], v[5:6]
	v_mul_u32_u24_e32 v7, 33, v9
	s_lshl_b64 s[2:3], s[12:13], 7
	s_mov_b32 s4, 0
	s_delay_alu instid0(VALU_DEP_1) | instskip(SKIP_2) | instid1(VALU_DEP_3)
	v_add_lshl_u32 v12, v7, v4, 4
	v_add_co_u32 v7, vcc_lo, v5, s2
	v_add_co_ci_u32_e32 v8, vcc_lo, s3, v6, vcc_lo
	v_add_nc_u32_e32 v10, 0x1080, v12
	s_waitcnt vmcnt(0) lgkmcnt(0)
	ds_store_2addr_b64 v12, v[0:1], v[2:3] offset1:1
	flat_load_b128 v[0:3], v[7:8]
	v_add_co_u32 v7, vcc_lo, v7, s2
	v_add_co_ci_u32_e32 v8, vcc_lo, s3, v8, vcc_lo
	s_waitcnt vmcnt(0) lgkmcnt(0)
	ds_store_2addr_b64 v10, v[0:1], v[2:3] offset1:1
	flat_load_b128 v[0:3], v[7:8]
	v_mad_u64_u32 v[7:8], null, 0x180, s12, v[5:6]
	s_delay_alu instid0(VALU_DEP_1) | instskip(NEXT) | instid1(VALU_DEP_1)
	v_mad_u64_u32 v[10:11], null, 0x180, s13, v[8:9]
	v_dual_mov_b32 v8, v10 :: v_dual_add_nc_u32 v11, 0x2100, v12
	s_waitcnt vmcnt(0) lgkmcnt(0)
	ds_store_2addr_b64 v11, v[0:1], v[2:3] offset1:1
	flat_load_b128 v[0:3], v[7:8]
	v_add_nc_u32_e32 v7, 0x3180, v12
	s_waitcnt vmcnt(0) lgkmcnt(0)
	ds_store_2addr_b64 v7, v[0:1], v[2:3] offset1:1
.LBB192_16:
	s_and_not1_b32 vcc_lo, exec_lo, s4
	s_cbranch_vccnz .LBB192_34
; %bb.17:
	v_lshlrev_b32_e32 v2, 4, v4
	s_ashr_i32 s21, s20, 31
	v_mul_u32_u24_e32 v3, 33, v9
	s_lshl_b64 s[4:5], s[20:21], 4
	v_cmp_le_i32_e64 s2, s20, v9
	v_sub_co_u32 v0, vcc_lo, v5, v2
	v_subrev_co_ci_u32_e32 v1, vcc_lo, 0, v6, vcc_lo
	v_add_lshl_u32 v3, v3, v4, 4
	s_delay_alu instid0(VALU_DEP_3) | instskip(NEXT) | instid1(VALU_DEP_3)
	v_add_co_u32 v0, vcc_lo, v0, s4
	v_add_co_ci_u32_e32 v1, vcc_lo, s5, v1, vcc_lo
	s_delay_alu instid0(VALU_DEP_2) | instskip(NEXT) | instid1(VALU_DEP_2)
	v_add_co_u32 v0, vcc_lo, v0, -16
	v_add_co_ci_u32_e32 v1, vcc_lo, -1, v1, vcc_lo
	v_cmp_gt_i32_e32 vcc_lo, s20, v4
	s_delay_alu instid0(VALU_DEP_2) | instskip(SKIP_1) | instid1(SALU_CYCLE_1)
	v_dual_cndmask_b32 v1, v1, v6 :: v_dual_cndmask_b32 v0, v0, v5
	s_and_saveexec_b32 s3, s2
	s_xor_b32 s2, exec_lo, s3
	s_cbranch_execz .LBB192_19
; %bb.18:
	v_mov_b32_e32 v10, 0
	s_delay_alu instid0(VALU_DEP_1)
	v_mov_b32_e32 v11, v10
	v_mov_b32_e32 v12, v10
	;; [unrolled: 1-line block ×3, first 2 shown]
	ds_store_b128 v3, v[10:13]
.LBB192_19:
	s_and_not1_saveexec_b32 s2, s2
	s_cbranch_execz .LBB192_21
; %bb.20:
	flat_load_b128 v[10:13], v[0:1]
	s_waitcnt vmcnt(0) lgkmcnt(0)
	ds_store_2addr_b64 v3, v[10:11], v[12:13] offset1:1
.LBB192_21:
	s_or_b32 exec_lo, exec_lo, s2
	v_add_nc_u32_e32 v7, 8, v9
	s_delay_alu instid0(VALU_DEP_1) | instskip(NEXT) | instid1(VALU_DEP_1)
	v_cmp_le_i32_e64 s2, s20, v7
	s_and_saveexec_b32 s3, s2
	s_delay_alu instid0(SALU_CYCLE_1)
	s_xor_b32 s2, exec_lo, s3
	s_cbranch_execz .LBB192_23
; %bb.22:
	v_mul_u32_u24_e32 v7, 33, v7
	v_mov_b32_e32 v10, 0
	s_delay_alu instid0(VALU_DEP_2) | instskip(NEXT) | instid1(VALU_DEP_2)
	v_add_lshl_u32 v7, v7, v4, 4
	v_mov_b32_e32 v11, v10
	v_mov_b32_e32 v12, v10
	;; [unrolled: 1-line block ×3, first 2 shown]
	ds_store_b128 v7, v[10:13]
.LBB192_23:
	s_and_not1_saveexec_b32 s3, s2
	s_cbranch_execz .LBB192_25
; %bb.24:
	s_lshl_b64 s[24:25], s[12:13], 7
	s_delay_alu instid0(SALU_CYCLE_1) | instskip(NEXT) | instid1(VALU_DEP_1)
	v_add_co_u32 v7, s2, v0, s24
	v_add_co_ci_u32_e64 v8, s2, s25, v1, s2
	flat_load_b128 v[10:13], v[7:8]
	v_add_nc_u32_e32 v7, 0x1080, v3
	s_waitcnt vmcnt(0) lgkmcnt(0)
	ds_store_2addr_b64 v7, v[10:11], v[12:13] offset1:1
.LBB192_25:
	s_or_b32 exec_lo, exec_lo, s3
	v_add_nc_u32_e32 v7, 16, v9
	s_delay_alu instid0(VALU_DEP_1) | instskip(NEXT) | instid1(VALU_DEP_1)
	v_cmp_le_i32_e64 s2, s20, v7
	s_and_saveexec_b32 s3, s2
	s_delay_alu instid0(SALU_CYCLE_1)
	s_xor_b32 s2, exec_lo, s3
	s_cbranch_execz .LBB192_27
; %bb.26:
	v_mov_b32_e32 v10, 0
	s_delay_alu instid0(VALU_DEP_1)
	v_mov_b32_e32 v11, v10
	v_mov_b32_e32 v12, v10
	;; [unrolled: 1-line block ×3, first 2 shown]
	ds_store_b128 v3, v[10:13] offset:8448
.LBB192_27:
	s_and_not1_saveexec_b32 s3, s2
	s_cbranch_execz .LBB192_29
; %bb.28:
	s_lshl_b64 s[24:25], s[12:13], 8
	s_delay_alu instid0(SALU_CYCLE_1) | instskip(NEXT) | instid1(VALU_DEP_1)
	v_add_co_u32 v7, s2, v0, s24
	v_add_co_ci_u32_e64 v8, s2, s25, v1, s2
	flat_load_b128 v[10:13], v[7:8]
	v_add_nc_u32_e32 v7, 0x2100, v3
	s_waitcnt vmcnt(0) lgkmcnt(0)
	ds_store_2addr_b64 v7, v[10:11], v[12:13] offset1:1
.LBB192_29:
	s_or_b32 exec_lo, exec_lo, s3
	v_add_nc_u32_e32 v7, 24, v9
	s_delay_alu instid0(VALU_DEP_1) | instskip(NEXT) | instid1(VALU_DEP_1)
	v_cmp_le_i32_e64 s2, s20, v7
	s_and_saveexec_b32 s3, s2
	s_delay_alu instid0(SALU_CYCLE_1)
	s_xor_b32 s2, exec_lo, s3
	s_cbranch_execz .LBB192_31
; %bb.30:
	v_mov_b32_e32 v10, 0
	s_delay_alu instid0(VALU_DEP_1)
	v_mov_b32_e32 v11, v10
	v_mov_b32_e32 v12, v10
	;; [unrolled: 1-line block ×3, first 2 shown]
	ds_store_b128 v3, v[10:13] offset:12672
                                        ; implicit-def: $vgpr3
.LBB192_31:
	s_and_not1_saveexec_b32 s2, s2
	s_cbranch_execz .LBB192_33
; %bb.32:
	v_mad_u64_u32 v[7:8], null, 0x180, s12, v[0:1]
	v_add_nc_u32_e32 v3, 0x3180, v3
	s_delay_alu instid0(VALU_DEP_2) | instskip(NEXT) | instid1(VALU_DEP_1)
	v_mad_u64_u32 v[10:11], null, 0x180, s13, v[8:9]
	v_mov_b32_e32 v8, v10
	flat_load_b128 v[10:13], v[7:8]
	s_waitcnt vmcnt(0) lgkmcnt(0)
	ds_store_2addr_b64 v3, v[10:11], v[12:13] offset1:1
.LBB192_33:
	s_or_b32 exec_lo, exec_lo, s2
	v_add_co_u32 v0, s2, v0, v2
	s_delay_alu instid0(VALU_DEP_1) | instskip(NEXT) | instid1(VALU_DEP_2)
	v_add_co_ci_u32_e64 v1, s2, 0, v1, s2
	v_sub_co_u32 v0, s2, v0, s4
	s_delay_alu instid0(VALU_DEP_1) | instskip(NEXT) | instid1(VALU_DEP_2)
	v_subrev_co_ci_u32_e64 v1, s2, s5, v1, s2
	v_add_co_u32 v0, s2, v0, 16
	s_delay_alu instid0(VALU_DEP_1) | instskip(NEXT) | instid1(VALU_DEP_1)
	v_add_co_ci_u32_e64 v1, s2, 0, v1, s2
	v_dual_cndmask_b32 v5, v0, v5 :: v_dual_cndmask_b32 v6, v1, v6
.LBB192_34:
	v_lshlrev_b32_e32 v0, 2, v9
	v_mul_u32_u24_e32 v44, 33, v4
	v_mul_u32_u24_e32 v1, 0x84, v9
	s_waitcnt lgkmcnt(0)
	s_barrier
	v_cmp_lt_u32_e64 s3, v0, v4
	v_add_lshl_u32 v12, v0, v44, 4
	buffer_gl0_inv
	s_and_saveexec_b32 s2, s3
	s_cbranch_execz .LBB192_36
; %bb.35:
	v_add_lshl_u32 v2, v1, v4, 4
	ds_load_b128 v[13:16], v2
	s_waitcnt lgkmcnt(0)
	ds_store_b128 v12, v[13:16]
.LBB192_36:
	s_or_b32 exec_lo, exec_lo, s2
	v_or_b32_e32 v2, 1, v0
	s_delay_alu instid0(VALU_DEP_1) | instskip(NEXT) | instid1(VALU_DEP_1)
	v_cmp_lt_u32_e64 s4, v2, v4
	s_and_saveexec_b32 s2, s4
	s_cbranch_execz .LBB192_38
; %bb.37:
	v_mul_u32_u24_e32 v2, 33, v2
	s_delay_alu instid0(VALU_DEP_1)
	v_add_lshl_u32 v2, v2, v4, 4
	ds_load_b128 v[13:16], v2
	s_waitcnt lgkmcnt(0)
	ds_store_b128 v12, v[13:16] offset:16
.LBB192_38:
	s_or_b32 exec_lo, exec_lo, s2
	v_or_b32_e32 v2, 2, v0
	s_delay_alu instid0(VALU_DEP_1) | instskip(NEXT) | instid1(VALU_DEP_1)
	v_cmp_lt_u32_e64 s5, v2, v4
	s_and_saveexec_b32 s2, s5
	s_cbranch_execz .LBB192_40
; %bb.39:
	v_mul_u32_u24_e32 v2, 33, v2
	s_delay_alu instid0(VALU_DEP_1)
	v_add_lshl_u32 v2, v2, v4, 4
	ds_load_b128 v[13:16], v2
	s_waitcnt lgkmcnt(0)
	ds_store_b128 v12, v[13:16] offset:32
.LBB192_40:
	s_or_b32 exec_lo, exec_lo, s2
	v_or_b32_e32 v2, 3, v0
	s_delay_alu instid0(VALU_DEP_1) | instskip(SKIP_1) | instid1(VALU_DEP_2)
	v_mad_u32_u24 v3, v2, 33, v4
	v_cmp_lt_u32_e64 s6, v2, v4
	v_lshlrev_b32_e32 v10, 4, v3
	s_delay_alu instid0(VALU_DEP_2)
	s_and_saveexec_b32 s2, s6
	s_cbranch_execz .LBB192_42
; %bb.41:
	ds_load_b128 v[13:16], v10
	s_waitcnt lgkmcnt(0)
	ds_store_b128 v12, v[13:16] offset:48
.LBB192_42:
	s_or_b32 exec_lo, exec_lo, s2
	v_lshlrev_b32_e32 v13, 4, v0
	v_add_lshl_u32 v14, v1, v4, 4
	s_waitcnt lgkmcnt(0)
	s_barrier
	buffer_gl0_inv
	ds_load_b128 v[0:3], v13 offset:18176
	ds_load_b128 v[15:18], v14
	v_add_nc_u32_e32 v11, 0xfffffbe0, v10
	ds_load_b128 v[19:22], v11
	ds_load_b128 v[23:26], v11 offset:528
	ds_load_b128 v[27:30], v13 offset:18192
	;; [unrolled: 1-line block ×3, first 2 shown]
	v_add_lshl_u32 v45, v9, v44, 4
	v_cmp_gt_u32_e64 s2, 32, v43
	s_waitcnt lgkmcnt(4)
	v_mul_f64 v[7:8], v[2:3], v[17:18]
	v_mul_f64 v[17:18], v[0:1], v[17:18]
	s_waitcnt lgkmcnt(1)
	v_mul_f64 v[40:41], v[29:30], v[21:22]
	v_mul_f64 v[21:22], v[27:28], v[21:22]
	s_delay_alu instid0(VALU_DEP_4) | instskip(NEXT) | instid1(VALU_DEP_4)
	v_fma_f64 v[0:1], v[0:1], v[15:16], -v[7:8]
	v_fma_f64 v[2:3], v[2:3], v[15:16], v[17:18]
	s_waitcnt lgkmcnt(0)
	v_mul_f64 v[7:8], v[33:34], v[25:26]
	v_mul_f64 v[25:26], v[31:32], v[25:26]
	v_fma_f64 v[27:28], v[27:28], v[19:20], -v[40:41]
	v_fma_f64 v[19:20], v[29:30], v[19:20], v[21:22]
	v_add_f64 v[21:22], v[0:1], 0
	v_add_f64 v[29:30], v[2:3], 0
	ds_load_b128 v[0:3], v13 offset:18224
	ds_load_b128 v[15:18], v10
	v_fma_f64 v[7:8], v[31:32], v[23:24], -v[7:8]
	v_fma_f64 v[23:24], v[33:34], v[23:24], v[25:26]
	s_waitcnt lgkmcnt(0)
	s_barrier
	buffer_gl0_inv
	v_mul_f64 v[40:41], v[2:3], v[17:18]
	v_mul_f64 v[17:18], v[0:1], v[17:18]
	v_add_f64 v[21:22], v[21:22], v[27:28]
	v_add_f64 v[19:20], v[29:30], v[19:20]
	s_delay_alu instid0(VALU_DEP_4) | instskip(NEXT) | instid1(VALU_DEP_4)
	v_fma_f64 v[0:1], v[0:1], v[15:16], -v[40:41]
	v_fma_f64 v[2:3], v[2:3], v[15:16], v[17:18]
	s_delay_alu instid0(VALU_DEP_4) | instskip(NEXT) | instid1(VALU_DEP_4)
	v_add_f64 v[7:8], v[21:22], v[7:8]
	v_add_f64 v[17:18], v[19:20], v[23:24]
	s_delay_alu instid0(VALU_DEP_2) | instskip(NEXT) | instid1(VALU_DEP_2)
	v_add_f64 v[15:16], v[7:8], v[0:1]
	v_add_f64 v[17:18], v[17:18], v[2:3]
	v_mov_b32_e32 v0, 0
	v_mov_b32_e32 v1, 0
	s_delay_alu instid0(VALU_DEP_1)
	v_dual_mov_b32 v3, v1 :: v_dual_mov_b32 v2, v0
	ds_store_b128 v45, v[15:18]
	s_waitcnt lgkmcnt(0)
	s_barrier
	buffer_gl0_inv
	s_and_saveexec_b32 s21, s2
	s_cbranch_execz .LBB192_44
; %bb.43:
	v_lshlrev_b32_e32 v21, 4, v44
	ds_load_b128 v[0:3], v21
	ds_load_b128 v[15:18], v21 offset:16
	s_waitcnt lgkmcnt(0)
	v_add_f64 v[7:8], v[15:16], v[0:1]
	v_add_f64 v[19:20], v[17:18], v[2:3]
	ds_load_b128 v[0:3], v21 offset:32
	ds_load_b128 v[15:18], v21 offset:48
	s_waitcnt lgkmcnt(1)
	v_add_f64 v[0:1], v[7:8], v[0:1]
	v_add_f64 v[2:3], v[19:20], v[2:3]
	s_waitcnt lgkmcnt(0)
	s_delay_alu instid0(VALU_DEP_2) | instskip(NEXT) | instid1(VALU_DEP_2)
	v_add_f64 v[7:8], v[0:1], v[15:16]
	v_add_f64 v[19:20], v[2:3], v[17:18]
	ds_load_b128 v[0:3], v21 offset:64
	ds_load_b128 v[15:18], v21 offset:80
	s_waitcnt lgkmcnt(1)
	v_add_f64 v[0:1], v[7:8], v[0:1]
	v_add_f64 v[2:3], v[19:20], v[2:3]
	s_waitcnt lgkmcnt(0)
	s_delay_alu instid0(VALU_DEP_2) | instskip(NEXT) | instid1(VALU_DEP_2)
	;; [unrolled: 9-line block ×3, first 2 shown]
	v_add_f64 v[0:1], v[0:1], v[15:16]
	v_add_f64 v[2:3], v[2:3], v[17:18]
.LBB192_44:
	s_or_b32 exec_lo, exec_lo, s21
	s_lshl_b64 s[24:25], s[12:13], 9
	v_cndmask_b32_e64 v15, 0, 1, s7
	v_add_co_u32 v7, vcc_lo, v5, s24
	v_add_co_ci_u32_e32 v8, vcc_lo, s25, v6, vcc_lo
	s_delay_alu instid0(VALU_DEP_2) | instskip(NEXT) | instid1(VALU_DEP_2)
	v_add_co_u32 v5, vcc_lo, 0x200, v7
	v_add_co_ci_u32_e32 v6, vcc_lo, 0, v8, vcc_lo
	s_and_not1_b32 vcc_lo, exec_lo, s7
	s_barrier
	buffer_gl0_inv
	s_cbranch_vccnz .LBB192_46
; %bb.45:
	flat_load_b128 v[16:19], v[5:6]
	v_mul_u32_u24_e32 v20, 33, v9
	s_lshl_b64 s[24:25], s[12:13], 7
	s_delay_alu instid0(VALU_DEP_1) | instskip(SKIP_2) | instid1(VALU_DEP_3)
	v_add_lshl_u32 v23, v20, v4, 4
	v_add_co_u32 v20, vcc_lo, v7, s24
	v_add_co_ci_u32_e32 v21, vcc_lo, s25, v8, vcc_lo
	v_add_nc_u32_e32 v22, 0x1080, v23
	s_waitcnt vmcnt(0) lgkmcnt(0)
	ds_store_2addr_b64 v23, v[16:17], v[18:19] offset1:1
	flat_load_b128 v[16:19], v[20:21] offset:512
	v_add_co_u32 v20, vcc_lo, v20, s24
	v_add_co_ci_u32_e32 v21, vcc_lo, s25, v21, vcc_lo
	s_waitcnt vmcnt(0) lgkmcnt(0)
	ds_store_2addr_b64 v22, v[16:17], v[18:19] offset1:1
	flat_load_b128 v[16:19], v[20:21] offset:512
	v_mad_u64_u32 v[20:21], null, 0x180, s12, v[7:8]
	s_delay_alu instid0(VALU_DEP_1) | instskip(NEXT) | instid1(VALU_DEP_1)
	v_mov_b32_e32 v7, v21
	v_mad_u64_u32 v[21:22], null, 0x180, s13, v[7:8]
	v_add_nc_u32_e32 v7, 0x2100, v23
	s_waitcnt vmcnt(0) lgkmcnt(0)
	ds_store_2addr_b64 v7, v[16:17], v[18:19] offset1:1
	flat_load_b128 v[16:19], v[20:21] offset:512
	v_add_nc_u32_e32 v7, 0x3180, v23
	s_waitcnt vmcnt(0) lgkmcnt(0)
	ds_store_2addr_b64 v7, v[16:17], v[18:19] offset1:1
	s_cbranch_execz .LBB192_47
	s_branch .LBB192_64
.LBB192_46:
.LBB192_47:
	v_or_b32_e32 v7, 32, v4
	s_ashr_i32 s21, s20, 31
	v_mul_u32_u24_e32 v17, 33, v9
	s_lshl_b64 s[24:25], s[20:21], 4
	s_sub_i32 s21, s20, 32
	v_lshlrev_b32_e32 v8, 4, v7
	v_cmp_le_i32_e64 s7, s21, v9
	s_delay_alu instid0(VALU_DEP_2) | instskip(SKIP_1) | instid1(VALU_DEP_2)
	v_sub_co_u32 v8, vcc_lo, v5, v8
	v_subrev_co_ci_u32_e32 v16, vcc_lo, 0, v6, vcc_lo
	v_add_co_u32 v8, vcc_lo, v8, s24
	s_delay_alu instid0(VALU_DEP_2) | instskip(NEXT) | instid1(VALU_DEP_2)
	v_add_co_ci_u32_e32 v16, vcc_lo, s25, v16, vcc_lo
	v_add_co_u32 v18, vcc_lo, v8, -16
	s_delay_alu instid0(VALU_DEP_2) | instskip(SKIP_2) | instid1(VALU_DEP_3)
	v_add_co_ci_u32_e32 v8, vcc_lo, -1, v16, vcc_lo
	v_cmp_gt_i32_e32 vcc_lo, s20, v7
	v_add_lshl_u32 v16, v17, v4, 4
	v_dual_cndmask_b32 v7, v18, v5 :: v_dual_cndmask_b32 v8, v8, v6
	s_and_saveexec_b32 s28, s7
	s_delay_alu instid0(SALU_CYCLE_1)
	s_xor_b32 s7, exec_lo, s28
	s_cbranch_execz .LBB192_49
; %bb.48:
	v_mov_b32_e32 v17, 0
	s_delay_alu instid0(VALU_DEP_1)
	v_mov_b32_e32 v18, v17
	v_mov_b32_e32 v19, v17
	;; [unrolled: 1-line block ×3, first 2 shown]
	ds_store_b128 v16, v[17:20]
.LBB192_49:
	s_and_not1_saveexec_b32 s7, s7
	s_cbranch_execz .LBB192_51
; %bb.50:
	flat_load_b128 v[17:20], v[7:8]
	s_waitcnt vmcnt(0) lgkmcnt(0)
	ds_store_2addr_b64 v16, v[17:18], v[19:20] offset1:1
.LBB192_51:
	s_or_b32 exec_lo, exec_lo, s7
	v_add_nc_u32_e32 v17, 8, v9
	s_delay_alu instid0(VALU_DEP_1) | instskip(NEXT) | instid1(VALU_DEP_1)
	v_cmp_le_i32_e64 s7, s21, v17
	s_and_saveexec_b32 s28, s7
	s_delay_alu instid0(SALU_CYCLE_1)
	s_xor_b32 s7, exec_lo, s28
	s_cbranch_execz .LBB192_53
; %bb.52:
	v_mul_u32_u24_e32 v18, 33, v17
	v_mov_b32_e32 v17, 0
	s_delay_alu instid0(VALU_DEP_2) | instskip(NEXT) | instid1(VALU_DEP_2)
	v_add_lshl_u32 v21, v18, v4, 4
	v_mov_b32_e32 v18, v17
	v_mov_b32_e32 v19, v17
	v_mov_b32_e32 v20, v17
	ds_store_b128 v21, v[17:20]
.LBB192_53:
	s_and_not1_saveexec_b32 s28, s7
	s_cbranch_execz .LBB192_55
; %bb.54:
	s_lshl_b64 s[30:31], s[12:13], 7
	v_add_nc_u32_e32 v21, 0x1080, v16
	v_add_co_u32 v17, s7, v7, s30
	s_delay_alu instid0(VALU_DEP_1)
	v_add_co_ci_u32_e64 v18, s7, s31, v8, s7
	flat_load_b128 v[17:20], v[17:18]
	s_waitcnt vmcnt(0) lgkmcnt(0)
	ds_store_2addr_b64 v21, v[17:18], v[19:20] offset1:1
.LBB192_55:
	s_or_b32 exec_lo, exec_lo, s28
	v_add_nc_u32_e32 v17, 16, v9
	s_delay_alu instid0(VALU_DEP_1) | instskip(NEXT) | instid1(VALU_DEP_1)
	v_cmp_le_i32_e64 s7, s21, v17
	s_and_saveexec_b32 s28, s7
	s_delay_alu instid0(SALU_CYCLE_1)
	s_xor_b32 s7, exec_lo, s28
	s_cbranch_execz .LBB192_57
; %bb.56:
	v_mov_b32_e32 v17, 0
	s_delay_alu instid0(VALU_DEP_1)
	v_mov_b32_e32 v18, v17
	v_mov_b32_e32 v19, v17
	;; [unrolled: 1-line block ×3, first 2 shown]
	ds_store_b128 v16, v[17:20] offset:8448
.LBB192_57:
	s_and_not1_saveexec_b32 s28, s7
	s_cbranch_execz .LBB192_59
; %bb.58:
	s_lshl_b64 s[30:31], s[12:13], 8
	v_add_nc_u32_e32 v21, 0x2100, v16
	v_add_co_u32 v17, s7, v7, s30
	s_delay_alu instid0(VALU_DEP_1)
	v_add_co_ci_u32_e64 v18, s7, s31, v8, s7
	flat_load_b128 v[17:20], v[17:18]
	s_waitcnt vmcnt(0) lgkmcnt(0)
	ds_store_2addr_b64 v21, v[17:18], v[19:20] offset1:1
.LBB192_59:
	s_or_b32 exec_lo, exec_lo, s28
	v_add_nc_u32_e32 v17, 24, v9
	s_delay_alu instid0(VALU_DEP_1) | instskip(NEXT) | instid1(VALU_DEP_1)
	v_cmp_le_i32_e64 s7, s21, v17
	s_and_saveexec_b32 s21, s7
	s_delay_alu instid0(SALU_CYCLE_1)
	s_xor_b32 s7, exec_lo, s21
	s_cbranch_execz .LBB192_61
; %bb.60:
	v_mov_b32_e32 v17, 0
	s_delay_alu instid0(VALU_DEP_1)
	v_mov_b32_e32 v18, v17
	v_mov_b32_e32 v19, v17
	;; [unrolled: 1-line block ×3, first 2 shown]
	ds_store_b128 v16, v[17:20] offset:12672
                                        ; implicit-def: $vgpr16
.LBB192_61:
	s_and_not1_saveexec_b32 s7, s7
	s_cbranch_execz .LBB192_63
; %bb.62:
	v_mad_u64_u32 v[17:18], null, 0x180, s12, v[7:8]
	v_add_nc_u32_e32 v16, 0x3180, v16
	s_delay_alu instid0(VALU_DEP_2) | instskip(NEXT) | instid1(VALU_DEP_1)
	v_mad_u64_u32 v[19:20], null, 0x180, s13, v[18:19]
	v_mov_b32_e32 v18, v19
	flat_load_b128 v[17:20], v[17:18]
	s_waitcnt vmcnt(0) lgkmcnt(0)
	ds_store_2addr_b64 v16, v[17:18], v[19:20] offset1:1
.LBB192_63:
	s_or_b32 exec_lo, exec_lo, s7
	v_lshlrev_b32_e32 v16, 4, v4
	s_delay_alu instid0(VALU_DEP_1) | instskip(NEXT) | instid1(VALU_DEP_1)
	v_add_co_u32 v7, s7, v7, v16
	v_add_co_ci_u32_e64 v8, s7, 0, v8, s7
	s_delay_alu instid0(VALU_DEP_2) | instskip(NEXT) | instid1(VALU_DEP_1)
	v_sub_co_u32 v7, s7, v7, s24
	v_subrev_co_ci_u32_e64 v8, s7, s25, v8, s7
	s_delay_alu instid0(VALU_DEP_2) | instskip(NEXT) | instid1(VALU_DEP_1)
	v_add_co_u32 v7, s7, 0x210, v7
	v_add_co_ci_u32_e64 v8, s7, 0, v8, s7
	s_delay_alu instid0(VALU_DEP_1)
	v_dual_cndmask_b32 v5, v7, v5 :: v_dual_cndmask_b32 v6, v8, v6
.LBB192_64:
	v_add_nc_u32_e32 v13, 0x4700, v13
	v_add_nc_u32_e32 v7, 0x210, v11
	s_lshl_b64 s[24:25], s[12:13], 5
	s_waitcnt lgkmcnt(0)
	s_barrier
	buffer_gl0_inv
	s_and_saveexec_b32 s7, s3
	s_cbranch_execnz .LBB192_73
; %bb.65:
	s_or_b32 exec_lo, exec_lo, s7
	s_and_saveexec_b32 s3, s4
	s_cbranch_execnz .LBB192_74
.LBB192_66:
	s_or_b32 exec_lo, exec_lo, s3
	s_and_saveexec_b32 s3, s5
	s_cbranch_execnz .LBB192_75
.LBB192_67:
	s_or_b32 exec_lo, exec_lo, s3
	s_and_saveexec_b32 s3, s6
	s_cbranch_execz .LBB192_69
.LBB192_68:
	ds_load_b128 v[16:19], v10
	s_waitcnt lgkmcnt(0)
	ds_store_b128 v12, v[16:19] offset:48
.LBB192_69:
	s_or_b32 exec_lo, exec_lo, s3
	s_waitcnt lgkmcnt(0)
	s_barrier
	buffer_gl0_inv
	ds_load_b128 v[16:19], v13 offset:512
	ds_load_b128 v[20:23], v14
	v_cmp_eq_u32_e64 s3, 1, v9
	s_waitcnt lgkmcnt(0)
	v_mul_f64 v[7:8], v[18:19], v[22:23]
	v_mul_f64 v[34:35], v[16:17], v[22:23]
	ds_load_b128 v[22:25], v11
	ds_load_b128 v[26:29], v13 offset:528
	ds_load_b128 v[30:33], v13 offset:544
	s_waitcnt lgkmcnt(1)
	v_mul_f64 v[40:41], v[28:29], v[24:25]
	v_mul_f64 v[24:25], v[26:27], v[24:25]
	v_fma_f64 v[7:8], v[16:17], v[20:21], -v[7:8]
	v_fma_f64 v[20:21], v[18:19], v[20:21], v[34:35]
	ds_load_b128 v[16:19], v11 offset:528
	ds_load_b128 v[46:49], v10
	s_waitcnt lgkmcnt(1)
	v_mul_f64 v[10:11], v[32:33], v[18:19]
	v_mul_f64 v[34:35], v[30:31], v[18:19]
	v_fma_f64 v[26:27], v[26:27], v[22:23], -v[40:41]
	v_fma_f64 v[22:23], v[28:29], v[22:23], v[24:25]
	v_add_f64 v[7:8], v[7:8], 0
	v_add_f64 v[24:25], v[20:21], 0
	ds_load_b128 v[18:21], v13 offset:560
	s_waitcnt lgkmcnt(0)
	s_barrier
	buffer_gl0_inv
	v_fma_f64 v[10:11], v[30:31], v[16:17], -v[10:11]
	v_mul_f64 v[28:29], v[20:21], v[48:49]
	v_mul_f64 v[40:41], v[18:19], v[48:49]
	v_fma_f64 v[16:17], v[32:33], v[16:17], v[34:35]
	v_add_f64 v[7:8], v[7:8], v[26:27]
	v_add_f64 v[22:23], v[24:25], v[22:23]
	v_fma_f64 v[18:19], v[18:19], v[46:47], -v[28:29]
	v_fma_f64 v[20:21], v[20:21], v[46:47], v[40:41]
	s_delay_alu instid0(VALU_DEP_4) | instskip(NEXT) | instid1(VALU_DEP_4)
	v_add_f64 v[7:8], v[7:8], v[10:11]
	v_add_f64 v[10:11], v[22:23], v[16:17]
	s_delay_alu instid0(VALU_DEP_2) | instskip(NEXT) | instid1(VALU_DEP_2)
	v_add_f64 v[16:17], v[7:8], v[18:19]
	v_add_f64 v[18:19], v[10:11], v[20:21]
	ds_store_b128 v45, v[16:19]
	s_waitcnt lgkmcnt(0)
	s_barrier
	buffer_gl0_inv
	s_and_saveexec_b32 s4, s3
	s_cbranch_execz .LBB192_71
; %bb.70:
	v_lshlrev_b32_e32 v14, 4, v44
	ds_load_b128 v[0:3], v14
	ds_load_b128 v[16:19], v14 offset:16
	s_waitcnt lgkmcnt(0)
	v_add_f64 v[7:8], v[16:17], v[0:1]
	v_add_f64 v[10:11], v[18:19], v[2:3]
	ds_load_b128 v[0:3], v14 offset:32
	ds_load_b128 v[16:19], v14 offset:48
	s_waitcnt lgkmcnt(1)
	v_add_f64 v[0:1], v[7:8], v[0:1]
	v_add_f64 v[2:3], v[10:11], v[2:3]
	s_waitcnt lgkmcnt(0)
	s_delay_alu instid0(VALU_DEP_2) | instskip(NEXT) | instid1(VALU_DEP_2)
	v_add_f64 v[7:8], v[0:1], v[16:17]
	v_add_f64 v[10:11], v[2:3], v[18:19]
	ds_load_b128 v[0:3], v14 offset:64
	ds_load_b128 v[16:19], v14 offset:80
	s_waitcnt lgkmcnt(1)
	v_add_f64 v[0:1], v[7:8], v[0:1]
	v_add_f64 v[2:3], v[10:11], v[2:3]
	s_waitcnt lgkmcnt(0)
	s_delay_alu instid0(VALU_DEP_2) | instskip(NEXT) | instid1(VALU_DEP_2)
	;; [unrolled: 9-line block ×3, first 2 shown]
	v_add_f64 v[0:1], v[0:1], v[16:17]
	v_add_f64 v[2:3], v[2:3], v[18:19]
.LBB192_71:
	s_or_b32 exec_lo, exec_lo, s4
	s_lshl_b64 s[4:5], s[24:25], 4
	v_cmp_ne_u32_e32 vcc_lo, 1, v15
	v_sub_co_u32 v40, s4, v5, s4
	s_delay_alu instid0(VALU_DEP_1)
	v_subrev_co_ci_u32_e64 v41, s4, s5, v6, s4
	s_barrier
	buffer_gl0_inv
	s_cbranch_vccnz .LBB192_76
; %bb.72:
	flat_load_b128 v[5:8], v[40:41]
	v_mad_u32_u24 v10, v9, 33, v4
	s_lshl_b64 s[4:5], s[12:13], 7
	s_delay_alu instid0(SALU_CYCLE_1) | instskip(NEXT) | instid1(VALU_DEP_2)
	v_add_co_u32 v14, vcc_lo, v40, s4
	v_lshlrev_b32_e32 v19, 4, v10
	v_add_co_ci_u32_e32 v15, vcc_lo, s5, v41, vcc_lo
	s_delay_alu instid0(VALU_DEP_2)
	v_add_nc_u32_e32 v11, 0x1080, v19
	s_waitcnt vmcnt(0) lgkmcnt(0)
	ds_store_2addr_b64 v19, v[5:6], v[7:8] offset1:1
	flat_load_b128 v[5:8], v[14:15]
	v_add_co_u32 v14, vcc_lo, v14, s4
	v_add_co_ci_u32_e32 v15, vcc_lo, s5, v15, vcc_lo
	s_waitcnt vmcnt(0) lgkmcnt(0)
	ds_store_2addr_b64 v11, v[5:6], v[7:8] offset1:1
	flat_load_b128 v[5:8], v[14:15]
	v_mad_u64_u32 v[14:15], null, 0x180, s12, v[40:41]
	s_delay_alu instid0(VALU_DEP_1) | instskip(NEXT) | instid1(VALU_DEP_1)
	v_mov_b32_e32 v11, v15
	v_mad_u64_u32 v[15:16], null, 0x180, s13, v[11:12]
	v_add_nc_u32_e32 v11, 0x2100, v19
	v_add_nc_u32_e32 v19, 0x3180, v19
	s_waitcnt vmcnt(0) lgkmcnt(0)
	ds_store_2addr_b64 v11, v[5:6], v[7:8] offset1:1
	v_add_nc_u32_e32 v6, 0x108, v10
	flat_load_b128 v[15:18], v[14:15]
	v_add_nc_u32_e32 v7, 8, v9
	v_add_nc_u32_e32 v8, 16, v9
	;; [unrolled: 1-line block ×5, first 2 shown]
	s_waitcnt vmcnt(0) lgkmcnt(0)
	ds_store_2addr_b64 v19, v[15:16], v[17:18] offset1:1
	s_cbranch_execz .LBB192_77
	s_branch .LBB192_94
.LBB192_73:
	ds_load_b128 v[16:19], v14
	s_waitcnt lgkmcnt(0)
	ds_store_b128 v12, v[16:19]
	s_or_b32 exec_lo, exec_lo, s7
	s_and_saveexec_b32 s3, s4
	s_cbranch_execz .LBB192_66
.LBB192_74:
	ds_load_b128 v[16:19], v11
	s_waitcnt lgkmcnt(0)
	ds_store_b128 v12, v[16:19] offset:16
	s_or_b32 exec_lo, exec_lo, s3
	s_and_saveexec_b32 s3, s5
	s_cbranch_execz .LBB192_67
.LBB192_75:
	ds_load_b128 v[16:19], v7
	s_waitcnt lgkmcnt(0)
	ds_store_b128 v12, v[16:19] offset:32
	s_or_b32 exec_lo, exec_lo, s3
	s_and_saveexec_b32 s3, s6
	s_cbranch_execnz .LBB192_68
	s_branch .LBB192_69
.LBB192_76:
                                        ; implicit-def: $vgpr10
                                        ; implicit-def: $vgpr7
                                        ; implicit-def: $vgpr6
                                        ; implicit-def: $vgpr8
                                        ; implicit-def: $vgpr5
                                        ; implicit-def: $vgpr11
                                        ; implicit-def: $vgpr14
.LBB192_77:
	v_or_b32_e32 v5, 32, v4
	s_ashr_i32 s21, s20, 31
	v_mad_u32_u24 v10, v9, 33, v4
	s_lshl_b64 s[6:7], s[20:21], 4
	v_cmp_le_i32_e64 s4, s20, v9
	v_lshlrev_b32_e32 v6, 4, v5
	s_delay_alu instid0(VALU_DEP_3) | instskip(NEXT) | instid1(VALU_DEP_2)
	v_lshlrev_b32_e32 v15, 4, v10
	v_sub_co_u32 v6, vcc_lo, v40, v6
	v_subrev_co_ci_u32_e32 v7, vcc_lo, 0, v41, vcc_lo
	s_delay_alu instid0(VALU_DEP_2) | instskip(NEXT) | instid1(VALU_DEP_2)
	v_add_co_u32 v6, vcc_lo, v6, s6
	v_add_co_ci_u32_e32 v7, vcc_lo, s7, v7, vcc_lo
	s_delay_alu instid0(VALU_DEP_2) | instskip(NEXT) | instid1(VALU_DEP_2)
	v_add_co_u32 v8, vcc_lo, v6, -16
	v_add_co_ci_u32_e32 v6, vcc_lo, -1, v7, vcc_lo
	v_cmp_gt_i32_e32 vcc_lo, s20, v5
	s_delay_alu instid0(VALU_DEP_2) | instskip(SKIP_1) | instid1(SALU_CYCLE_1)
	v_dual_cndmask_b32 v5, v8, v40 :: v_dual_cndmask_b32 v6, v6, v41
	s_and_saveexec_b32 s5, s4
	s_xor_b32 s4, exec_lo, s5
	s_cbranch_execz .LBB192_79
; %bb.78:
	v_mov_b32_e32 v16, 0
	s_delay_alu instid0(VALU_DEP_1)
	v_mov_b32_e32 v17, v16
	v_mov_b32_e32 v18, v16
	;; [unrolled: 1-line block ×3, first 2 shown]
	ds_store_b128 v15, v[16:19]
.LBB192_79:
	s_and_not1_saveexec_b32 s4, s4
	s_cbranch_execz .LBB192_81
; %bb.80:
	flat_load_b128 v[16:19], v[5:6]
	s_waitcnt vmcnt(0) lgkmcnt(0)
	ds_store_2addr_b64 v15, v[16:17], v[18:19] offset1:1
.LBB192_81:
	s_or_b32 exec_lo, exec_lo, s4
	v_add_nc_u32_e32 v7, 8, v9
	s_delay_alu instid0(VALU_DEP_1) | instskip(NEXT) | instid1(VALU_DEP_1)
	v_cmp_le_i32_e64 s4, s20, v7
	s_and_saveexec_b32 s5, s4
	s_delay_alu instid0(SALU_CYCLE_1)
	s_xor_b32 s4, exec_lo, s5
	s_cbranch_execz .LBB192_83
; %bb.82:
	v_mul_u32_u24_e32 v8, 33, v7
	v_mov_b32_e32 v16, 0
	s_delay_alu instid0(VALU_DEP_2) | instskip(NEXT) | instid1(VALU_DEP_2)
	v_add_lshl_u32 v8, v8, v4, 4
	v_mov_b32_e32 v17, v16
	v_mov_b32_e32 v18, v16
	;; [unrolled: 1-line block ×3, first 2 shown]
	ds_store_b128 v8, v[16:19]
.LBB192_83:
	s_and_not1_saveexec_b32 s5, s4
	s_cbranch_execz .LBB192_85
; %bb.84:
	s_lshl_b64 s[24:25], s[12:13], 7
	v_add_nc_u32_e32 v8, 0x1080, v15
	v_add_co_u32 v16, s4, v5, s24
	s_delay_alu instid0(VALU_DEP_1)
	v_add_co_ci_u32_e64 v17, s4, s25, v6, s4
	flat_load_b128 v[16:19], v[16:17]
	s_waitcnt vmcnt(0) lgkmcnt(0)
	ds_store_2addr_b64 v8, v[16:17], v[18:19] offset1:1
.LBB192_85:
	s_or_b32 exec_lo, exec_lo, s5
	v_add_nc_u32_e32 v8, 16, v9
	s_delay_alu instid0(VALU_DEP_1) | instskip(NEXT) | instid1(VALU_DEP_1)
	v_cmp_le_i32_e64 s4, s20, v8
	s_and_saveexec_b32 s5, s4
	s_delay_alu instid0(SALU_CYCLE_1)
	s_xor_b32 s4, exec_lo, s5
	s_cbranch_execz .LBB192_87
; %bb.86:
	v_mul_u32_u24_e32 v11, 33, v8
	v_mov_b32_e32 v16, 0
	s_delay_alu instid0(VALU_DEP_2) | instskip(NEXT) | instid1(VALU_DEP_2)
	v_add_lshl_u32 v11, v11, v4, 4
	v_mov_b32_e32 v17, v16
	v_mov_b32_e32 v18, v16
	;; [unrolled: 1-line block ×3, first 2 shown]
	ds_store_b128 v11, v[16:19]
.LBB192_87:
	s_and_not1_saveexec_b32 s5, s4
	s_cbranch_execz .LBB192_89
; %bb.88:
	s_lshl_b64 s[24:25], s[12:13], 8
	v_add_nc_u32_e32 v11, 0x2100, v15
	v_add_co_u32 v16, s4, v5, s24
	s_delay_alu instid0(VALU_DEP_1)
	v_add_co_ci_u32_e64 v17, s4, s25, v6, s4
	flat_load_b128 v[16:19], v[16:17]
	s_waitcnt vmcnt(0) lgkmcnt(0)
	ds_store_2addr_b64 v11, v[16:17], v[18:19] offset1:1
.LBB192_89:
	s_or_b32 exec_lo, exec_lo, s5
	v_add_nc_u32_e32 v11, 24, v9
                                        ; implicit-def: $vgpr14
	s_delay_alu instid0(VALU_DEP_1) | instskip(NEXT) | instid1(VALU_DEP_1)
	v_cmp_le_i32_e64 s4, s20, v11
	s_and_saveexec_b32 s5, s4
	s_delay_alu instid0(SALU_CYCLE_1)
	s_xor_b32 s4, exec_lo, s5
	s_cbranch_execz .LBB192_91
; %bb.90:
	v_mov_b32_e32 v16, 0
	s_delay_alu instid0(VALU_DEP_1)
	v_dual_mov_b32 v17, v16 :: v_dual_add_nc_u32 v14, 0x318, v10
	v_mov_b32_e32 v18, v16
	v_mov_b32_e32 v19, v16
	ds_store_b128 v15, v[16:19] offset:12672
                                        ; implicit-def: $vgpr15
.LBB192_91:
	s_and_not1_saveexec_b32 s4, s4
	s_cbranch_execz .LBB192_93
; %bb.92:
	v_mad_u64_u32 v[16:17], null, 0x180, s12, v[5:6]
	s_delay_alu instid0(VALU_DEP_1) | instskip(NEXT) | instid1(VALU_DEP_1)
	v_mov_b32_e32 v14, v17
	v_mad_u64_u32 v[17:18], null, 0x180, s13, v[14:15]
	v_add_nc_u32_e32 v15, 0x3180, v15
	v_add_nc_u32_e32 v14, 0x318, v10
	flat_load_b128 v[16:19], v[16:17]
	s_waitcnt vmcnt(0) lgkmcnt(0)
	ds_store_2addr_b64 v15, v[16:17], v[18:19] offset1:1
.LBB192_93:
	s_or_b32 exec_lo, exec_lo, s4
	v_lshlrev_b32_e32 v4, 4, v4
	s_delay_alu instid0(VALU_DEP_1) | instskip(NEXT) | instid1(VALU_DEP_1)
	v_add_co_u32 v4, s4, v5, v4
	v_add_co_ci_u32_e64 v5, s4, 0, v6, s4
	v_add_nc_u32_e32 v6, 0x108, v10
	s_delay_alu instid0(VALU_DEP_3) | instskip(NEXT) | instid1(VALU_DEP_1)
	v_sub_co_u32 v4, s4, v4, s6
	v_subrev_co_ci_u32_e64 v5, s4, s7, v5, s4
	s_delay_alu instid0(VALU_DEP_2) | instskip(NEXT) | instid1(VALU_DEP_1)
	v_add_co_u32 v4, s4, 0x210, v4
	v_add_co_ci_u32_e64 v5, s4, 0, v5, s4
	s_delay_alu instid0(VALU_DEP_1)
	v_dual_cndmask_b32 v40, v4, v40 :: v_dual_cndmask_b32 v41, v5, v41
	v_add_nc_u32_e32 v5, 0x210, v10
.LBB192_94:
	v_lshlrev_b32_e32 v4, 4, v9
	v_lshlrev_b32_e32 v9, 4, v10
	s_waitcnt lgkmcnt(0)
	s_barrier
	buffer_gl0_inv
	ds_load_b128 v[15:18], v4 offset:18176
	ds_load_b128 v[19:22], v9
	v_lshlrev_b32_e32 v4, 4, v7
	v_lshlrev_b32_e32 v6, 4, v6
	;; [unrolled: 1-line block ×3, first 2 shown]
	s_waitcnt lgkmcnt(0)
	v_mul_f64 v[9:10], v[17:18], v[21:22]
	v_mul_f64 v[29:30], v[15:16], v[21:22]
	ds_load_b128 v[21:24], v4 offset:18176
	ds_load_b128 v[25:28], v6
	v_lshlrev_b32_e32 v4, 4, v8
	v_lshlrev_b32_e32 v8, 4, v5
	s_waitcnt lgkmcnt(0)
	v_mul_f64 v[31:32], v[23:24], v[27:28]
	v_mul_f64 v[27:28], v[21:22], v[27:28]
	v_fma_f64 v[9:10], v[15:16], v[19:20], -v[9:10]
	v_fma_f64 v[19:20], v[17:18], v[19:20], v[29:30]
	ds_load_b128 v[4:7], v4 offset:18176
	ds_load_b128 v[15:18], v8
	v_lshlrev_b32_e32 v8, 4, v11
	s_waitcnt lgkmcnt(0)
	v_mul_f64 v[29:30], v[6:7], v[17:18]
	v_mul_f64 v[33:34], v[4:5], v[17:18]
	v_fma_f64 v[21:22], v[21:22], v[25:26], -v[31:32]
	v_fma_f64 v[23:24], v[23:24], v[25:26], v[27:28]
	v_add_f64 v[25:26], v[9:10], 0
	v_add_f64 v[27:28], v[19:20], 0
	ds_load_b128 v[8:11], v8 offset:18176
	ds_load_b128 v[17:20], v14
	s_waitcnt lgkmcnt(0)
	v_mul_f64 v[31:32], v[10:11], v[19:20]
	v_mul_f64 v[19:20], v[8:9], v[19:20]
	v_fma_f64 v[4:5], v[4:5], v[15:16], -v[29:30]
	v_fma_f64 v[6:7], v[6:7], v[15:16], v[33:34]
	v_add_f64 v[14:15], v[25:26], v[21:22]
	v_add_f64 v[21:22], v[27:28], v[23:24]
	v_fma_f64 v[8:9], v[8:9], v[17:18], -v[31:32]
	v_fma_f64 v[10:11], v[10:11], v[17:18], v[19:20]
	s_delay_alu instid0(VALU_DEP_4) | instskip(NEXT) | instid1(VALU_DEP_4)
	v_add_f64 v[4:5], v[14:15], v[4:5]
	v_add_f64 v[6:7], v[21:22], v[6:7]
	s_delay_alu instid0(VALU_DEP_2) | instskip(NEXT) | instid1(VALU_DEP_2)
	v_add_f64 v[46:47], v[4:5], v[8:9]
	v_add_f64 v[48:49], v[6:7], v[10:11]
	ds_load_b128 v[28:31], v12
	ds_load_b128 v[20:23], v12 offset:16
	ds_load_b128 v[8:11], v12 offset:32
	;; [unrolled: 1-line block ×7, first 2 shown]
	s_waitcnt lgkmcnt(0)
	s_barrier
	buffer_gl0_inv
	ds_store_b128 v45, v[46:49]
	s_waitcnt lgkmcnt(0)
	s_barrier
	buffer_gl0_inv
	s_and_saveexec_b32 s4, s3
	s_cbranch_execz .LBB192_96
; %bb.95:
	v_lshlrev_b32_e32 v54, 4, v44
	ds_load_b128 v[46:49], v54
	ds_load_b128 v[50:53], v54 offset:16
	s_waitcnt lgkmcnt(1)
	v_add_f64 v[0:1], v[0:1], v[46:47]
	v_add_f64 v[2:3], v[2:3], v[48:49]
	s_waitcnt lgkmcnt(0)
	s_delay_alu instid0(VALU_DEP_2) | instskip(NEXT) | instid1(VALU_DEP_2)
	v_add_f64 v[50:51], v[0:1], v[50:51]
	v_add_f64 v[52:53], v[2:3], v[52:53]
	ds_load_b128 v[0:3], v54 offset:32
	ds_load_b128 v[46:49], v54 offset:48
	s_waitcnt lgkmcnt(1)
	v_add_f64 v[0:1], v[50:51], v[0:1]
	v_add_f64 v[2:3], v[52:53], v[2:3]
	s_waitcnt lgkmcnt(0)
	s_delay_alu instid0(VALU_DEP_2) | instskip(NEXT) | instid1(VALU_DEP_2)
	v_add_f64 v[50:51], v[0:1], v[46:47]
	v_add_f64 v[52:53], v[2:3], v[48:49]
	ds_load_b128 v[0:3], v54 offset:64
	ds_load_b128 v[46:49], v54 offset:80
	s_waitcnt lgkmcnt(1)
	v_add_f64 v[0:1], v[50:51], v[0:1]
	v_add_f64 v[2:3], v[52:53], v[2:3]
	s_waitcnt lgkmcnt(0)
	s_delay_alu instid0(VALU_DEP_2) | instskip(NEXT) | instid1(VALU_DEP_2)
	v_add_f64 v[50:51], v[0:1], v[46:47]
	v_add_f64 v[52:53], v[2:3], v[48:49]
	ds_load_b128 v[0:3], v54 offset:96
	ds_load_b128 v[46:49], v54 offset:112
	s_waitcnt lgkmcnt(1)
	v_add_f64 v[0:1], v[50:51], v[0:1]
	v_add_f64 v[2:3], v[52:53], v[2:3]
	s_waitcnt lgkmcnt(0)
	s_delay_alu instid0(VALU_DEP_2) | instskip(NEXT) | instid1(VALU_DEP_2)
	v_add_f64 v[0:1], v[0:1], v[46:47]
	v_add_f64 v[2:3], v[2:3], v[48:49]
.LBB192_96:
	s_or_b32 exec_lo, exec_lo, s4
	v_mul_f64 v[46:47], v[30:31], v[34:35]
	v_mul_f64 v[34:35], v[28:29], v[34:35]
	v_mul_f64 v[48:49], v[22:23], v[26:27]
	v_mul_f64 v[26:27], v[20:21], v[26:27]
	s_barrier
	buffer_gl0_inv
	v_fma_f64 v[28:29], v[28:29], v[32:33], -v[46:47]
	v_fma_f64 v[30:31], v[30:31], v[32:33], v[34:35]
	v_mul_f64 v[32:33], v[10:11], v[18:19]
	v_mul_f64 v[18:19], v[8:9], v[18:19]
	v_fma_f64 v[20:21], v[20:21], v[24:25], -v[48:49]
	v_fma_f64 v[22:23], v[22:23], v[24:25], v[26:27]
	v_add_f64 v[24:25], v[28:29], 0
	v_add_f64 v[26:27], v[30:31], 0
	v_mul_f64 v[28:29], v[6:7], v[14:15]
	v_mul_f64 v[14:15], v[4:5], v[14:15]
	v_fma_f64 v[8:9], v[8:9], v[16:17], -v[32:33]
	v_fma_f64 v[10:11], v[10:11], v[16:17], v[18:19]
	v_add_f64 v[16:17], v[24:25], v[20:21]
	v_add_f64 v[18:19], v[26:27], v[22:23]
	v_fma_f64 v[4:5], v[4:5], v[12:13], -v[28:29]
	v_fma_f64 v[6:7], v[6:7], v[12:13], v[14:15]
	s_delay_alu instid0(VALU_DEP_4) | instskip(NEXT) | instid1(VALU_DEP_4)
	v_add_f64 v[8:9], v[16:17], v[8:9]
	v_add_f64 v[10:11], v[18:19], v[10:11]
	s_delay_alu instid0(VALU_DEP_2) | instskip(NEXT) | instid1(VALU_DEP_2)
	v_add_f64 v[4:5], v[8:9], v[4:5]
	v_add_f64 v[6:7], v[10:11], v[6:7]
	ds_store_b128 v45, v[4:7]
	s_waitcnt lgkmcnt(0)
	s_barrier
	buffer_gl0_inv
	s_and_saveexec_b32 s3, s2
	s_cbranch_execz .LBB192_98
; %bb.97:
	v_lshlrev_b32_e32 v12, 4, v44
	ds_load_b128 v[4:7], v12
	ds_load_b128 v[8:11], v12 offset:16
	s_waitcnt lgkmcnt(1)
	v_add_f64 v[0:1], v[0:1], v[4:5]
	v_add_f64 v[2:3], v[2:3], v[6:7]
	s_waitcnt lgkmcnt(0)
	s_delay_alu instid0(VALU_DEP_2) | instskip(NEXT) | instid1(VALU_DEP_2)
	v_add_f64 v[8:9], v[0:1], v[8:9]
	v_add_f64 v[10:11], v[2:3], v[10:11]
	ds_load_b128 v[0:3], v12 offset:32
	ds_load_b128 v[4:7], v12 offset:48
	s_waitcnt lgkmcnt(1)
	v_add_f64 v[0:1], v[8:9], v[0:1]
	v_add_f64 v[2:3], v[10:11], v[2:3]
	s_waitcnt lgkmcnt(0)
	s_delay_alu instid0(VALU_DEP_2) | instskip(NEXT) | instid1(VALU_DEP_2)
	v_add_f64 v[8:9], v[0:1], v[4:5]
	v_add_f64 v[10:11], v[2:3], v[6:7]
	ds_load_b128 v[0:3], v12 offset:64
	;; [unrolled: 9-line block ×3, first 2 shown]
	ds_load_b128 v[4:7], v12 offset:112
	s_waitcnt lgkmcnt(1)
	v_add_f64 v[0:1], v[8:9], v[0:1]
	v_add_f64 v[2:3], v[10:11], v[2:3]
	s_waitcnt lgkmcnt(0)
	s_delay_alu instid0(VALU_DEP_2) | instskip(NEXT) | instid1(VALU_DEP_2)
	v_add_f64 v[0:1], v[0:1], v[4:5]
	v_add_f64 v[2:3], v[2:3], v[6:7]
.LBB192_98:
	s_or_b32 exec_lo, exec_lo, s3
	s_mul_hi_u32 s2, s15, s16
	s_mul_i32 s26, s26, s16
	s_mul_i32 s3, s15, s16
	s_add_i32 s2, s2, s26
	s_mul_hi_u32 s5, s3, s17
	s_mul_i32 s4, s2, s17
	s_mul_i32 s2, s3, s17
	s_add_i32 s3, s5, s4
	s_mul_i32 s4, s14, s15
	s_lshl_b64 s[2:3], s[2:3], 4
	v_cmp_le_i32_e32 vcc_lo, s20, v42
	s_add_u32 s6, s18, s2
	s_addc_u32 s7, s19, s3
	s_ashr_i32 s5, s4, 31
	v_lshlrev_b32_e32 v151, 4, v42
	s_lshl_b64 s[2:3], s[4:5], 4
	s_delay_alu instid0(SALU_CYCLE_1)
	s_add_u32 s6, s6, s2
	s_addc_u32 s7, s7, s3
	s_and_b32 vcc_lo, s27, vcc_lo
	s_cmp_lt_i32 s14, 1
	s_barrier
	buffer_gl0_inv
	s_cbranch_scc1 .LBB192_105
; %bb.99:
	v_dual_mov_b32 v147, 0 :: v_dual_lshlrev_b32 v8, 2, v150
	s_ashr_i32 s21, s20, 31
	s_mul_i32 s3, s10, s9
	s_mul_hi_u32 s5, s10, s8
	s_delay_alu instid0(VALU_DEP_1)
	v_mad_u64_u32 v[4:5], null, v8, s12, 0
	s_mul_i32 s15, s11, s8
	s_mul_i32 s4, s10, s8
	s_lshl_b64 s[10:11], s[20:21], 4
	v_lshlrev_b32_e32 v10, 2, v43
	s_add_i32 s3, s5, s3
	v_add_nc_u32_e32 v153, 0x4700, v151
	s_delay_alu instid0(VALU_DEP_3) | instskip(SKIP_2) | instid1(VALU_DEP_1)
	v_mad_u64_u32 v[6:7], null, v8, s13, v[5:6]
	v_add_nc_u32_e32 v152, 0x4300, v151
	v_sub_co_u32 v7, s2, v40, s22
	v_subrev_co_ci_u32_e64 v8, s2, s23, v41, s2
	s_add_i32 s5, s3, s15
	s_delay_alu instid0(VALU_DEP_4) | instskip(NEXT) | instid1(VALU_DEP_3)
	v_mov_b32_e32 v5, v6
	v_sub_co_u32 v7, s2, v7, v38
	s_delay_alu instid0(VALU_DEP_1) | instskip(NEXT) | instid1(VALU_DEP_3)
	v_sub_co_ci_u32_e64 v8, s2, v8, v39, s2
	v_lshlrev_b64 v[4:5], 4, v[4:5]
	s_lshl_b64 s[4:5], s[4:5], 4
	v_and_b32_e32 v10, 0x7ffc0, v10
	v_lshl_add_u32 v159, v150, 6, 0x4300
	v_mad_u32_u24 v160, 0x10c0, v150, v151
	s_mul_i32 s3, s13, 0xd0
	v_add_co_u32 v4, s2, v7, v4
	s_delay_alu instid0(VALU_DEP_1) | instskip(NEXT) | instid1(VALU_DEP_2)
	v_add_co_ci_u32_e64 v5, s2, v8, v5, s2
	v_add_co_u32 v4, s2, 0xfffffe00, v4
	s_delay_alu instid0(VALU_DEP_1) | instskip(NEXT) | instid1(VALU_DEP_2)
	v_add_co_ci_u32_e64 v5, s2, -1, v5, s2
	v_add_co_u32 v8, s2, v4, s10
	s_delay_alu instid0(VALU_DEP_1) | instskip(SKIP_1) | instid1(VALU_DEP_1)
	v_add_co_ci_u32_e64 v11, s2, s11, v5, s2
	v_add_co_u32 v4, s2, v4, v151
	v_add_co_ci_u32_e64 v5, s2, 0, v5, s2
	s_delay_alu instid0(VALU_DEP_4) | instskip(NEXT) | instid1(VALU_DEP_1)
	v_add_co_u32 v8, s2, v8, -16
	v_add_co_ci_u32_e64 v11, s2, -1, v11, s2
	v_and_b32_e32 v6, 48, v42
	s_delay_alu instid0(VALU_DEP_3) | instskip(NEXT) | instid1(VALU_DEP_3)
	v_dual_cndmask_b32 v4, v4, v8 :: v_dual_and_b32 v9, 15, v42
	v_cndmask_b32_e32 v5, v5, v11, vcc_lo
	v_or_b32_e32 v8, 0xf0, v151
	s_delay_alu instid0(VALU_DEP_4) | instskip(SKIP_1) | instid1(VALU_DEP_1)
	v_lshlrev_b32_e32 v7, 4, v6
	v_sub_co_u32 v154, s2, v36, s4
	v_subrev_co_ci_u32_e64 v155, s2, s5, v37, s2
	s_delay_alu instid0(VALU_DEP_3)
	v_mad_u32_u24 v156, 0x430, v9, v7
	v_and_b32_e32 v7, 0x1fff0, v43
	v_cmp_gt_u32_e64 s2, 64, v43
	v_mad_u32_u24 v157, 0x430, v9, v8
	v_mad_u32_u24 v158, 0x430, v9, v10
	v_or_b32_e32 v162, v6, v9
	v_mad_u32_u24 v161, 0x430, v9, v7
	s_mul_hi_u32 s10, s12, 0xd0
	s_lshl_b64 s[4:5], s[12:13], 4
	s_add_i32 s10, s10, s3
	s_mul_i32 s11, s12, 0xd0
	s_mov_b32 s12, 0
	s_branch .LBB192_101
.LBB192_100:                            ;   in Loop: Header=BB192_101 Depth=1
	s_or_b32 exec_lo, exec_lo, s13
	v_mul_f64 v[108:109], v[10:11], v[38:39]
	v_mul_f64 v[38:39], v[8:9], v[38:39]
	;; [unrolled: 1-line block ×4, first 2 shown]
	s_add_i32 s14, s14, -1
	s_add_i32 s12, s12, 64
	s_cmp_eq_u32 s14, 0
	s_waitcnt_vscnt null, 0x0
	s_barrier
	buffer_gl0_inv
	v_fma_f64 v[8:9], v[8:9], v[36:37], -v[108:109]
	v_fma_f64 v[10:11], v[10:11], v[36:37], v[38:39]
	v_mul_f64 v[36:37], v[14:15], v[46:47]
	v_mul_f64 v[38:39], v[12:13], v[46:47]
	v_fma_f64 v[16:17], v[16:17], v[48:49], -v[110:111]
	v_fma_f64 v[18:19], v[18:19], v[48:49], v[50:51]
	v_add_f64 v[0:1], v[0:1], v[8:9]
	v_add_f64 v[2:3], v[2:3], v[10:11]
	v_mul_f64 v[8:9], v[6:7], v[42:43]
	v_mul_f64 v[10:11], v[4:5], v[42:43]
	v_fma_f64 v[12:13], v[12:13], v[44:45], -v[36:37]
	v_fma_f64 v[14:15], v[14:15], v[44:45], v[38:39]
	v_add_f64 v[0:1], v[0:1], v[16:17]
	v_add_f64 v[2:3], v[2:3], v[18:19]
	v_mul_f64 v[16:17], v[34:35], v[74:75]
	v_mul_f64 v[18:19], v[32:33], v[74:75]
	v_fma_f64 v[4:5], v[4:5], v[40:41], -v[8:9]
	v_fma_f64 v[6:7], v[6:7], v[40:41], v[10:11]
	v_mul_f64 v[8:9], v[30:31], v[82:83]
	v_mul_f64 v[10:11], v[28:29], v[82:83]
	v_add_f64 v[0:1], v[0:1], v[12:13]
	v_add_f64 v[2:3], v[2:3], v[14:15]
	v_fma_f64 v[12:13], v[32:33], v[72:73], -v[16:17]
	v_fma_f64 v[14:15], v[34:35], v[72:73], v[18:19]
	v_fma_f64 v[8:9], v[28:29], v[80:81], -v[8:9]
	v_fma_f64 v[10:11], v[30:31], v[80:81], v[10:11]
	v_add_f64 v[0:1], v[0:1], v[4:5]
	v_add_f64 v[2:3], v[2:3], v[6:7]
	v_mul_f64 v[4:5], v[26:27], v[78:79]
	v_mul_f64 v[6:7], v[24:25], v[78:79]
	s_delay_alu instid0(VALU_DEP_4) | instskip(NEXT) | instid1(VALU_DEP_4)
	v_add_f64 v[0:1], v[0:1], v[12:13]
	v_add_f64 v[2:3], v[2:3], v[14:15]
	v_mul_f64 v[12:13], v[22:23], v[70:71]
	v_mul_f64 v[14:15], v[20:21], v[70:71]
	v_fma_f64 v[4:5], v[24:25], v[76:77], -v[4:5]
	v_fma_f64 v[6:7], v[26:27], v[76:77], v[6:7]
	v_add_f64 v[0:1], v[0:1], v[8:9]
	v_add_f64 v[2:3], v[2:3], v[10:11]
	v_mul_f64 v[8:9], v[66:67], v[102:103]
	v_mul_f64 v[10:11], v[64:65], v[102:103]
	v_fma_f64 v[12:13], v[20:21], v[68:69], -v[12:13]
	v_fma_f64 v[14:15], v[22:23], v[68:69], v[14:15]
	;; [unrolled: 6-line block ×9, first 2 shown]
	v_add_f64 v[0:1], v[0:1], v[12:13]
	v_add_f64 v[2:3], v[2:3], v[14:15]
	v_fma_f64 v[4:5], v[120:121], v[128:129], -v[4:5]
	v_fma_f64 v[6:7], v[122:123], v[128:129], v[6:7]
	s_delay_alu instid0(VALU_DEP_4) | instskip(NEXT) | instid1(VALU_DEP_4)
	v_add_f64 v[0:1], v[0:1], v[8:9]
	v_add_f64 v[2:3], v[2:3], v[10:11]
	s_delay_alu instid0(VALU_DEP_2) | instskip(NEXT) | instid1(VALU_DEP_2)
	v_add_f64 v[0:1], v[0:1], v[4:5]
	v_add_f64 v[2:3], v[2:3], v[6:7]
	v_add_co_u32 v4, s3, v148, s11
	s_delay_alu instid0(VALU_DEP_1)
	v_add_co_ci_u32_e64 v5, s3, s10, v149, s3
	s_cbranch_scc1 .LBB192_105
.LBB192_101:                            ; =>This Inner Loop Header: Depth=1
	s_and_saveexec_b32 s13, s1
	s_cbranch_execz .LBB192_103
; %bb.102:                              ;   in Loop: Header=BB192_101 Depth=1
	s_mul_i32 s3, s12, s9
	s_mul_hi_u32 s15, s12, s8
	s_mul_i32 s16, s12, s8
	s_add_i32 s17, s15, s3
	s_delay_alu instid0(SALU_CYCLE_1) | instskip(NEXT) | instid1(SALU_CYCLE_1)
	s_lshl_b64 s[16:17], s[16:17], 4
	v_add_co_u32 v6, s3, v154, s16
	s_delay_alu instid0(VALU_DEP_1)
	v_add_co_ci_u32_e64 v7, s3, s17, v155, s3
	flat_load_b128 v[6:9], v[6:7]
	s_waitcnt vmcnt(0) lgkmcnt(0)
	ds_store_2addr_b64 v152, v[6:7], v[8:9] offset1:1
.LBB192_103:                            ;   in Loop: Header=BB192_101 Depth=1
	s_or_b32 exec_lo, exec_lo, s13
	v_add_co_u32 v6, s3, v4, s4
	s_delay_alu instid0(VALU_DEP_1) | instskip(SKIP_1) | instid1(VALU_DEP_2)
	v_add_co_ci_u32_e64 v7, s3, s5, v5, s3
	s_waitcnt lgkmcnt(0)
	v_add_co_u32 v12, s3, v6, s4
	s_delay_alu instid0(VALU_DEP_1) | instskip(SKIP_1) | instid1(VALU_DEP_2)
	v_add_co_ci_u32_e64 v13, s3, s5, v7, s3
	s_barrier
	v_add_co_u32 v34, s3, v12, s4
	buffer_gl0_inv
	flat_load_b128 v[8:11], v[4:5]
	v_add_co_ci_u32_e64 v35, s3, s5, v13, s3
	s_clause 0x2
	flat_load_b128 v[16:19], v[6:7]
	flat_load_b128 v[12:15], v[12:13]
	;; [unrolled: 1-line block ×3, first 2 shown]
	ds_load_b128 v[20:23], v153
	ds_load_b128 v[36:39], v159
	s_waitcnt vmcnt(3) lgkmcnt(1)
	v_mul_f64 v[24:25], v[10:11], v[22:23]
	v_mul_f64 v[26:27], v[8:9], v[22:23]
	s_waitcnt vmcnt(2)
	v_mul_f64 v[28:29], v[18:19], v[22:23]
	v_mul_f64 v[30:31], v[16:17], v[22:23]
	s_waitcnt vmcnt(1)
	v_mul_f64 v[32:33], v[14:15], v[22:23]
	v_mul_f64 v[40:41], v[12:13], v[22:23]
	s_waitcnt vmcnt(0)
	v_mul_f64 v[42:43], v[6:7], v[22:23]
	v_mul_f64 v[44:45], v[4:5], v[22:23]
	v_fma_f64 v[22:23], v[8:9], v[20:21], -v[24:25]
	v_fma_f64 v[24:25], v[10:11], v[20:21], v[26:27]
	v_fma_f64 v[26:27], v[16:17], v[20:21], -v[28:29]
	v_fma_f64 v[28:29], v[18:19], v[20:21], v[30:31]
	;; [unrolled: 2-line block ×4, first 2 shown]
	v_add_co_u32 v20, s3, v34, s11
	s_delay_alu instid0(VALU_DEP_1) | instskip(NEXT) | instid1(VALU_DEP_2)
	v_add_co_ci_u32_e64 v21, s3, s10, v35, s3
	v_add_co_u32 v56, s3, v20, s4
	s_delay_alu instid0(VALU_DEP_1) | instskip(NEXT) | instid1(VALU_DEP_2)
	v_add_co_ci_u32_e64 v57, s3, s5, v21, s3
	;; [unrolled: 3-line block ×3, first 2 shown]
	v_add_co_u32 v66, s3, v58, s4
	s_delay_alu instid0(VALU_DEP_1)
	v_add_co_ci_u32_e64 v67, s3, s5, v59, s3
	ds_store_b128 v160, v[22:25]
	ds_load_b128 v[48:51], v159 offset:16
	ds_store_b128 v160, v[26:29] offset:1072
	ds_load_b128 v[44:47], v159 offset:32
	ds_store_b128 v160, v[30:33] offset:2144
	;; [unrolled: 2-line block ×3, first 2 shown]
	s_waitcnt lgkmcnt(0)
	s_barrier
	buffer_gl0_inv
	ds_load_b128 v[128:131], v158
	ds_load_b128 v[140:143], v158 offset:16
	ds_load_b128 v[116:119], v158 offset:32
	;; [unrolled: 1-line block ×3, first 2 shown]
	s_waitcnt lgkmcnt(0)
	s_barrier
	buffer_gl0_inv
	s_clause 0x2
	flat_load_b128 v[32:35], v[20:21]
	flat_load_b128 v[28:31], v[56:57]
	;; [unrolled: 1-line block ×4, first 2 shown]
	ds_load_b128 v[52:55], v153
	ds_load_b128 v[72:75], v159 offset:256
	v_add_f64 v[207:208], v[128:129], 0
	v_add_f64 v[209:210], v[130:131], 0
	s_waitcnt vmcnt(2) lgkmcnt(1)
	v_mul_f64 v[60:61], v[30:31], v[54:55]
	v_mul_f64 v[56:57], v[34:35], v[54:55]
	;; [unrolled: 1-line block ×4, first 2 shown]
	s_waitcnt vmcnt(1)
	v_mul_f64 v[64:65], v[26:27], v[54:55]
	v_mul_f64 v[68:69], v[24:25], v[54:55]
	s_waitcnt vmcnt(0)
	v_mul_f64 v[70:71], v[22:23], v[54:55]
	v_mul_f64 v[76:77], v[20:21], v[54:55]
	v_fma_f64 v[54:55], v[32:33], v[52:53], -v[56:57]
	v_fma_f64 v[56:57], v[34:35], v[52:53], v[58:59]
	v_fma_f64 v[58:59], v[28:29], v[52:53], -v[60:61]
	v_fma_f64 v[60:61], v[30:31], v[52:53], v[62:63]
	;; [unrolled: 2-line block ×4, first 2 shown]
	v_add_co_u32 v52, s3, v66, s11
	s_delay_alu instid0(VALU_DEP_1) | instskip(NEXT) | instid1(VALU_DEP_2)
	v_add_co_ci_u32_e64 v53, s3, s10, v67, s3
	v_add_co_u32 v88, s3, v52, s4
	s_delay_alu instid0(VALU_DEP_1) | instskip(NEXT) | instid1(VALU_DEP_2)
	v_add_co_ci_u32_e64 v89, s3, s5, v53, s3
	;; [unrolled: 3-line block ×3, first 2 shown]
	v_add_co_u32 v98, s3, v90, s4
	s_delay_alu instid0(VALU_DEP_1)
	v_add_co_ci_u32_e64 v99, s3, s5, v91, s3
	ds_store_b128 v160, v[54:57]
	ds_load_b128 v[80:83], v159 offset:272
	ds_store_b128 v160, v[58:61] offset:1072
	ds_load_b128 v[76:79], v159 offset:288
	ds_store_b128 v160, v[62:65] offset:2144
	;; [unrolled: 2-line block ×3, first 2 shown]
	s_waitcnt lgkmcnt(0)
	s_barrier
	buffer_gl0_inv
	ds_load_b128 v[163:166], v158
	ds_load_b128 v[167:170], v158 offset:16
	ds_load_b128 v[171:174], v158 offset:32
	;; [unrolled: 1-line block ×3, first 2 shown]
	s_waitcnt lgkmcnt(0)
	s_barrier
	buffer_gl0_inv
	flat_load_b128 v[64:67], v[52:53]
	flat_load_b128 v[60:63], v[88:89]
	;; [unrolled: 1-line block ×4, first 2 shown]
	ds_load_b128 v[84:87], v153
	ds_load_b128 v[100:103], v159 offset:512
	v_add_f64 v[163:164], v[163:164], 0
	v_add_f64 v[165:166], v[165:166], 0
	s_delay_alu instid0(VALU_DEP_2) | instskip(NEXT) | instid1(VALU_DEP_2)
	v_add_f64 v[163:164], v[163:164], v[167:168]
	v_add_f64 v[165:166], v[165:166], v[169:170]
	s_delay_alu instid0(VALU_DEP_2) | instskip(NEXT) | instid1(VALU_DEP_2)
	v_add_f64 v[163:164], v[163:164], v[171:172]
	v_add_f64 v[165:166], v[165:166], v[173:174]
	s_waitcnt vmcnt(2) lgkmcnt(1)
	v_mul_f64 v[92:93], v[62:63], v[86:87]
	v_mul_f64 v[88:89], v[66:67], v[86:87]
	v_mul_f64 v[90:91], v[64:65], v[86:87]
	v_mul_f64 v[94:95], v[60:61], v[86:87]
	s_waitcnt vmcnt(1)
	v_mul_f64 v[96:97], v[58:59], v[86:87]
	v_mul_f64 v[104:105], v[56:57], v[86:87]
	s_waitcnt vmcnt(0)
	v_mul_f64 v[106:107], v[54:55], v[86:87]
	v_mul_f64 v[112:113], v[52:53], v[86:87]
	v_fma_f64 v[86:87], v[64:65], v[84:85], -v[88:89]
	v_fma_f64 v[88:89], v[66:67], v[84:85], v[90:91]
	v_fma_f64 v[90:91], v[60:61], v[84:85], -v[92:93]
	v_fma_f64 v[92:93], v[62:63], v[84:85], v[94:95]
	;; [unrolled: 2-line block ×4, first 2 shown]
	v_add_co_u32 v84, s3, v98, s11
	s_delay_alu instid0(VALU_DEP_1) | instskip(NEXT) | instid1(VALU_DEP_2)
	v_add_co_ci_u32_e64 v85, s3, s10, v99, s3
	v_add_co_u32 v124, s3, v84, s4
	s_delay_alu instid0(VALU_DEP_1) | instskip(NEXT) | instid1(VALU_DEP_2)
	v_add_co_ci_u32_e64 v125, s3, s5, v85, s3
	;; [unrolled: 3-line block ×3, first 2 shown]
	v_add_co_u32 v148, s3, v136, s4
	s_delay_alu instid0(VALU_DEP_1)
	v_add_co_ci_u32_e64 v149, s3, s5, v137, s3
	ds_store_b128 v160, v[86:89]
	ds_load_b128 v[112:115], v159 offset:528
	ds_store_b128 v160, v[90:93] offset:1072
	ds_load_b128 v[104:107], v159 offset:544
	ds_store_b128 v160, v[94:97] offset:2144
	;; [unrolled: 2-line block ×3, first 2 shown]
	s_waitcnt lgkmcnt(0)
	s_barrier
	buffer_gl0_inv
	ds_load_b128 v[179:182], v158
	ds_load_b128 v[183:186], v158 offset:16
	ds_load_b128 v[187:190], v158 offset:32
	;; [unrolled: 1-line block ×3, first 2 shown]
	s_waitcnt lgkmcnt(0)
	s_barrier
	buffer_gl0_inv
	flat_load_b128 v[88:91], v[84:85]
	flat_load_b128 v[84:87], v[124:125]
	flat_load_b128 v[92:95], v[136:137]
	ds_load_b128 v[132:135], v153
	ds_load_b128 v[124:127], v159 offset:768
	v_add_f64 v[179:180], v[179:180], 0
	v_add_f64 v[181:182], v[181:182], 0
	s_delay_alu instid0(VALU_DEP_2) | instskip(NEXT) | instid1(VALU_DEP_2)
	v_add_f64 v[167:168], v[179:180], v[183:184]
	v_add_f64 v[169:170], v[181:182], v[185:186]
	s_delay_alu instid0(VALU_DEP_2) | instskip(NEXT) | instid1(VALU_DEP_2)
	v_add_f64 v[167:168], v[167:168], v[187:188]
	v_add_f64 v[169:170], v[169:170], v[189:190]
	s_waitcnt vmcnt(2) lgkmcnt(1)
	v_mul_f64 v[120:121], v[90:91], v[134:135]
	v_mul_f64 v[122:123], v[88:89], v[134:135]
	s_waitcnt vmcnt(1)
	v_mul_f64 v[195:196], v[86:87], v[134:135]
	v_mul_f64 v[197:198], v[84:85], v[134:135]
	s_waitcnt vmcnt(0)
	v_mul_f64 v[199:200], v[94:95], v[134:135]
	v_mul_f64 v[201:202], v[92:93], v[134:135]
	v_fma_f64 v[136:137], v[88:89], v[132:133], -v[120:121]
	v_fma_f64 v[138:139], v[90:91], v[132:133], v[122:123]
	flat_load_b128 v[120:123], v[148:149]
	v_fma_f64 v[195:196], v[84:85], v[132:133], -v[195:196]
	v_fma_f64 v[197:198], v[86:87], v[132:133], v[197:198]
	v_fma_f64 v[199:200], v[92:93], v[132:133], -v[199:200]
	v_fma_f64 v[201:202], v[94:95], v[132:133], v[201:202]
	ds_store_b128 v160, v[136:139]
	ds_load_b128 v[136:139], v159 offset:784
	ds_store_b128 v160, v[195:198] offset:1072
	s_waitcnt vmcnt(0) lgkmcnt(3)
	v_mul_f64 v[203:204], v[122:123], v[134:135]
	v_mul_f64 v[134:135], v[120:121], v[134:135]
	s_delay_alu instid0(VALU_DEP_2) | instskip(NEXT) | instid1(VALU_DEP_2)
	v_fma_f64 v[203:204], v[120:121], v[132:133], -v[203:204]
	v_fma_f64 v[205:206], v[122:123], v[132:133], v[134:135]
	ds_load_b128 v[132:135], v159 offset:800
	ds_store_b128 v160, v[199:202] offset:2144
	ds_load_b128 v[128:131], v159 offset:816
	v_add_f64 v[199:200], v[207:208], v[140:141]
	v_add_f64 v[201:202], v[209:210], v[142:143]
	ds_store_b128 v160, v[203:206] offset:3216
	s_waitcnt lgkmcnt(0)
	s_barrier
	buffer_gl0_inv
	ds_load_b128 v[195:198], v158
	ds_load_b128 v[140:143], v158 offset:16
	v_add_f64 v[183:184], v[199:200], v[116:117]
	v_add_f64 v[185:186], v[201:202], v[118:119]
	ds_load_b128 v[116:119], v158 offset:48
	s_waitcnt lgkmcnt(2)
	v_add_f64 v[195:196], v[195:196], 0
	v_add_f64 v[197:198], v[197:198], 0
	;; [unrolled: 1-line block ×4, first 2 shown]
	s_waitcnt lgkmcnt(1)
	s_delay_alu instid0(VALU_DEP_4) | instskip(NEXT) | instid1(VALU_DEP_4)
	v_add_f64 v[179:180], v[195:196], v[140:141]
	v_add_f64 v[181:182], v[197:198], v[142:143]
	ds_load_b128 v[140:143], v158 offset:32
	s_waitcnt lgkmcnt(0)
	s_barrier
	buffer_gl0_inv
	v_add_f64 v[171:172], v[179:180], v[140:141]
	v_add_f64 v[173:174], v[181:182], v[142:143]
	;; [unrolled: 1-line block ×8, first 2 shown]
	ds_store_b128 v161, v[108:111]
	ds_store_b128 v161, v[140:143] offset:256
	ds_store_b128 v161, v[163:166] offset:512
	;; [unrolled: 1-line block ×3, first 2 shown]
	s_waitcnt lgkmcnt(0)
	s_barrier
	buffer_gl0_inv
	s_and_saveexec_b32 s13, s2
	s_cbranch_execz .LBB192_100
; %bb.104:                              ;   in Loop: Header=BB192_101 Depth=1
	ds_load_b128 v[108:111], v156
	ds_load_b128 v[116:119], v156 offset:16
	v_add_nc_u32_e32 v146, s12, v162
	s_waitcnt lgkmcnt(0)
	v_add_f64 v[140:141], v[116:117], v[108:109]
	v_add_f64 v[142:143], v[118:119], v[110:111]
	ds_load_b128 v[108:111], v156 offset:32
	ds_load_b128 v[116:119], v156 offset:48
	s_waitcnt lgkmcnt(1)
	v_add_f64 v[108:109], v[140:141], v[108:109]
	v_add_f64 v[110:111], v[142:143], v[110:111]
	s_waitcnt lgkmcnt(0)
	s_delay_alu instid0(VALU_DEP_2) | instskip(NEXT) | instid1(VALU_DEP_2)
	v_add_f64 v[140:141], v[108:109], v[116:117]
	v_add_f64 v[142:143], v[110:111], v[118:119]
	ds_load_b128 v[108:111], v156 offset:64
	ds_load_b128 v[116:119], v156 offset:80
	s_waitcnt lgkmcnt(1)
	v_add_f64 v[108:109], v[140:141], v[108:109]
	v_add_f64 v[110:111], v[142:143], v[110:111]
	s_waitcnt lgkmcnt(0)
	s_delay_alu instid0(VALU_DEP_2) | instskip(NEXT) | instid1(VALU_DEP_2)
	;; [unrolled: 9-line block ×6, first 2 shown]
	v_add_f64 v[140:141], v[108:109], v[116:117]
	v_add_f64 v[142:143], v[110:111], v[118:119]
	ds_load_b128 v[108:111], v156 offset:224
	ds_load_b128 v[116:119], v157
	s_waitcnt lgkmcnt(1)
	v_add_f64 v[108:109], v[140:141], v[108:109]
	v_add_f64 v[110:111], v[142:143], v[110:111]
	s_waitcnt lgkmcnt(0)
	s_delay_alu instid0(VALU_DEP_2) | instskip(NEXT) | instid1(VALU_DEP_2)
	v_add_f64 v[108:109], v[108:109], v[116:117]
	v_add_f64 v[110:111], v[110:111], v[118:119]
	v_lshlrev_b64 v[116:117], 4, v[146:147]
	s_delay_alu instid0(VALU_DEP_1) | instskip(NEXT) | instid1(VALU_DEP_1)
	v_add_co_u32 v116, s3, s6, v116
	v_add_co_ci_u32_e64 v117, s3, s7, v117, s3
	global_store_b128 v[116:117], v[108:111], off
	s_branch .LBB192_100
.LBB192_105:
	v_mad_u32_u24 v4, 0x430, v150, v151
	s_or_b32 s0, s0, vcc_lo
	s_delay_alu instid0(SALU_CYCLE_1)
	s_xor_b32 s0, s0, -1
	ds_store_b128 v4, v[0:3]
	s_waitcnt lgkmcnt(0)
	s_barrier
	buffer_gl0_inv
	s_and_saveexec_b32 s1, s0
	s_cbranch_execz .LBB192_107
; %bb.106:
	ds_load_b128 v[0:3], v151 offset:1072
	ds_load_b128 v[4:7], v151
	s_waitcnt lgkmcnt(0)
	v_add_f64 v[8:9], v[0:1], v[4:5]
	v_add_f64 v[10:11], v[2:3], v[6:7]
	ds_load_b128 v[0:3], v151 offset:2144
	ds_load_b128 v[4:7], v151 offset:3216
	s_waitcnt lgkmcnt(1)
	v_add_f64 v[0:1], v[8:9], v[0:1]
	v_add_f64 v[2:3], v[10:11], v[2:3]
	s_waitcnt lgkmcnt(0)
	s_delay_alu instid0(VALU_DEP_2) | instskip(NEXT) | instid1(VALU_DEP_2)
	v_add_f64 v[0:1], v[0:1], v[4:5]
	v_add_f64 v[2:3], v[2:3], v[6:7]
	v_lshlrev_b64 v[4:5], 4, v[144:145]
	s_delay_alu instid0(VALU_DEP_1) | instskip(NEXT) | instid1(VALU_DEP_2)
	v_add_co_u32 v4, vcc_lo, s6, v4
	v_add_co_ci_u32_e32 v5, vcc_lo, s7, v5, vcc_lo
	global_store_b128 v[4:5], v[0:3], off
.LBB192_107:
	s_nop 0
	s_sendmsg sendmsg(MSG_DEALLOC_VGPRS)
	s_endpgm
	.section	.rodata,"a",@progbits
	.p2align	6, 0x0
	.amdhsa_kernel _ZL26rocblas_hemvn_kernel_lowerILb0ELi64ELi4ELi33ELi32ELi16ElPK19rocblas_complex_numIdEPKS3_PS1_EviT6_lT7_lT5_lS8_lS9_lS7_lT8_i
		.amdhsa_group_segment_fixed_size 19200
		.amdhsa_private_segment_fixed_size 0
		.amdhsa_kernarg_size 376
		.amdhsa_user_sgpr_count 14
		.amdhsa_user_sgpr_dispatch_ptr 0
		.amdhsa_user_sgpr_queue_ptr 0
		.amdhsa_user_sgpr_kernarg_segment_ptr 1
		.amdhsa_user_sgpr_dispatch_id 0
		.amdhsa_user_sgpr_private_segment_size 0
		.amdhsa_wavefront_size32 1
		.amdhsa_uses_dynamic_stack 0
		.amdhsa_enable_private_segment 0
		.amdhsa_system_sgpr_workgroup_id_x 1
		.amdhsa_system_sgpr_workgroup_id_y 0
		.amdhsa_system_sgpr_workgroup_id_z 1
		.amdhsa_system_sgpr_workgroup_info 0
		.amdhsa_system_vgpr_workitem_id 1
		.amdhsa_next_free_vgpr 211
		.amdhsa_next_free_sgpr 32
		.amdhsa_reserve_vcc 1
		.amdhsa_float_round_mode_32 0
		.amdhsa_float_round_mode_16_64 0
		.amdhsa_float_denorm_mode_32 3
		.amdhsa_float_denorm_mode_16_64 3
		.amdhsa_dx10_clamp 1
		.amdhsa_ieee_mode 1
		.amdhsa_fp16_overflow 0
		.amdhsa_workgroup_processor_mode 1
		.amdhsa_memory_ordered 1
		.amdhsa_forward_progress 0
		.amdhsa_shared_vgpr_count 0
		.amdhsa_exception_fp_ieee_invalid_op 0
		.amdhsa_exception_fp_denorm_src 0
		.amdhsa_exception_fp_ieee_div_zero 0
		.amdhsa_exception_fp_ieee_overflow 0
		.amdhsa_exception_fp_ieee_underflow 0
		.amdhsa_exception_fp_ieee_inexact 0
		.amdhsa_exception_int_div_zero 0
	.end_amdhsa_kernel
	.section	.text._ZL26rocblas_hemvn_kernel_lowerILb0ELi64ELi4ELi33ELi32ELi16ElPK19rocblas_complex_numIdEPKS3_PS1_EviT6_lT7_lT5_lS8_lS9_lS7_lT8_i,"axG",@progbits,_ZL26rocblas_hemvn_kernel_lowerILb0ELi64ELi4ELi33ELi32ELi16ElPK19rocblas_complex_numIdEPKS3_PS1_EviT6_lT7_lT5_lS8_lS9_lS7_lT8_i,comdat
.Lfunc_end192:
	.size	_ZL26rocblas_hemvn_kernel_lowerILb0ELi64ELi4ELi33ELi32ELi16ElPK19rocblas_complex_numIdEPKS3_PS1_EviT6_lT7_lT5_lS8_lS9_lS7_lT8_i, .Lfunc_end192-_ZL26rocblas_hemvn_kernel_lowerILb0ELi64ELi4ELi33ELi32ELi16ElPK19rocblas_complex_numIdEPKS3_PS1_EviT6_lT7_lT5_lS8_lS9_lS7_lT8_i
                                        ; -- End function
	.section	.AMDGPU.csdata,"",@progbits
; Kernel info:
; codeLenInByte = 10448
; NumSgprs: 34
; NumVgprs: 211
; ScratchSize: 0
; MemoryBound: 0
; FloatMode: 240
; IeeeMode: 1
; LDSByteSize: 19200 bytes/workgroup (compile time only)
; SGPRBlocks: 4
; VGPRBlocks: 26
; NumSGPRsForWavesPerEU: 34
; NumVGPRsForWavesPerEU: 211
; Occupancy: 7
; WaveLimiterHint : 1
; COMPUTE_PGM_RSRC2:SCRATCH_EN: 0
; COMPUTE_PGM_RSRC2:USER_SGPR: 14
; COMPUTE_PGM_RSRC2:TRAP_HANDLER: 0
; COMPUTE_PGM_RSRC2:TGID_X_EN: 1
; COMPUTE_PGM_RSRC2:TGID_Y_EN: 0
; COMPUTE_PGM_RSRC2:TGID_Z_EN: 1
; COMPUTE_PGM_RSRC2:TIDIG_COMP_CNT: 1
	.section	.text._ZL26rocblas_hemvn_kernel_lowerILb0ELi64ELi4ELi33ELi32ELi16EiPK19rocblas_complex_numIdEPKS3_PS1_EviT6_lT7_lT5_lS8_lS9_lS7_lT8_i,"axG",@progbits,_ZL26rocblas_hemvn_kernel_lowerILb0ELi64ELi4ELi33ELi32ELi16EiPK19rocblas_complex_numIdEPKS3_PS1_EviT6_lT7_lT5_lS8_lS9_lS7_lT8_i,comdat
	.globl	_ZL26rocblas_hemvn_kernel_lowerILb0ELi64ELi4ELi33ELi32ELi16EiPK19rocblas_complex_numIdEPKS3_PS1_EviT6_lT7_lT5_lS8_lS9_lS7_lT8_i ; -- Begin function _ZL26rocblas_hemvn_kernel_lowerILb0ELi64ELi4ELi33ELi32ELi16EiPK19rocblas_complex_numIdEPKS3_PS1_EviT6_lT7_lT5_lS8_lS9_lS7_lT8_i
	.p2align	8
	.type	_ZL26rocblas_hemvn_kernel_lowerILb0ELi64ELi4ELi33ELi32ELi16EiPK19rocblas_complex_numIdEPKS3_PS1_EviT6_lT7_lT5_lS8_lS9_lS7_lT8_i,@function
_ZL26rocblas_hemvn_kernel_lowerILb0ELi64ELi4ELi33ELi32ELi16EiPK19rocblas_complex_numIdEPKS3_PS1_EviT6_lT7_lT5_lS8_lS9_lS7_lT8_i: ; @_ZL26rocblas_hemvn_kernel_lowerILb0ELi64ELi4ELi33ELi32ELi16EiPK19rocblas_complex_numIdEPKS3_PS1_EviT6_lT7_lT5_lS8_lS9_lS7_lT8_i
; %bb.0:
	s_load_b64 s[4:5], s[0:1], 0x84
	s_add_u32 s2, s0, 0x78
	s_addc_u32 s3, s1, 0
	s_waitcnt lgkmcnt(0)
	s_lshr_b32 s6, s4, 16
	s_and_b32 s4, s4, 0xffff
	s_and_b32 s5, s5, 0xffff
	s_mul_i32 s4, s6, s4
	s_delay_alu instid0(SALU_CYCLE_1) | instskip(NEXT) | instid1(SALU_CYCLE_1)
	s_mul_i32 s4, s4, s5
	s_cmpk_lg_i32 s4, 0x100
	s_cbranch_scc1 .LBB193_107
; %bb.1:
	s_load_b256 s[4:11], s[0:1], 0x8
	s_mov_b32 s12, s15
	s_mov_b64 s[20:21], 0
	s_waitcnt lgkmcnt(0)
	s_mul_i32 s7, s15, s7
	s_mul_hi_u32 s13, s15, s6
	s_mul_i32 s6, s15, s6
	s_add_i32 s7, s13, s7
	s_delay_alu instid0(SALU_CYCLE_1) | instskip(NEXT) | instid1(SALU_CYCLE_1)
	s_lshl_b64 s[6:7], s[6:7], 4
	s_add_u32 s4, s4, s6
	s_addc_u32 s5, s5, s7
	s_load_b128 s[4:7], s[4:5], 0x0
	s_waitcnt lgkmcnt(0)
	v_cmp_neq_f64_e64 s13, s[4:5], 0
	v_cmp_neq_f64_e64 s15, s[6:7], 0
	s_clause 0x1
	s_load_b64 s[16:17], s[0:1], 0x68
	s_load_b128 s[4:7], s[0:1], 0x58
	s_delay_alu instid0(VALU_DEP_1)
	s_or_b32 s15, s13, s15
	s_mov_b32 s13, 0
	s_and_b32 vcc_lo, exec_lo, s15
	s_cbranch_vccnz .LBB193_3
; %bb.2:
	s_waitcnt lgkmcnt(0)
	s_mul_i32 s7, s12, s7
	s_mul_hi_u32 s18, s12, s6
	s_mul_i32 s6, s12, s6
	s_add_i32 s7, s18, s7
	s_delay_alu instid0(SALU_CYCLE_1) | instskip(NEXT) | instid1(SALU_CYCLE_1)
	s_lshl_b64 s[6:7], s[6:7], 4
	s_add_u32 s4, s4, s6
	s_addc_u32 s5, s5, s7
	s_load_b128 s[4:7], s[4:5], 0x0
	s_waitcnt lgkmcnt(0)
	v_cmp_neq_f64_e64 s4, s[4:5], 1.0
	v_cmp_neq_f64_e64 s5, s[6:7], 0
	s_delay_alu instid0(VALU_DEP_1)
	s_or_b32 s4, s4, s5
	s_cbranch_execz .LBB193_4
	s_branch .LBB193_5
.LBB193_3:
	s_waitcnt lgkmcnt(0)
	s_mov_b32 s4, s13
                                        ; implicit-def: $sgpr20_sgpr21
.LBB193_4:
	s_lshl_b64 s[4:5], s[12:13], 3
	s_delay_alu instid0(SALU_CYCLE_1)
	s_add_u32 s4, s8, s4
	s_addc_u32 s5, s9, s5
	s_lshl_b64 s[6:7], s[10:11], 4
	s_load_b64 s[4:5], s[4:5], 0x0
	s_waitcnt lgkmcnt(0)
	s_add_u32 s20, s4, s6
	s_addc_u32 s21, s5, s7
	s_mov_b32 s4, -1
.LBB193_5:
	s_delay_alu instid0(SALU_CYCLE_1)
	s_and_not1_b32 vcc_lo, exec_lo, s4
	s_cbranch_vccnz .LBB193_107
; %bb.6:
	v_cndmask_b32_e64 v1, 0, 1, s15
	s_and_not1_b32 vcc_lo, exec_lo, s15
	s_mov_b64 s[4:5], 0
	s_cbranch_vccnz .LBB193_8
; %bb.7:
	s_load_b128 s[4:7], s[0:1], 0x38
	s_lshl_b64 s[8:9], s[12:13], 3
	s_waitcnt lgkmcnt(0)
	s_add_u32 s4, s4, s8
	s_addc_u32 s5, s5, s9
	s_lshl_b64 s[6:7], s[6:7], 4
	s_load_b64 s[4:5], s[4:5], 0x0
	s_waitcnt lgkmcnt(0)
	s_add_u32 s4, s4, s6
	s_addc_u32 s5, s5, s7
.LBB193_8:
	s_delay_alu instid0(VALU_DEP_1)
	v_cmp_ne_u32_e32 vcc_lo, 1, v1
	s_cbranch_vccnz .LBB193_107
; %bb.9:
	s_clause 0x1
	s_load_b32 s13, s[0:1], 0x48
	s_load_b32 s15, s[0:1], 0x0
	v_and_b32_e32 v42, 0x3ff, v0
	s_lshl_b32 s18, s14, 6
	s_load_b32 s26, s[2:3], 0x0
	v_bfe_u32 v149, v0, 10, 10
	s_delay_alu instid0(VALU_DEP_2) | instskip(SKIP_1) | instid1(VALU_DEP_1)
	v_add_nc_u32_e32 v144, s18, v42
	s_waitcnt lgkmcnt(0)
	v_mul_lo_u32 v1, v144, s13
	s_ashr_i32 s27, s15, 31
	s_delay_alu instid0(SALU_CYCLE_1) | instskip(SKIP_4) | instid1(VALU_DEP_2)
	s_lshr_b32 s2, s27, 26
	s_add_i32 s6, s26, -1
	s_add_i32 s3, s15, s2
	v_cmp_ne_u32_e64 s2, 0, v149
	s_and_not1_b32 s3, s3, 63
	v_ashrrev_i32_e32 v2, 31, v1
	s_sub_i32 s7, s15, s3
	v_cmp_eq_u32_e64 s3, 0, v149
	s_cmp_eq_u32 s14, s6
	s_cselect_b32 s8, s7, 0
	v_lshlrev_b64 v[0:1], 4, v[1:2]
	s_delay_alu instid0(VALU_DEP_1) | instskip(NEXT) | instid1(VALU_DEP_2)
	v_add_co_u32 v36, vcc_lo, s4, v0
	v_add_co_ci_u32_e32 v37, vcc_lo, s5, v1, vcc_lo
	s_mov_b32 s4, -1
	s_and_saveexec_b32 s5, s3
	s_cbranch_execz .LBB193_14
; %bb.10:
	v_cmp_le_i32_e32 vcc_lo, s8, v42
	s_cmp_lg_u32 s8, 0
	v_lshl_add_u32 v0, v42, 4, 0x4700
	s_cselect_b32 s6, -1, 0
	s_delay_alu instid0(SALU_CYCLE_1) | instskip(NEXT) | instid1(SALU_CYCLE_1)
	s_and_b32 s6, s6, vcc_lo
	s_and_saveexec_b32 s7, s6
	s_delay_alu instid0(SALU_CYCLE_1)
	s_xor_b32 s6, exec_lo, s7
	s_cbranch_execz .LBB193_12
; %bb.11:
	v_mov_b32_e32 v1, 0
	s_delay_alu instid0(VALU_DEP_1)
	v_mov_b32_e32 v2, v1
	v_mov_b32_e32 v3, v1
	v_mov_b32_e32 v4, v1
	ds_store_b128 v0, v[1:4]
                                        ; implicit-def: $vgpr0
.LBB193_12:
	s_and_not1_saveexec_b32 s6, s6
	s_cbranch_execz .LBB193_14
; %bb.13:
	flat_load_b128 v[1:4], v[36:37]
	s_waitcnt vmcnt(0) lgkmcnt(0)
	ds_store_2addr_b64 v0, v[1:2], v[3:4] offset1:1
.LBB193_14:
	s_or_b32 exec_lo, exec_lo, s5
	s_load_b32 s10, s[0:1], 0x28
	v_lshl_add_u32 v43, v149, 6, v42
	v_and_b32_e32 v4, 31, v42
	s_ashr_i32 s19, s18, 31
	s_delay_alu instid0(SALU_CYCLE_1) | instskip(NEXT) | instid1(VALU_DEP_2)
	s_lshl_b64 s[0:1], s[18:19], 4
	v_lshrrev_b32_e32 v9, 5, v43
	s_add_u32 s5, s20, s0
	s_addc_u32 s6, s21, s1
	s_waitcnt lgkmcnt(0)
	s_delay_alu instid0(VALU_DEP_1) | instskip(SKIP_1) | instid1(SALU_CYCLE_1)
	v_mad_u64_u32 v[0:1], null, v9, s10, v[4:5]
	s_mul_i32 s0, s18, s10
	s_ashr_i32 s1, s0, 31
	s_delay_alu instid0(SALU_CYCLE_1) | instskip(NEXT) | instid1(SALU_CYCLE_1)
	s_lshl_b64 s[20:21], s[0:1], 4
	s_add_u32 s0, s20, s5
	s_delay_alu instid0(VALU_DEP_1) | instskip(SKIP_3) | instid1(VALU_DEP_1)
	v_ashrrev_i32_e32 v1, 31, v0
	s_addc_u32 s1, s21, s6
	s_cmp_lg_u32 s8, 0
	s_cselect_b32 s19, -1, 0
	v_lshlrev_b64 v[38:39], 4, v[0:1]
	s_cmp_eq_u32 s8, 0
	s_cselect_b32 s7, -1, 0
	s_delay_alu instid0(VALU_DEP_1) | instskip(NEXT) | instid1(VALU_DEP_2)
	v_add_co_u32 v5, vcc_lo, s0, v38
	v_add_co_ci_u32_e32 v6, vcc_lo, s1, v39, vcc_lo
	s_and_b32 vcc_lo, exec_lo, s19
	s_cbranch_vccnz .LBB193_16
; %bb.15:
	flat_load_b128 v[0:3], v[5:6]
	s_lshl_b32 s0, s10, 3
	v_mul_u32_u24_e32 v7, 33, v9
	s_ashr_i32 s1, s0, 31
	s_ashr_i32 s11, s10, 31
	s_lshl_b64 s[0:1], s[0:1], 4
	s_mov_b32 s4, 0
	v_add_lshl_u32 v10, v7, v4, 4
	v_add_co_u32 v7, vcc_lo, v5, s0
	v_add_co_ci_u32_e32 v8, vcc_lo, s1, v6, vcc_lo
	s_lshl_b64 s[0:1], s[10:11], 7
	s_delay_alu instid0(VALU_DEP_3)
	v_add_nc_u32_e32 v11, 0x1080, v10
	s_waitcnt vmcnt(0) lgkmcnt(0)
	ds_store_2addr_b64 v10, v[0:1], v[2:3] offset1:1
	flat_load_b128 v[0:3], v[7:8]
	v_add_co_u32 v7, vcc_lo, v7, s0
	v_add_co_ci_u32_e32 v8, vcc_lo, s1, v8, vcc_lo
	s_waitcnt vmcnt(0) lgkmcnt(0)
	ds_store_2addr_b64 v11, v[0:1], v[2:3] offset1:1
	flat_load_b128 v[0:3], v[7:8]
	v_add_co_u32 v7, vcc_lo, v7, s0
	v_add_nc_u32_e32 v11, 0x2100, v10
	v_add_co_ci_u32_e32 v8, vcc_lo, s1, v8, vcc_lo
	s_waitcnt vmcnt(0) lgkmcnt(0)
	ds_store_2addr_b64 v11, v[0:1], v[2:3] offset1:1
	flat_load_b128 v[0:3], v[7:8]
	v_add_nc_u32_e32 v7, 0x3180, v10
	s_waitcnt vmcnt(0) lgkmcnt(0)
	ds_store_2addr_b64 v7, v[0:1], v[2:3] offset1:1
.LBB193_16:
	s_and_not1_b32 vcc_lo, exec_lo, s4
	s_cbranch_vccnz .LBB193_34
; %bb.17:
	v_lshlrev_b32_e32 v2, 4, v4
	s_ashr_i32 s9, s8, 31
	v_mul_u32_u24_e32 v3, 33, v9
	s_lshl_b64 s[4:5], s[8:9], 4
	v_cmp_le_i32_e64 s0, s8, v9
	v_sub_co_u32 v0, vcc_lo, v5, v2
	v_subrev_co_ci_u32_e32 v1, vcc_lo, 0, v6, vcc_lo
	v_add_lshl_u32 v3, v3, v4, 4
	s_delay_alu instid0(VALU_DEP_3) | instskip(NEXT) | instid1(VALU_DEP_3)
	v_add_co_u32 v0, vcc_lo, v0, s4
	v_add_co_ci_u32_e32 v1, vcc_lo, s5, v1, vcc_lo
	s_delay_alu instid0(VALU_DEP_2) | instskip(NEXT) | instid1(VALU_DEP_2)
	v_add_co_u32 v0, vcc_lo, v0, -16
	v_add_co_ci_u32_e32 v1, vcc_lo, -1, v1, vcc_lo
	v_cmp_gt_i32_e32 vcc_lo, s8, v4
	s_delay_alu instid0(VALU_DEP_2) | instskip(SKIP_1) | instid1(SALU_CYCLE_1)
	v_dual_cndmask_b32 v1, v1, v6 :: v_dual_cndmask_b32 v0, v0, v5
	s_and_saveexec_b32 s1, s0
	s_xor_b32 s0, exec_lo, s1
	s_cbranch_execz .LBB193_19
; %bb.18:
	v_mov_b32_e32 v10, 0
	s_delay_alu instid0(VALU_DEP_1)
	v_mov_b32_e32 v11, v10
	v_mov_b32_e32 v12, v10
	;; [unrolled: 1-line block ×3, first 2 shown]
	ds_store_b128 v3, v[10:13]
.LBB193_19:
	s_and_not1_saveexec_b32 s0, s0
	s_cbranch_execz .LBB193_21
; %bb.20:
	flat_load_b128 v[10:13], v[0:1]
	s_waitcnt vmcnt(0) lgkmcnt(0)
	ds_store_2addr_b64 v3, v[10:11], v[12:13] offset1:1
.LBB193_21:
	s_or_b32 exec_lo, exec_lo, s0
	v_add_nc_u32_e32 v7, 8, v9
	s_delay_alu instid0(VALU_DEP_1) | instskip(NEXT) | instid1(VALU_DEP_1)
	v_cmp_le_i32_e64 s0, s8, v7
	s_and_saveexec_b32 s1, s0
	s_delay_alu instid0(SALU_CYCLE_1)
	s_xor_b32 s0, exec_lo, s1
	s_cbranch_execz .LBB193_23
; %bb.22:
	v_mul_u32_u24_e32 v7, 33, v7
	v_mov_b32_e32 v10, 0
	s_delay_alu instid0(VALU_DEP_2) | instskip(NEXT) | instid1(VALU_DEP_2)
	v_add_lshl_u32 v7, v7, v4, 4
	v_mov_b32_e32 v11, v10
	v_mov_b32_e32 v12, v10
	;; [unrolled: 1-line block ×3, first 2 shown]
	ds_store_b128 v7, v[10:13]
.LBB193_23:
	s_and_not1_saveexec_b32 s1, s0
	s_cbranch_execz .LBB193_25
; %bb.24:
	s_lshl_b32 s22, s10, 3
	s_delay_alu instid0(SALU_CYCLE_1) | instskip(NEXT) | instid1(SALU_CYCLE_1)
	s_ashr_i32 s23, s22, 31
	s_lshl_b64 s[22:23], s[22:23], 4
	s_delay_alu instid0(SALU_CYCLE_1) | instskip(NEXT) | instid1(VALU_DEP_1)
	v_add_co_u32 v7, s0, v0, s22
	v_add_co_ci_u32_e64 v8, s0, s23, v1, s0
	flat_load_b128 v[10:13], v[7:8]
	v_add_nc_u32_e32 v7, 0x1080, v3
	s_waitcnt vmcnt(0) lgkmcnt(0)
	ds_store_2addr_b64 v7, v[10:11], v[12:13] offset1:1
.LBB193_25:
	s_or_b32 exec_lo, exec_lo, s1
	v_add_nc_u32_e32 v7, 16, v9
	s_delay_alu instid0(VALU_DEP_1) | instskip(NEXT) | instid1(VALU_DEP_1)
	v_cmp_le_i32_e64 s0, s8, v7
	s_and_saveexec_b32 s1, s0
	s_delay_alu instid0(SALU_CYCLE_1)
	s_xor_b32 s0, exec_lo, s1
	s_cbranch_execz .LBB193_27
; %bb.26:
	v_mul_u32_u24_e32 v7, 33, v7
	v_mov_b32_e32 v10, 0
	s_delay_alu instid0(VALU_DEP_2) | instskip(NEXT) | instid1(VALU_DEP_2)
	v_add_lshl_u32 v7, v7, v4, 4
	v_mov_b32_e32 v11, v10
	v_mov_b32_e32 v12, v10
	;; [unrolled: 1-line block ×3, first 2 shown]
	ds_store_b128 v7, v[10:13]
.LBB193_27:
	s_and_not1_saveexec_b32 s1, s0
	s_cbranch_execz .LBB193_29
; %bb.28:
	s_lshl_b32 s22, s10, 4
	s_delay_alu instid0(SALU_CYCLE_1) | instskip(NEXT) | instid1(SALU_CYCLE_1)
	s_ashr_i32 s23, s22, 31
	s_lshl_b64 s[22:23], s[22:23], 4
	s_delay_alu instid0(SALU_CYCLE_1) | instskip(NEXT) | instid1(VALU_DEP_1)
	v_add_co_u32 v7, s0, v0, s22
	v_add_co_ci_u32_e64 v8, s0, s23, v1, s0
	flat_load_b128 v[10:13], v[7:8]
	v_add_nc_u32_e32 v7, 0x2100, v3
	s_waitcnt vmcnt(0) lgkmcnt(0)
	ds_store_2addr_b64 v7, v[10:11], v[12:13] offset1:1
.LBB193_29:
	s_or_b32 exec_lo, exec_lo, s1
	v_add_nc_u32_e32 v7, 24, v9
	s_delay_alu instid0(VALU_DEP_1) | instskip(NEXT) | instid1(VALU_DEP_1)
	v_cmp_le_i32_e64 s0, s8, v7
	s_and_saveexec_b32 s1, s0
	s_delay_alu instid0(SALU_CYCLE_1)
	s_xor_b32 s0, exec_lo, s1
	s_cbranch_execz .LBB193_31
; %bb.30:
	v_mov_b32_e32 v10, 0
	s_delay_alu instid0(VALU_DEP_1)
	v_mov_b32_e32 v11, v10
	v_mov_b32_e32 v12, v10
	;; [unrolled: 1-line block ×3, first 2 shown]
	ds_store_b128 v3, v[10:13] offset:12672
                                        ; implicit-def: $vgpr3
.LBB193_31:
	s_and_not1_saveexec_b32 s1, s0
	s_cbranch_execz .LBB193_33
; %bb.32:
	s_mul_i32 s22, s10, 24
	v_add_nc_u32_e32 v3, 0x3180, v3
	s_ashr_i32 s23, s22, 31
	s_delay_alu instid0(SALU_CYCLE_1) | instskip(NEXT) | instid1(SALU_CYCLE_1)
	s_lshl_b64 s[22:23], s[22:23], 4
	v_add_co_u32 v7, s0, v0, s22
	s_delay_alu instid0(VALU_DEP_1)
	v_add_co_ci_u32_e64 v8, s0, s23, v1, s0
	flat_load_b128 v[10:13], v[7:8]
	s_waitcnt vmcnt(0) lgkmcnt(0)
	ds_store_2addr_b64 v3, v[10:11], v[12:13] offset1:1
.LBB193_33:
	s_or_b32 exec_lo, exec_lo, s1
	v_add_co_u32 v0, s0, v0, v2
	s_delay_alu instid0(VALU_DEP_1) | instskip(NEXT) | instid1(VALU_DEP_2)
	v_add_co_ci_u32_e64 v1, s0, 0, v1, s0
	v_sub_co_u32 v0, s0, v0, s4
	s_delay_alu instid0(VALU_DEP_1) | instskip(NEXT) | instid1(VALU_DEP_2)
	v_subrev_co_ci_u32_e64 v1, s0, s5, v1, s0
	v_add_co_u32 v0, s0, v0, 16
	s_delay_alu instid0(VALU_DEP_1) | instskip(NEXT) | instid1(VALU_DEP_1)
	v_add_co_ci_u32_e64 v1, s0, 0, v1, s0
	v_dual_cndmask_b32 v5, v0, v5 :: v_dual_cndmask_b32 v6, v1, v6
.LBB193_34:
	v_lshlrev_b32_e32 v0, 2, v9
	v_mul_u32_u24_e32 v44, 33, v4
	v_mul_u32_u24_e32 v1, 0x84, v9
	s_waitcnt lgkmcnt(0)
	s_barrier
	v_cmp_lt_u32_e64 s1, v0, v4
	v_add_lshl_u32 v12, v0, v44, 4
	buffer_gl0_inv
	s_and_saveexec_b32 s0, s1
	s_cbranch_execz .LBB193_36
; %bb.35:
	v_add_lshl_u32 v2, v1, v4, 4
	ds_load_b128 v[13:16], v2
	s_waitcnt lgkmcnt(0)
	ds_store_b128 v12, v[13:16]
.LBB193_36:
	s_or_b32 exec_lo, exec_lo, s0
	v_or_b32_e32 v2, 1, v0
	s_delay_alu instid0(VALU_DEP_1) | instskip(NEXT) | instid1(VALU_DEP_1)
	v_cmp_lt_u32_e64 s4, v2, v4
	s_and_saveexec_b32 s0, s4
	s_cbranch_execz .LBB193_38
; %bb.37:
	v_mul_u32_u24_e32 v2, 33, v2
	s_delay_alu instid0(VALU_DEP_1)
	v_add_lshl_u32 v2, v2, v4, 4
	ds_load_b128 v[13:16], v2
	s_waitcnt lgkmcnt(0)
	ds_store_b128 v12, v[13:16] offset:16
.LBB193_38:
	s_or_b32 exec_lo, exec_lo, s0
	v_or_b32_e32 v2, 2, v0
	s_delay_alu instid0(VALU_DEP_1) | instskip(NEXT) | instid1(VALU_DEP_1)
	v_cmp_lt_u32_e64 s5, v2, v4
	s_and_saveexec_b32 s0, s5
	s_cbranch_execz .LBB193_40
; %bb.39:
	v_mul_u32_u24_e32 v2, 33, v2
	s_delay_alu instid0(VALU_DEP_1)
	v_add_lshl_u32 v2, v2, v4, 4
	ds_load_b128 v[13:16], v2
	s_waitcnt lgkmcnt(0)
	ds_store_b128 v12, v[13:16] offset:32
.LBB193_40:
	s_or_b32 exec_lo, exec_lo, s0
	v_or_b32_e32 v2, 3, v0
	s_delay_alu instid0(VALU_DEP_1) | instskip(SKIP_1) | instid1(VALU_DEP_2)
	v_mad_u32_u24 v3, v2, 33, v4
	v_cmp_lt_u32_e64 s6, v2, v4
	v_lshlrev_b32_e32 v10, 4, v3
	s_delay_alu instid0(VALU_DEP_2)
	s_and_saveexec_b32 s0, s6
	s_cbranch_execz .LBB193_42
; %bb.41:
	ds_load_b128 v[13:16], v10
	s_waitcnt lgkmcnt(0)
	ds_store_b128 v12, v[13:16] offset:48
.LBB193_42:
	s_or_b32 exec_lo, exec_lo, s0
	v_lshlrev_b32_e32 v13, 4, v0
	v_add_lshl_u32 v14, v1, v4, 4
	s_waitcnt lgkmcnt(0)
	s_barrier
	buffer_gl0_inv
	ds_load_b128 v[0:3], v13 offset:18176
	ds_load_b128 v[15:18], v14
	v_add_nc_u32_e32 v11, 0xfffffbe0, v10
	ds_load_b128 v[19:22], v11
	ds_load_b128 v[23:26], v11 offset:528
	ds_load_b128 v[27:30], v13 offset:18192
	ds_load_b128 v[31:34], v13 offset:18208
	v_add_lshl_u32 v45, v9, v44, 4
	v_cmp_gt_u32_e64 s0, 32, v43
	s_waitcnt lgkmcnt(4)
	v_mul_f64 v[7:8], v[2:3], v[17:18]
	v_mul_f64 v[17:18], v[0:1], v[17:18]
	s_waitcnt lgkmcnt(1)
	v_mul_f64 v[40:41], v[29:30], v[21:22]
	v_mul_f64 v[21:22], v[27:28], v[21:22]
	s_delay_alu instid0(VALU_DEP_4) | instskip(NEXT) | instid1(VALU_DEP_4)
	v_fma_f64 v[0:1], v[0:1], v[15:16], -v[7:8]
	v_fma_f64 v[2:3], v[2:3], v[15:16], v[17:18]
	s_waitcnt lgkmcnt(0)
	v_mul_f64 v[7:8], v[33:34], v[25:26]
	v_mul_f64 v[25:26], v[31:32], v[25:26]
	v_fma_f64 v[27:28], v[27:28], v[19:20], -v[40:41]
	v_fma_f64 v[19:20], v[29:30], v[19:20], v[21:22]
	v_add_f64 v[21:22], v[0:1], 0
	v_add_f64 v[29:30], v[2:3], 0
	ds_load_b128 v[0:3], v13 offset:18224
	ds_load_b128 v[15:18], v10
	v_fma_f64 v[7:8], v[31:32], v[23:24], -v[7:8]
	v_fma_f64 v[23:24], v[33:34], v[23:24], v[25:26]
	s_waitcnt lgkmcnt(0)
	s_barrier
	buffer_gl0_inv
	v_mul_f64 v[40:41], v[2:3], v[17:18]
	v_mul_f64 v[17:18], v[0:1], v[17:18]
	v_add_f64 v[21:22], v[21:22], v[27:28]
	v_add_f64 v[19:20], v[29:30], v[19:20]
	s_delay_alu instid0(VALU_DEP_4) | instskip(NEXT) | instid1(VALU_DEP_4)
	v_fma_f64 v[0:1], v[0:1], v[15:16], -v[40:41]
	v_fma_f64 v[2:3], v[2:3], v[15:16], v[17:18]
	s_delay_alu instid0(VALU_DEP_4) | instskip(NEXT) | instid1(VALU_DEP_4)
	v_add_f64 v[7:8], v[21:22], v[7:8]
	v_add_f64 v[17:18], v[19:20], v[23:24]
	s_delay_alu instid0(VALU_DEP_2) | instskip(NEXT) | instid1(VALU_DEP_2)
	v_add_f64 v[15:16], v[7:8], v[0:1]
	v_add_f64 v[17:18], v[17:18], v[2:3]
	v_mov_b32_e32 v0, 0
	v_mov_b32_e32 v1, 0
	s_delay_alu instid0(VALU_DEP_1)
	v_dual_mov_b32 v3, v1 :: v_dual_mov_b32 v2, v0
	ds_store_b128 v45, v[15:18]
	s_waitcnt lgkmcnt(0)
	s_barrier
	buffer_gl0_inv
	s_and_saveexec_b32 s9, s0
	s_cbranch_execz .LBB193_44
; %bb.43:
	v_lshlrev_b32_e32 v21, 4, v44
	ds_load_b128 v[0:3], v21
	ds_load_b128 v[15:18], v21 offset:16
	s_waitcnt lgkmcnt(0)
	v_add_f64 v[7:8], v[15:16], v[0:1]
	v_add_f64 v[19:20], v[17:18], v[2:3]
	ds_load_b128 v[0:3], v21 offset:32
	ds_load_b128 v[15:18], v21 offset:48
	s_waitcnt lgkmcnt(1)
	v_add_f64 v[0:1], v[7:8], v[0:1]
	v_add_f64 v[2:3], v[19:20], v[2:3]
	s_waitcnt lgkmcnt(0)
	s_delay_alu instid0(VALU_DEP_2) | instskip(NEXT) | instid1(VALU_DEP_2)
	v_add_f64 v[7:8], v[0:1], v[15:16]
	v_add_f64 v[19:20], v[2:3], v[17:18]
	ds_load_b128 v[0:3], v21 offset:64
	ds_load_b128 v[15:18], v21 offset:80
	s_waitcnt lgkmcnt(1)
	v_add_f64 v[0:1], v[7:8], v[0:1]
	v_add_f64 v[2:3], v[19:20], v[2:3]
	s_waitcnt lgkmcnt(0)
	s_delay_alu instid0(VALU_DEP_2) | instskip(NEXT) | instid1(VALU_DEP_2)
	;; [unrolled: 9-line block ×3, first 2 shown]
	v_add_f64 v[0:1], v[0:1], v[15:16]
	v_add_f64 v[2:3], v[2:3], v[17:18]
.LBB193_44:
	s_or_b32 exec_lo, exec_lo, s9
	s_lshl_b32 s22, s10, 5
	v_cndmask_b32_e64 v15, 0, 1, s7
	s_ashr_i32 s23, s22, 31
	s_delay_alu instid0(SALU_CYCLE_1)
	s_lshl_b64 s[22:23], s[22:23], 4
	s_barrier
	v_add_co_u32 v7, vcc_lo, v5, s22
	v_add_co_ci_u32_e32 v8, vcc_lo, s23, v6, vcc_lo
	buffer_gl0_inv
	v_add_co_u32 v5, vcc_lo, 0x200, v7
	v_add_co_ci_u32_e32 v6, vcc_lo, 0, v8, vcc_lo
	s_and_not1_b32 vcc_lo, exec_lo, s7
	s_cbranch_vccnz .LBB193_46
; %bb.45:
	flat_load_b128 v[16:19], v[5:6]
	s_lshl_b32 s24, s10, 3
	v_mul_u32_u24_e32 v20, 33, v9
	s_ashr_i32 s25, s24, 31
	s_ashr_i32 s11, s10, 31
	s_lshl_b64 s[24:25], s[24:25], 4
	s_delay_alu instid0(SALU_CYCLE_1) | instskip(SKIP_3) | instid1(VALU_DEP_2)
	v_add_co_u32 v7, vcc_lo, v7, s24
	v_add_lshl_u32 v20, v20, v4, 4
	v_add_co_ci_u32_e32 v8, vcc_lo, s25, v8, vcc_lo
	s_lshl_b64 s[24:25], s[10:11], 7
	v_add_nc_u32_e32 v21, 0x1080, v20
	s_waitcnt vmcnt(0) lgkmcnt(0)
	ds_store_2addr_b64 v20, v[16:17], v[18:19] offset1:1
	flat_load_b128 v[16:19], v[7:8] offset:512
	v_add_co_u32 v7, vcc_lo, v7, s24
	v_add_co_ci_u32_e32 v8, vcc_lo, s25, v8, vcc_lo
	s_waitcnt vmcnt(0) lgkmcnt(0)
	ds_store_2addr_b64 v21, v[16:17], v[18:19] offset1:1
	flat_load_b128 v[16:19], v[7:8] offset:512
	v_add_co_u32 v7, vcc_lo, v7, s24
	v_add_nc_u32_e32 v21, 0x2100, v20
	v_add_co_ci_u32_e32 v8, vcc_lo, s25, v8, vcc_lo
	s_waitcnt vmcnt(0) lgkmcnt(0)
	ds_store_2addr_b64 v21, v[16:17], v[18:19] offset1:1
	flat_load_b128 v[16:19], v[7:8] offset:512
	v_add_nc_u32_e32 v7, 0x3180, v20
	s_waitcnt vmcnt(0) lgkmcnt(0)
	ds_store_2addr_b64 v7, v[16:17], v[18:19] offset1:1
	s_cbranch_execz .LBB193_47
	s_branch .LBB193_64
.LBB193_46:
.LBB193_47:
	v_or_b32_e32 v7, 32, v4
	s_ashr_i32 s9, s8, 31
	v_mul_u32_u24_e32 v17, 33, v9
	s_lshl_b64 s[24:25], s[8:9], 4
	s_sub_i32 s9, s8, 32
	v_lshlrev_b32_e32 v8, 4, v7
	v_cmp_le_i32_e64 s7, s9, v9
	s_delay_alu instid0(VALU_DEP_2) | instskip(SKIP_1) | instid1(VALU_DEP_2)
	v_sub_co_u32 v8, vcc_lo, v5, v8
	v_subrev_co_ci_u32_e32 v16, vcc_lo, 0, v6, vcc_lo
	v_add_co_u32 v8, vcc_lo, v8, s24
	s_delay_alu instid0(VALU_DEP_2) | instskip(NEXT) | instid1(VALU_DEP_2)
	v_add_co_ci_u32_e32 v16, vcc_lo, s25, v16, vcc_lo
	v_add_co_u32 v18, vcc_lo, v8, -16
	s_delay_alu instid0(VALU_DEP_2) | instskip(SKIP_2) | instid1(VALU_DEP_3)
	v_add_co_ci_u32_e32 v8, vcc_lo, -1, v16, vcc_lo
	v_cmp_gt_i32_e32 vcc_lo, s8, v7
	v_add_lshl_u32 v16, v17, v4, 4
	v_dual_cndmask_b32 v7, v18, v5 :: v_dual_cndmask_b32 v8, v8, v6
	s_and_saveexec_b32 s11, s7
	s_delay_alu instid0(SALU_CYCLE_1)
	s_xor_b32 s7, exec_lo, s11
	s_cbranch_execz .LBB193_49
; %bb.48:
	v_mov_b32_e32 v17, 0
	s_delay_alu instid0(VALU_DEP_1)
	v_mov_b32_e32 v18, v17
	v_mov_b32_e32 v19, v17
	;; [unrolled: 1-line block ×3, first 2 shown]
	ds_store_b128 v16, v[17:20]
.LBB193_49:
	s_and_not1_saveexec_b32 s7, s7
	s_cbranch_execz .LBB193_51
; %bb.50:
	flat_load_b128 v[17:20], v[7:8]
	s_waitcnt vmcnt(0) lgkmcnt(0)
	ds_store_2addr_b64 v16, v[17:18], v[19:20] offset1:1
.LBB193_51:
	s_or_b32 exec_lo, exec_lo, s7
	v_add_nc_u32_e32 v17, 8, v9
	s_delay_alu instid0(VALU_DEP_1) | instskip(NEXT) | instid1(VALU_DEP_1)
	v_cmp_le_i32_e64 s7, s9, v17
	s_and_saveexec_b32 s11, s7
	s_delay_alu instid0(SALU_CYCLE_1)
	s_xor_b32 s7, exec_lo, s11
	s_cbranch_execz .LBB193_53
; %bb.52:
	v_mul_u32_u24_e32 v18, 33, v17
	v_mov_b32_e32 v17, 0
	s_delay_alu instid0(VALU_DEP_2) | instskip(NEXT) | instid1(VALU_DEP_2)
	v_add_lshl_u32 v21, v18, v4, 4
	v_mov_b32_e32 v18, v17
	v_mov_b32_e32 v19, v17
	;; [unrolled: 1-line block ×3, first 2 shown]
	ds_store_b128 v21, v[17:20]
.LBB193_53:
	s_and_not1_saveexec_b32 s11, s7
	s_cbranch_execz .LBB193_55
; %bb.54:
	s_lshl_b32 s28, s10, 3
	v_add_nc_u32_e32 v21, 0x1080, v16
	s_ashr_i32 s29, s28, 31
	s_delay_alu instid0(SALU_CYCLE_1) | instskip(NEXT) | instid1(SALU_CYCLE_1)
	s_lshl_b64 s[28:29], s[28:29], 4
	v_add_co_u32 v17, s7, v7, s28
	s_delay_alu instid0(VALU_DEP_1)
	v_add_co_ci_u32_e64 v18, s7, s29, v8, s7
	flat_load_b128 v[17:20], v[17:18]
	s_waitcnt vmcnt(0) lgkmcnt(0)
	ds_store_2addr_b64 v21, v[17:18], v[19:20] offset1:1
.LBB193_55:
	s_or_b32 exec_lo, exec_lo, s11
	v_add_nc_u32_e32 v17, 16, v9
	s_delay_alu instid0(VALU_DEP_1) | instskip(NEXT) | instid1(VALU_DEP_1)
	v_cmp_le_i32_e64 s7, s9, v17
	s_and_saveexec_b32 s11, s7
	s_delay_alu instid0(SALU_CYCLE_1)
	s_xor_b32 s7, exec_lo, s11
	s_cbranch_execz .LBB193_57
; %bb.56:
	v_mul_u32_u24_e32 v18, 33, v17
	v_mov_b32_e32 v17, 0
	s_delay_alu instid0(VALU_DEP_2) | instskip(NEXT) | instid1(VALU_DEP_2)
	v_add_lshl_u32 v21, v18, v4, 4
	v_mov_b32_e32 v18, v17
	v_mov_b32_e32 v19, v17
	;; [unrolled: 1-line block ×3, first 2 shown]
	ds_store_b128 v21, v[17:20]
.LBB193_57:
	s_and_not1_saveexec_b32 s11, s7
	s_cbranch_execz .LBB193_59
; %bb.58:
	s_lshl_b32 s28, s10, 4
	v_add_nc_u32_e32 v21, 0x2100, v16
	s_ashr_i32 s29, s28, 31
	s_delay_alu instid0(SALU_CYCLE_1) | instskip(NEXT) | instid1(SALU_CYCLE_1)
	s_lshl_b64 s[28:29], s[28:29], 4
	v_add_co_u32 v17, s7, v7, s28
	s_delay_alu instid0(VALU_DEP_1)
	v_add_co_ci_u32_e64 v18, s7, s29, v8, s7
	flat_load_b128 v[17:20], v[17:18]
	s_waitcnt vmcnt(0) lgkmcnt(0)
	ds_store_2addr_b64 v21, v[17:18], v[19:20] offset1:1
.LBB193_59:
	s_or_b32 exec_lo, exec_lo, s11
	v_add_nc_u32_e32 v17, 24, v9
	s_delay_alu instid0(VALU_DEP_1) | instskip(NEXT) | instid1(VALU_DEP_1)
	v_cmp_le_i32_e64 s7, s9, v17
	s_and_saveexec_b32 s9, s7
	s_delay_alu instid0(SALU_CYCLE_1)
	s_xor_b32 s7, exec_lo, s9
	s_cbranch_execz .LBB193_61
; %bb.60:
	v_mov_b32_e32 v17, 0
	s_delay_alu instid0(VALU_DEP_1)
	v_mov_b32_e32 v18, v17
	v_mov_b32_e32 v19, v17
	;; [unrolled: 1-line block ×3, first 2 shown]
	ds_store_b128 v16, v[17:20] offset:12672
                                        ; implicit-def: $vgpr16
.LBB193_61:
	s_and_not1_saveexec_b32 s9, s7
	s_cbranch_execz .LBB193_63
; %bb.62:
	s_mul_i32 s28, s10, 24
	v_add_nc_u32_e32 v16, 0x3180, v16
	s_ashr_i32 s29, s28, 31
	s_delay_alu instid0(SALU_CYCLE_1) | instskip(NEXT) | instid1(SALU_CYCLE_1)
	s_lshl_b64 s[28:29], s[28:29], 4
	v_add_co_u32 v17, s7, v7, s28
	s_delay_alu instid0(VALU_DEP_1)
	v_add_co_ci_u32_e64 v18, s7, s29, v8, s7
	flat_load_b128 v[17:20], v[17:18]
	s_waitcnt vmcnt(0) lgkmcnt(0)
	ds_store_2addr_b64 v16, v[17:18], v[19:20] offset1:1
.LBB193_63:
	s_or_b32 exec_lo, exec_lo, s9
	v_lshlrev_b32_e32 v16, 4, v4
	s_delay_alu instid0(VALU_DEP_1) | instskip(NEXT) | instid1(VALU_DEP_1)
	v_add_co_u32 v7, s7, v7, v16
	v_add_co_ci_u32_e64 v8, s7, 0, v8, s7
	s_delay_alu instid0(VALU_DEP_2) | instskip(NEXT) | instid1(VALU_DEP_1)
	v_sub_co_u32 v7, s7, v7, s24
	v_subrev_co_ci_u32_e64 v8, s7, s25, v8, s7
	s_delay_alu instid0(VALU_DEP_2) | instskip(NEXT) | instid1(VALU_DEP_1)
	v_add_co_u32 v7, s7, 0x210, v7
	v_add_co_ci_u32_e64 v8, s7, 0, v8, s7
	s_delay_alu instid0(VALU_DEP_1)
	v_dual_cndmask_b32 v5, v7, v5 :: v_dual_cndmask_b32 v6, v8, v6
.LBB193_64:
	v_add_nc_u32_e32 v13, 0x4700, v13
	v_add_nc_u32_e32 v7, 0x210, v11
	s_waitcnt lgkmcnt(0)
	s_barrier
	buffer_gl0_inv
	s_and_saveexec_b32 s7, s1
	s_cbranch_execnz .LBB193_73
; %bb.65:
	s_or_b32 exec_lo, exec_lo, s7
	s_and_saveexec_b32 s1, s4
	s_cbranch_execnz .LBB193_74
.LBB193_66:
	s_or_b32 exec_lo, exec_lo, s1
	s_and_saveexec_b32 s1, s5
	s_cbranch_execnz .LBB193_75
.LBB193_67:
	s_or_b32 exec_lo, exec_lo, s1
	s_and_saveexec_b32 s1, s6
	s_cbranch_execz .LBB193_69
.LBB193_68:
	ds_load_b128 v[16:19], v10
	s_waitcnt lgkmcnt(0)
	ds_store_b128 v12, v[16:19] offset:48
.LBB193_69:
	s_or_b32 exec_lo, exec_lo, s1
	s_waitcnt lgkmcnt(0)
	s_barrier
	buffer_gl0_inv
	ds_load_b128 v[16:19], v13 offset:512
	ds_load_b128 v[20:23], v14
	v_cmp_eq_u32_e64 s1, 1, v9
	s_waitcnt lgkmcnt(0)
	v_mul_f64 v[7:8], v[18:19], v[22:23]
	v_mul_f64 v[34:35], v[16:17], v[22:23]
	ds_load_b128 v[22:25], v11
	ds_load_b128 v[26:29], v13 offset:528
	ds_load_b128 v[30:33], v13 offset:544
	s_waitcnt lgkmcnt(1)
	v_mul_f64 v[40:41], v[28:29], v[24:25]
	v_mul_f64 v[24:25], v[26:27], v[24:25]
	v_fma_f64 v[7:8], v[16:17], v[20:21], -v[7:8]
	v_fma_f64 v[20:21], v[18:19], v[20:21], v[34:35]
	ds_load_b128 v[16:19], v11 offset:528
	ds_load_b128 v[46:49], v10
	s_waitcnt lgkmcnt(1)
	v_mul_f64 v[10:11], v[32:33], v[18:19]
	v_mul_f64 v[34:35], v[30:31], v[18:19]
	v_fma_f64 v[26:27], v[26:27], v[22:23], -v[40:41]
	v_fma_f64 v[22:23], v[28:29], v[22:23], v[24:25]
	v_add_f64 v[7:8], v[7:8], 0
	v_add_f64 v[24:25], v[20:21], 0
	ds_load_b128 v[18:21], v13 offset:560
	s_waitcnt lgkmcnt(0)
	s_barrier
	buffer_gl0_inv
	v_fma_f64 v[10:11], v[30:31], v[16:17], -v[10:11]
	v_mul_f64 v[28:29], v[20:21], v[48:49]
	v_mul_f64 v[40:41], v[18:19], v[48:49]
	v_fma_f64 v[16:17], v[32:33], v[16:17], v[34:35]
	v_add_f64 v[7:8], v[7:8], v[26:27]
	v_add_f64 v[22:23], v[24:25], v[22:23]
	v_fma_f64 v[18:19], v[18:19], v[46:47], -v[28:29]
	v_fma_f64 v[20:21], v[20:21], v[46:47], v[40:41]
	s_delay_alu instid0(VALU_DEP_4) | instskip(NEXT) | instid1(VALU_DEP_4)
	v_add_f64 v[7:8], v[7:8], v[10:11]
	v_add_f64 v[10:11], v[22:23], v[16:17]
	s_delay_alu instid0(VALU_DEP_2) | instskip(NEXT) | instid1(VALU_DEP_2)
	v_add_f64 v[16:17], v[7:8], v[18:19]
	v_add_f64 v[18:19], v[10:11], v[20:21]
	ds_store_b128 v45, v[16:19]
	s_waitcnt lgkmcnt(0)
	s_barrier
	buffer_gl0_inv
	s_and_saveexec_b32 s4, s1
	s_cbranch_execz .LBB193_71
; %bb.70:
	v_lshlrev_b32_e32 v14, 4, v44
	ds_load_b128 v[0:3], v14
	ds_load_b128 v[16:19], v14 offset:16
	s_waitcnt lgkmcnt(0)
	v_add_f64 v[7:8], v[16:17], v[0:1]
	v_add_f64 v[10:11], v[18:19], v[2:3]
	ds_load_b128 v[0:3], v14 offset:32
	ds_load_b128 v[16:19], v14 offset:48
	s_waitcnt lgkmcnt(1)
	v_add_f64 v[0:1], v[7:8], v[0:1]
	v_add_f64 v[2:3], v[10:11], v[2:3]
	s_waitcnt lgkmcnt(0)
	s_delay_alu instid0(VALU_DEP_2) | instskip(NEXT) | instid1(VALU_DEP_2)
	v_add_f64 v[7:8], v[0:1], v[16:17]
	v_add_f64 v[10:11], v[2:3], v[18:19]
	ds_load_b128 v[0:3], v14 offset:64
	ds_load_b128 v[16:19], v14 offset:80
	s_waitcnt lgkmcnt(1)
	v_add_f64 v[0:1], v[7:8], v[0:1]
	v_add_f64 v[2:3], v[10:11], v[2:3]
	s_waitcnt lgkmcnt(0)
	s_delay_alu instid0(VALU_DEP_2) | instskip(NEXT) | instid1(VALU_DEP_2)
	;; [unrolled: 9-line block ×3, first 2 shown]
	v_add_f64 v[0:1], v[0:1], v[16:17]
	v_add_f64 v[2:3], v[2:3], v[18:19]
.LBB193_71:
	s_or_b32 exec_lo, exec_lo, s4
	v_cmp_ne_u32_e32 vcc_lo, 1, v15
	v_sub_co_u32 v40, s4, v5, s22
	s_delay_alu instid0(VALU_DEP_1)
	v_subrev_co_ci_u32_e64 v41, s4, s23, v6, s4
	s_barrier
	buffer_gl0_inv
	s_cbranch_vccnz .LBB193_76
; %bb.72:
	flat_load_b128 v[14:17], v[40:41]
	s_lshl_b32 s4, s10, 3
	v_mad_u32_u24 v8, v9, 33, v4
	s_ashr_i32 s5, s4, 31
	s_ashr_i32 s11, s10, 31
	s_lshl_b64 s[4:5], s[4:5], 4
	v_add_nc_u32_e32 v10, 16, v9
	v_add_co_u32 v5, vcc_lo, v40, s4
	v_lshlrev_b32_e32 v19, 4, v8
	v_add_co_ci_u32_e32 v6, vcc_lo, s5, v41, vcc_lo
	s_lshl_b64 s[4:5], s[10:11], 7
	v_add_nc_u32_e32 v11, 24, v9
	s_delay_alu instid0(VALU_DEP_3)
	v_add_nc_u32_e32 v7, 0x1080, v19
	s_waitcnt vmcnt(0) lgkmcnt(0)
	ds_store_2addr_b64 v19, v[14:15], v[16:17] offset1:1
	flat_load_b128 v[14:17], v[5:6]
	v_add_co_u32 v5, vcc_lo, v5, s4
	v_add_co_ci_u32_e32 v6, vcc_lo, s5, v6, vcc_lo
	s_waitcnt vmcnt(0) lgkmcnt(0)
	ds_store_2addr_b64 v7, v[14:15], v[16:17] offset1:1
	flat_load_b128 v[14:17], v[5:6]
	v_add_co_u32 v5, vcc_lo, v5, s4
	v_add_nc_u32_e32 v7, 0x2100, v19
	v_add_co_ci_u32_e32 v6, vcc_lo, s5, v6, vcc_lo
	v_add_nc_u32_e32 v19, 0x3180, v19
	s_waitcnt vmcnt(0) lgkmcnt(0)
	ds_store_2addr_b64 v7, v[14:15], v[16:17] offset1:1
	flat_load_b128 v[15:18], v[5:6]
	v_add_nc_u32_e32 v7, 8, v9
	v_add_nc_u32_e32 v6, 0x108, v8
	;; [unrolled: 1-line block ×4, first 2 shown]
	s_waitcnt vmcnt(0) lgkmcnt(0)
	ds_store_2addr_b64 v19, v[15:16], v[17:18] offset1:1
	s_cbranch_execz .LBB193_77
	s_branch .LBB193_94
.LBB193_73:
	ds_load_b128 v[16:19], v14
	s_waitcnt lgkmcnt(0)
	ds_store_b128 v12, v[16:19]
	s_or_b32 exec_lo, exec_lo, s7
	s_and_saveexec_b32 s1, s4
	s_cbranch_execz .LBB193_66
.LBB193_74:
	ds_load_b128 v[16:19], v11
	s_waitcnt lgkmcnt(0)
	ds_store_b128 v12, v[16:19] offset:16
	s_or_b32 exec_lo, exec_lo, s1
	s_and_saveexec_b32 s1, s5
	s_cbranch_execz .LBB193_67
.LBB193_75:
	ds_load_b128 v[16:19], v7
	s_waitcnt lgkmcnt(0)
	ds_store_b128 v12, v[16:19] offset:32
	s_or_b32 exec_lo, exec_lo, s1
	s_and_saveexec_b32 s1, s6
	s_cbranch_execnz .LBB193_68
	s_branch .LBB193_69
.LBB193_76:
                                        ; implicit-def: $vgpr8
                                        ; implicit-def: $vgpr7
                                        ; implicit-def: $vgpr6
                                        ; implicit-def: $vgpr10
                                        ; implicit-def: $vgpr5
                                        ; implicit-def: $vgpr11
                                        ; implicit-def: $vgpr14
.LBB193_77:
	v_or_b32_e32 v5, 32, v4
	s_ashr_i32 s9, s8, 31
	v_mad_u32_u24 v8, v9, 33, v4
	s_lshl_b64 s[6:7], s[8:9], 4
	v_cmp_le_i32_e64 s4, s8, v9
	v_lshlrev_b32_e32 v6, 4, v5
	s_delay_alu instid0(VALU_DEP_3) | instskip(NEXT) | instid1(VALU_DEP_2)
	v_lshlrev_b32_e32 v15, 4, v8
	v_sub_co_u32 v6, vcc_lo, v40, v6
	v_subrev_co_ci_u32_e32 v7, vcc_lo, 0, v41, vcc_lo
	s_delay_alu instid0(VALU_DEP_2) | instskip(NEXT) | instid1(VALU_DEP_2)
	v_add_co_u32 v6, vcc_lo, v6, s6
	v_add_co_ci_u32_e32 v7, vcc_lo, s7, v7, vcc_lo
	s_delay_alu instid0(VALU_DEP_2) | instskip(NEXT) | instid1(VALU_DEP_2)
	v_add_co_u32 v10, vcc_lo, v6, -16
	v_add_co_ci_u32_e32 v6, vcc_lo, -1, v7, vcc_lo
	v_cmp_gt_i32_e32 vcc_lo, s8, v5
	s_delay_alu instid0(VALU_DEP_3) | instskip(NEXT) | instid1(VALU_DEP_3)
	v_cndmask_b32_e32 v5, v10, v40, vcc_lo
	v_cndmask_b32_e32 v6, v6, v41, vcc_lo
	s_and_saveexec_b32 s5, s4
	s_delay_alu instid0(SALU_CYCLE_1)
	s_xor_b32 s4, exec_lo, s5
	s_cbranch_execz .LBB193_79
; %bb.78:
	v_mov_b32_e32 v16, 0
	s_delay_alu instid0(VALU_DEP_1)
	v_mov_b32_e32 v17, v16
	v_mov_b32_e32 v18, v16
	;; [unrolled: 1-line block ×3, first 2 shown]
	ds_store_b128 v15, v[16:19]
.LBB193_79:
	s_and_not1_saveexec_b32 s4, s4
	s_cbranch_execz .LBB193_81
; %bb.80:
	flat_load_b128 v[16:19], v[5:6]
	s_waitcnt vmcnt(0) lgkmcnt(0)
	ds_store_2addr_b64 v15, v[16:17], v[18:19] offset1:1
.LBB193_81:
	s_or_b32 exec_lo, exec_lo, s4
	v_add_nc_u32_e32 v7, 8, v9
	s_delay_alu instid0(VALU_DEP_1) | instskip(NEXT) | instid1(VALU_DEP_1)
	v_cmp_le_i32_e64 s4, s8, v7
	s_and_saveexec_b32 s5, s4
	s_delay_alu instid0(SALU_CYCLE_1)
	s_xor_b32 s4, exec_lo, s5
	s_cbranch_execz .LBB193_83
; %bb.82:
	v_mul_u32_u24_e32 v10, 33, v7
	v_mov_b32_e32 v16, 0
	s_delay_alu instid0(VALU_DEP_2) | instskip(NEXT) | instid1(VALU_DEP_2)
	v_add_lshl_u32 v10, v10, v4, 4
	v_mov_b32_e32 v17, v16
	v_mov_b32_e32 v18, v16
	;; [unrolled: 1-line block ×3, first 2 shown]
	ds_store_b128 v10, v[16:19]
.LBB193_83:
	s_and_not1_saveexec_b32 s5, s4
	s_cbranch_execz .LBB193_85
; %bb.84:
	s_lshl_b32 s22, s10, 3
	s_delay_alu instid0(SALU_CYCLE_1) | instskip(NEXT) | instid1(SALU_CYCLE_1)
	s_ashr_i32 s23, s22, 31
	s_lshl_b64 s[22:23], s[22:23], 4
	s_delay_alu instid0(SALU_CYCLE_1) | instskip(NEXT) | instid1(VALU_DEP_1)
	v_add_co_u32 v10, s4, v5, s22
	v_add_co_ci_u32_e64 v11, s4, s23, v6, s4
	flat_load_b128 v[16:19], v[10:11]
	v_add_nc_u32_e32 v10, 0x1080, v15
	s_waitcnt vmcnt(0) lgkmcnt(0)
	ds_store_2addr_b64 v10, v[16:17], v[18:19] offset1:1
.LBB193_85:
	s_or_b32 exec_lo, exec_lo, s5
	v_add_nc_u32_e32 v10, 16, v9
	s_delay_alu instid0(VALU_DEP_1) | instskip(NEXT) | instid1(VALU_DEP_1)
	v_cmp_le_i32_e64 s4, s8, v10
	s_and_saveexec_b32 s5, s4
	s_delay_alu instid0(SALU_CYCLE_1)
	s_xor_b32 s4, exec_lo, s5
	s_cbranch_execz .LBB193_87
; %bb.86:
	v_mul_u32_u24_e32 v11, 33, v10
	v_mov_b32_e32 v16, 0
	s_delay_alu instid0(VALU_DEP_2) | instskip(NEXT) | instid1(VALU_DEP_2)
	v_add_lshl_u32 v11, v11, v4, 4
	v_mov_b32_e32 v17, v16
	v_mov_b32_e32 v18, v16
	;; [unrolled: 1-line block ×3, first 2 shown]
	ds_store_b128 v11, v[16:19]
.LBB193_87:
	s_and_not1_saveexec_b32 s5, s4
	s_cbranch_execz .LBB193_89
; %bb.88:
	s_lshl_b32 s22, s10, 4
	v_add_nc_u32_e32 v11, 0x2100, v15
	s_ashr_i32 s23, s22, 31
	s_delay_alu instid0(SALU_CYCLE_1) | instskip(NEXT) | instid1(SALU_CYCLE_1)
	s_lshl_b64 s[22:23], s[22:23], 4
	v_add_co_u32 v16, s4, v5, s22
	s_delay_alu instid0(VALU_DEP_1)
	v_add_co_ci_u32_e64 v17, s4, s23, v6, s4
	flat_load_b128 v[16:19], v[16:17]
	s_waitcnt vmcnt(0) lgkmcnt(0)
	ds_store_2addr_b64 v11, v[16:17], v[18:19] offset1:1
.LBB193_89:
	s_or_b32 exec_lo, exec_lo, s5
	v_add_nc_u32_e32 v11, 24, v9
                                        ; implicit-def: $vgpr14
	s_delay_alu instid0(VALU_DEP_1) | instskip(NEXT) | instid1(VALU_DEP_1)
	v_cmp_le_i32_e64 s4, s8, v11
	s_and_saveexec_b32 s5, s4
	s_delay_alu instid0(SALU_CYCLE_1)
	s_xor_b32 s4, exec_lo, s5
	s_cbranch_execz .LBB193_91
; %bb.90:
	v_mad_u32_u24 v14, v11, 33, v4
	v_mov_b32_e32 v15, 0
	s_delay_alu instid0(VALU_DEP_1)
	v_dual_mov_b32 v16, v15 :: v_dual_lshlrev_b32 v19, 4, v14
	v_mov_b32_e32 v17, v15
	v_mov_b32_e32 v18, v15
	ds_store_b128 v19, v[15:18]
                                        ; implicit-def: $vgpr15
.LBB193_91:
	s_and_not1_saveexec_b32 s5, s4
	s_cbranch_execz .LBB193_93
; %bb.92:
	s_mul_i32 s22, s10, 24
	v_add_nc_u32_e32 v15, 0x3180, v15
	s_ashr_i32 s23, s22, 31
	v_add_nc_u32_e32 v14, 0x318, v8
	s_lshl_b64 s[22:23], s[22:23], 4
	s_delay_alu instid0(SALU_CYCLE_1) | instskip(NEXT) | instid1(VALU_DEP_1)
	v_add_co_u32 v16, s4, v5, s22
	v_add_co_ci_u32_e64 v17, s4, s23, v6, s4
	flat_load_b128 v[16:19], v[16:17]
	s_waitcnt vmcnt(0) lgkmcnt(0)
	ds_store_2addr_b64 v15, v[16:17], v[18:19] offset1:1
.LBB193_93:
	s_or_b32 exec_lo, exec_lo, s5
	v_lshlrev_b32_e32 v4, 4, v4
	s_delay_alu instid0(VALU_DEP_1) | instskip(NEXT) | instid1(VALU_DEP_1)
	v_add_co_u32 v4, s4, v5, v4
	v_add_co_ci_u32_e64 v5, s4, 0, v6, s4
	v_add_nc_u32_e32 v6, 0x108, v8
	s_delay_alu instid0(VALU_DEP_3) | instskip(NEXT) | instid1(VALU_DEP_1)
	v_sub_co_u32 v4, s4, v4, s6
	v_subrev_co_ci_u32_e64 v5, s4, s7, v5, s4
	s_delay_alu instid0(VALU_DEP_2) | instskip(NEXT) | instid1(VALU_DEP_1)
	v_add_co_u32 v4, s4, 0x210, v4
	v_add_co_ci_u32_e64 v5, s4, 0, v5, s4
	s_delay_alu instid0(VALU_DEP_1)
	v_dual_cndmask_b32 v40, v4, v40 :: v_dual_cndmask_b32 v41, v5, v41
	v_add_nc_u32_e32 v5, 0x210, v8
.LBB193_94:
	v_lshlrev_b32_e32 v4, 4, v9
	v_lshlrev_b32_e32 v8, 4, v8
	s_waitcnt lgkmcnt(0)
	s_barrier
	buffer_gl0_inv
	ds_load_b128 v[15:18], v4 offset:18176
	ds_load_b128 v[19:22], v8
	v_lshlrev_b32_e32 v4, 4, v7
	v_lshlrev_b32_e32 v5, 4, v5
	s_waitcnt lgkmcnt(0)
	v_mul_f64 v[25:26], v[17:18], v[21:22]
	v_mul_f64 v[27:28], v[15:16], v[21:22]
	v_lshlrev_b32_e32 v21, 4, v6
	ds_load_b128 v[6:9], v4 offset:18176
	ds_load_b128 v[21:24], v21
	v_lshlrev_b32_e32 v4, 4, v10
	s_waitcnt lgkmcnt(0)
	v_mul_f64 v[29:30], v[8:9], v[23:24]
	v_mul_f64 v[31:32], v[6:7], v[23:24]
	v_fma_f64 v[33:34], v[15:16], v[19:20], -v[25:26]
	v_fma_f64 v[19:20], v[17:18], v[19:20], v[27:28]
	ds_load_b128 v[15:18], v4 offset:18176
	ds_load_b128 v[23:26], v5
	v_lshlrev_b32_e32 v4, 4, v11
	s_waitcnt lgkmcnt(0)
	v_mul_f64 v[27:28], v[17:18], v[25:26]
	v_mul_f64 v[25:26], v[15:16], v[25:26]
	v_fma_f64 v[29:30], v[6:7], v[21:22], -v[29:30]
	v_fma_f64 v[21:22], v[8:9], v[21:22], v[31:32]
	v_lshlrev_b32_e32 v8, 4, v14
	ds_load_b128 v[4:7], v4 offset:18176
	ds_load_b128 v[8:11], v8
	v_add_f64 v[31:32], v[33:34], 0
	v_add_f64 v[19:20], v[19:20], 0
	s_waitcnt lgkmcnt(0)
	v_mul_f64 v[33:34], v[6:7], v[10:11]
	v_mul_f64 v[10:11], v[4:5], v[10:11]
	v_fma_f64 v[14:15], v[15:16], v[23:24], -v[27:28]
	v_fma_f64 v[16:17], v[17:18], v[23:24], v[25:26]
	v_add_f64 v[23:24], v[31:32], v[29:30]
	v_add_f64 v[18:19], v[19:20], v[21:22]
	v_fma_f64 v[4:5], v[4:5], v[8:9], -v[33:34]
	v_fma_f64 v[6:7], v[6:7], v[8:9], v[10:11]
	s_delay_alu instid0(VALU_DEP_4) | instskip(NEXT) | instid1(VALU_DEP_4)
	v_add_f64 v[8:9], v[23:24], v[14:15]
	v_add_f64 v[10:11], v[18:19], v[16:17]
	s_delay_alu instid0(VALU_DEP_2) | instskip(NEXT) | instid1(VALU_DEP_2)
	v_add_f64 v[46:47], v[8:9], v[4:5]
	v_add_f64 v[48:49], v[10:11], v[6:7]
	ds_load_b128 v[28:31], v12
	ds_load_b128 v[20:23], v12 offset:16
	ds_load_b128 v[8:11], v12 offset:32
	;; [unrolled: 1-line block ×7, first 2 shown]
	s_waitcnt lgkmcnt(0)
	s_barrier
	buffer_gl0_inv
	ds_store_b128 v45, v[46:49]
	s_waitcnt lgkmcnt(0)
	s_barrier
	buffer_gl0_inv
	s_and_saveexec_b32 s4, s1
	s_cbranch_execz .LBB193_96
; %bb.95:
	v_lshlrev_b32_e32 v54, 4, v44
	ds_load_b128 v[46:49], v54
	ds_load_b128 v[50:53], v54 offset:16
	s_waitcnt lgkmcnt(1)
	v_add_f64 v[0:1], v[0:1], v[46:47]
	v_add_f64 v[2:3], v[2:3], v[48:49]
	s_waitcnt lgkmcnt(0)
	s_delay_alu instid0(VALU_DEP_2) | instskip(NEXT) | instid1(VALU_DEP_2)
	v_add_f64 v[50:51], v[0:1], v[50:51]
	v_add_f64 v[52:53], v[2:3], v[52:53]
	ds_load_b128 v[0:3], v54 offset:32
	ds_load_b128 v[46:49], v54 offset:48
	s_waitcnt lgkmcnt(1)
	v_add_f64 v[0:1], v[50:51], v[0:1]
	v_add_f64 v[2:3], v[52:53], v[2:3]
	s_waitcnt lgkmcnt(0)
	s_delay_alu instid0(VALU_DEP_2) | instskip(NEXT) | instid1(VALU_DEP_2)
	v_add_f64 v[50:51], v[0:1], v[46:47]
	v_add_f64 v[52:53], v[2:3], v[48:49]
	ds_load_b128 v[0:3], v54 offset:64
	;; [unrolled: 9-line block ×3, first 2 shown]
	ds_load_b128 v[46:49], v54 offset:112
	s_waitcnt lgkmcnt(1)
	v_add_f64 v[0:1], v[50:51], v[0:1]
	v_add_f64 v[2:3], v[52:53], v[2:3]
	s_waitcnt lgkmcnt(0)
	s_delay_alu instid0(VALU_DEP_2) | instskip(NEXT) | instid1(VALU_DEP_2)
	v_add_f64 v[0:1], v[0:1], v[46:47]
	v_add_f64 v[2:3], v[2:3], v[48:49]
.LBB193_96:
	s_or_b32 exec_lo, exec_lo, s4
	v_mul_f64 v[46:47], v[30:31], v[34:35]
	v_mul_f64 v[34:35], v[28:29], v[34:35]
	;; [unrolled: 1-line block ×4, first 2 shown]
	s_barrier
	buffer_gl0_inv
	v_fma_f64 v[28:29], v[28:29], v[32:33], -v[46:47]
	v_fma_f64 v[30:31], v[30:31], v[32:33], v[34:35]
	v_mul_f64 v[32:33], v[10:11], v[18:19]
	v_mul_f64 v[18:19], v[8:9], v[18:19]
	v_fma_f64 v[20:21], v[20:21], v[24:25], -v[48:49]
	v_fma_f64 v[22:23], v[22:23], v[24:25], v[26:27]
	v_add_f64 v[24:25], v[28:29], 0
	v_add_f64 v[26:27], v[30:31], 0
	v_mul_f64 v[28:29], v[6:7], v[14:15]
	v_mul_f64 v[14:15], v[4:5], v[14:15]
	v_fma_f64 v[8:9], v[8:9], v[16:17], -v[32:33]
	v_fma_f64 v[10:11], v[10:11], v[16:17], v[18:19]
	v_add_f64 v[16:17], v[24:25], v[20:21]
	v_add_f64 v[18:19], v[26:27], v[22:23]
	v_fma_f64 v[4:5], v[4:5], v[12:13], -v[28:29]
	v_fma_f64 v[6:7], v[6:7], v[12:13], v[14:15]
	s_delay_alu instid0(VALU_DEP_4) | instskip(NEXT) | instid1(VALU_DEP_4)
	v_add_f64 v[8:9], v[16:17], v[8:9]
	v_add_f64 v[10:11], v[18:19], v[10:11]
	s_delay_alu instid0(VALU_DEP_2) | instskip(NEXT) | instid1(VALU_DEP_2)
	v_add_f64 v[4:5], v[8:9], v[4:5]
	v_add_f64 v[6:7], v[10:11], v[6:7]
	ds_store_b128 v45, v[4:7]
	s_waitcnt lgkmcnt(0)
	s_barrier
	buffer_gl0_inv
	s_and_saveexec_b32 s1, s0
	s_cbranch_execz .LBB193_98
; %bb.97:
	v_lshlrev_b32_e32 v12, 4, v44
	ds_load_b128 v[4:7], v12
	ds_load_b128 v[8:11], v12 offset:16
	s_waitcnt lgkmcnt(1)
	v_add_f64 v[0:1], v[0:1], v[4:5]
	v_add_f64 v[2:3], v[2:3], v[6:7]
	s_waitcnt lgkmcnt(0)
	s_delay_alu instid0(VALU_DEP_2) | instskip(NEXT) | instid1(VALU_DEP_2)
	v_add_f64 v[8:9], v[0:1], v[8:9]
	v_add_f64 v[10:11], v[2:3], v[10:11]
	ds_load_b128 v[0:3], v12 offset:32
	ds_load_b128 v[4:7], v12 offset:48
	s_waitcnt lgkmcnt(1)
	v_add_f64 v[0:1], v[8:9], v[0:1]
	v_add_f64 v[2:3], v[10:11], v[2:3]
	s_waitcnt lgkmcnt(0)
	s_delay_alu instid0(VALU_DEP_2) | instskip(NEXT) | instid1(VALU_DEP_2)
	v_add_f64 v[8:9], v[0:1], v[4:5]
	v_add_f64 v[10:11], v[2:3], v[6:7]
	ds_load_b128 v[0:3], v12 offset:64
	;; [unrolled: 9-line block ×3, first 2 shown]
	ds_load_b128 v[4:7], v12 offset:112
	s_waitcnt lgkmcnt(1)
	v_add_f64 v[0:1], v[8:9], v[0:1]
	v_add_f64 v[2:3], v[10:11], v[2:3]
	s_waitcnt lgkmcnt(0)
	s_delay_alu instid0(VALU_DEP_2) | instskip(NEXT) | instid1(VALU_DEP_2)
	v_add_f64 v[0:1], v[0:1], v[4:5]
	v_add_f64 v[2:3], v[2:3], v[6:7]
.LBB193_98:
	s_or_b32 exec_lo, exec_lo, s1
	s_mul_hi_u32 s0, s15, s12
	s_mul_i32 s27, s27, s12
	s_mul_i32 s1, s15, s12
	s_add_i32 s0, s0, s27
	s_mul_hi_u32 s5, s1, s26
	s_mul_i32 s4, s0, s26
	s_mul_i32 s0, s1, s26
	s_add_i32 s1, s5, s4
	s_mul_i32 s4, s14, s15
	s_lshl_b64 s[0:1], s[0:1], 4
	v_cmp_le_i32_e32 vcc_lo, s8, v42
	s_add_u32 s6, s16, s0
	s_addc_u32 s7, s17, s1
	s_ashr_i32 s5, s4, 31
	v_lshlrev_b32_e32 v150, 4, v42
	s_lshl_b64 s[0:1], s[4:5], 4
	s_delay_alu instid0(SALU_CYCLE_1)
	s_add_u32 s12, s6, s0
	s_addc_u32 s15, s7, s1
	s_and_b32 vcc_lo, s19, vcc_lo
	s_cmp_lt_i32 s14, 1
	s_barrier
	buffer_gl0_inv
	s_cbranch_scc1 .LBB193_105
; %bb.99:
	v_mul_lo_u32 v4, v149, s10
	v_sub_co_u32 v7, s0, v40, s20
	s_delay_alu instid0(VALU_DEP_1) | instskip(SKIP_1) | instid1(VALU_DEP_2)
	v_subrev_co_ci_u32_e64 v8, s0, s21, v41, s0
	s_ashr_i32 s9, s8, 31
	v_sub_co_u32 v7, s0, v7, v38
	s_delay_alu instid0(VALU_DEP_4) | instskip(NEXT) | instid1(VALU_DEP_3)
	v_lshl_add_u32 v4, v4, 2, v42
	v_sub_co_ci_u32_e64 v8, s0, v8, v39, s0
	s_lshl_b64 s[6:7], s[8:9], 4
	v_lshlrev_b32_e32 v10, 2, v43
	s_delay_alu instid0(VALU_DEP_3) | instskip(SKIP_3) | instid1(VALU_DEP_2)
	v_ashrrev_i32_e32 v5, 31, v4
	s_mul_i32 s4, s18, s13
	v_dual_mov_b32 v146, 0 :: v_dual_add_nc_u32 v151, 0x4300, v150
	s_ashr_i32 s5, s4, 31
	v_lshlrev_b64 v[4:5], 4, v[4:5]
	s_lshl_b64 s[4:5], s[4:5], 4
	v_add_nc_u32_e32 v154, 0x4700, v150
	v_lshl_add_u32 v158, v149, 6, 0x4300
	v_mad_u32_u24 v159, 0x10c0, v149, v150
	s_ashr_i32 s11, s10, 31
	v_add_co_u32 v4, s0, v7, v4
	s_delay_alu instid0(VALU_DEP_1) | instskip(SKIP_1) | instid1(VALU_DEP_2)
	v_add_co_ci_u32_e64 v5, s0, v8, v5, s0
	s_lshl_b32 s13, s13, 6
	v_add_co_u32 v4, s0, 0xfffffe00, v4
	s_delay_alu instid0(VALU_DEP_1) | instskip(SKIP_1) | instid1(VALU_DEP_2)
	v_add_co_ci_u32_e64 v5, s0, -1, v5, s0
	s_mul_hi_i32 s8, s10, 0xd0
	v_sub_co_u32 v7, s0, v4, v150
	s_delay_alu instid0(VALU_DEP_1) | instskip(SKIP_1) | instid1(VALU_DEP_2)
	v_subrev_co_ci_u32_e64 v8, s0, 0, v5, s0
	s_mul_i32 s9, s10, 0xd0
	v_add_co_u32 v7, s0, v7, s6
	s_delay_alu instid0(VALU_DEP_1) | instskip(SKIP_1) | instid1(VALU_DEP_2)
	v_add_co_ci_u32_e64 v8, s0, s7, v8, s0
	s_mov_b32 s6, 0
	v_add_co_u32 v7, s0, v7, -16
	v_and_b32_e32 v9, 48, v42
	s_delay_alu instid0(VALU_DEP_3) | instskip(NEXT) | instid1(VALU_DEP_3)
	v_add_co_ci_u32_e64 v8, s0, -1, v8, s0
	v_cndmask_b32_e32 v4, v4, v7, vcc_lo
	v_and_b32_e32 v6, 15, v42
	v_or_b32_e32 v7, 0xf0, v150
	s_delay_alu instid0(VALU_DEP_4)
	v_cndmask_b32_e32 v5, v5, v8, vcc_lo
	v_lshlrev_b32_e32 v11, 4, v9
	v_and_b32_e32 v8, 0x7ffc0, v10
	v_sub_co_u32 v152, s0, v36, s4
	v_mad_u32_u24 v156, 0x430, v6, v7
	v_and_b32_e32 v7, 0x1fff0, v43
	v_subrev_co_ci_u32_e64 v153, s0, s5, v37, s0
	v_cmp_gt_u32_e64 s0, 64, v43
	v_mad_u32_u24 v155, 0x430, v6, v11
	v_mad_u32_u24 v157, 0x430, v6, v8
	;; [unrolled: 1-line block ×3, first 2 shown]
	v_or_b32_e32 v145, v9, v6
	s_lshl_b64 s[4:5], s[10:11], 4
	s_branch .LBB193_101
.LBB193_100:                            ;   in Loop: Header=BB193_101 Depth=1
	s_or_b32 exec_lo, exec_lo, s7
	v_mul_f64 v[108:109], v[10:11], v[38:39]
	v_mul_f64 v[38:39], v[8:9], v[38:39]
	;; [unrolled: 1-line block ×4, first 2 shown]
	v_add_nc_u32_e32 v145, 64, v145
	s_add_i32 s14, s14, -1
	s_add_i32 s6, s6, s13
	s_cmp_eq_u32 s14, 0
	s_waitcnt_vscnt null, 0x0
	s_barrier
	buffer_gl0_inv
	v_fma_f64 v[8:9], v[8:9], v[36:37], -v[108:109]
	v_fma_f64 v[10:11], v[10:11], v[36:37], v[38:39]
	v_mul_f64 v[36:37], v[14:15], v[46:47]
	v_mul_f64 v[38:39], v[12:13], v[46:47]
	v_fma_f64 v[16:17], v[16:17], v[48:49], -v[110:111]
	v_fma_f64 v[18:19], v[18:19], v[48:49], v[50:51]
	v_add_f64 v[0:1], v[0:1], v[8:9]
	v_add_f64 v[2:3], v[2:3], v[10:11]
	v_mul_f64 v[8:9], v[6:7], v[42:43]
	v_mul_f64 v[10:11], v[4:5], v[42:43]
	v_fma_f64 v[12:13], v[12:13], v[44:45], -v[36:37]
	v_fma_f64 v[14:15], v[14:15], v[44:45], v[38:39]
	v_add_f64 v[0:1], v[0:1], v[16:17]
	v_add_f64 v[2:3], v[2:3], v[18:19]
	v_mul_f64 v[16:17], v[34:35], v[74:75]
	v_mul_f64 v[18:19], v[32:33], v[74:75]
	v_fma_f64 v[4:5], v[4:5], v[40:41], -v[8:9]
	v_fma_f64 v[6:7], v[6:7], v[40:41], v[10:11]
	v_mul_f64 v[8:9], v[30:31], v[82:83]
	v_mul_f64 v[10:11], v[28:29], v[82:83]
	v_add_f64 v[0:1], v[0:1], v[12:13]
	v_add_f64 v[2:3], v[2:3], v[14:15]
	v_fma_f64 v[12:13], v[32:33], v[72:73], -v[16:17]
	v_fma_f64 v[14:15], v[34:35], v[72:73], v[18:19]
	v_fma_f64 v[8:9], v[28:29], v[80:81], -v[8:9]
	v_fma_f64 v[10:11], v[30:31], v[80:81], v[10:11]
	v_add_f64 v[0:1], v[0:1], v[4:5]
	v_add_f64 v[2:3], v[2:3], v[6:7]
	v_mul_f64 v[4:5], v[26:27], v[78:79]
	v_mul_f64 v[6:7], v[24:25], v[78:79]
	s_delay_alu instid0(VALU_DEP_4) | instskip(NEXT) | instid1(VALU_DEP_4)
	v_add_f64 v[0:1], v[0:1], v[12:13]
	v_add_f64 v[2:3], v[2:3], v[14:15]
	v_mul_f64 v[12:13], v[22:23], v[70:71]
	v_mul_f64 v[14:15], v[20:21], v[70:71]
	v_fma_f64 v[4:5], v[24:25], v[76:77], -v[4:5]
	v_fma_f64 v[6:7], v[26:27], v[76:77], v[6:7]
	v_add_f64 v[0:1], v[0:1], v[8:9]
	v_add_f64 v[2:3], v[2:3], v[10:11]
	v_mul_f64 v[8:9], v[66:67], v[102:103]
	v_mul_f64 v[10:11], v[64:65], v[102:103]
	v_fma_f64 v[12:13], v[20:21], v[68:69], -v[12:13]
	v_fma_f64 v[14:15], v[22:23], v[68:69], v[14:15]
	;; [unrolled: 6-line block ×9, first 2 shown]
	v_add_f64 v[0:1], v[0:1], v[12:13]
	v_add_f64 v[2:3], v[2:3], v[14:15]
	v_fma_f64 v[4:5], v[120:121], v[128:129], -v[4:5]
	v_fma_f64 v[6:7], v[122:123], v[128:129], v[6:7]
	s_delay_alu instid0(VALU_DEP_4) | instskip(NEXT) | instid1(VALU_DEP_4)
	v_add_f64 v[0:1], v[0:1], v[8:9]
	v_add_f64 v[2:3], v[2:3], v[10:11]
	s_delay_alu instid0(VALU_DEP_2) | instskip(NEXT) | instid1(VALU_DEP_2)
	v_add_f64 v[0:1], v[0:1], v[4:5]
	v_add_f64 v[2:3], v[2:3], v[6:7]
	v_add_co_u32 v4, s1, v147, s9
	s_delay_alu instid0(VALU_DEP_1)
	v_add_co_ci_u32_e64 v5, s1, s8, v148, s1
	s_cbranch_scc1 .LBB193_105
.LBB193_101:                            ; =>This Inner Loop Header: Depth=1
	s_and_saveexec_b32 s10, s3
	s_cbranch_execz .LBB193_103
; %bb.102:                              ;   in Loop: Header=BB193_101 Depth=1
	s_ashr_i32 s7, s6, 31
	s_delay_alu instid0(SALU_CYCLE_1) | instskip(NEXT) | instid1(SALU_CYCLE_1)
	s_lshl_b64 s[16:17], s[6:7], 4
	v_add_co_u32 v6, s1, v152, s16
	s_delay_alu instid0(VALU_DEP_1)
	v_add_co_ci_u32_e64 v7, s1, s17, v153, s1
	flat_load_b128 v[6:9], v[6:7]
	s_waitcnt vmcnt(0) lgkmcnt(0)
	ds_store_2addr_b64 v151, v[6:7], v[8:9] offset1:1
.LBB193_103:                            ;   in Loop: Header=BB193_101 Depth=1
	s_or_b32 exec_lo, exec_lo, s10
	v_add_co_u32 v6, s1, v4, s4
	s_delay_alu instid0(VALU_DEP_1) | instskip(SKIP_1) | instid1(VALU_DEP_2)
	v_add_co_ci_u32_e64 v7, s1, s5, v5, s1
	s_waitcnt lgkmcnt(0)
	v_add_co_u32 v12, s1, v6, s4
	s_delay_alu instid0(VALU_DEP_1) | instskip(SKIP_1) | instid1(VALU_DEP_2)
	v_add_co_ci_u32_e64 v13, s1, s5, v7, s1
	s_barrier
	v_add_co_u32 v34, s1, v12, s4
	buffer_gl0_inv
	flat_load_b128 v[8:11], v[4:5]
	v_add_co_ci_u32_e64 v35, s1, s5, v13, s1
	s_clause 0x2
	flat_load_b128 v[16:19], v[6:7]
	flat_load_b128 v[12:15], v[12:13]
	;; [unrolled: 1-line block ×3, first 2 shown]
	ds_load_b128 v[20:23], v154
	ds_load_b128 v[36:39], v158
	s_waitcnt vmcnt(3) lgkmcnt(1)
	v_mul_f64 v[24:25], v[10:11], v[22:23]
	v_mul_f64 v[26:27], v[8:9], v[22:23]
	s_waitcnt vmcnt(2)
	v_mul_f64 v[28:29], v[18:19], v[22:23]
	v_mul_f64 v[30:31], v[16:17], v[22:23]
	s_waitcnt vmcnt(1)
	;; [unrolled: 3-line block ×3, first 2 shown]
	v_mul_f64 v[42:43], v[6:7], v[22:23]
	v_mul_f64 v[44:45], v[4:5], v[22:23]
	v_fma_f64 v[22:23], v[8:9], v[20:21], -v[24:25]
	v_fma_f64 v[24:25], v[10:11], v[20:21], v[26:27]
	v_fma_f64 v[26:27], v[16:17], v[20:21], -v[28:29]
	v_fma_f64 v[28:29], v[18:19], v[20:21], v[30:31]
	;; [unrolled: 2-line block ×4, first 2 shown]
	v_add_co_u32 v20, s1, v34, s9
	s_delay_alu instid0(VALU_DEP_1) | instskip(NEXT) | instid1(VALU_DEP_2)
	v_add_co_ci_u32_e64 v21, s1, s8, v35, s1
	v_add_co_u32 v56, s1, v20, s4
	s_delay_alu instid0(VALU_DEP_1) | instskip(NEXT) | instid1(VALU_DEP_2)
	v_add_co_ci_u32_e64 v57, s1, s5, v21, s1
	;; [unrolled: 3-line block ×3, first 2 shown]
	v_add_co_u32 v66, s1, v58, s4
	s_delay_alu instid0(VALU_DEP_1)
	v_add_co_ci_u32_e64 v67, s1, s5, v59, s1
	ds_store_b128 v159, v[22:25]
	ds_load_b128 v[48:51], v158 offset:16
	ds_store_b128 v159, v[26:29] offset:1072
	ds_load_b128 v[44:47], v158 offset:32
	ds_store_b128 v159, v[30:33] offset:2144
	;; [unrolled: 2-line block ×3, first 2 shown]
	s_waitcnt lgkmcnt(0)
	s_barrier
	buffer_gl0_inv
	ds_load_b128 v[128:131], v157
	ds_load_b128 v[140:143], v157 offset:16
	ds_load_b128 v[116:119], v157 offset:32
	;; [unrolled: 1-line block ×3, first 2 shown]
	s_waitcnt lgkmcnt(0)
	s_barrier
	buffer_gl0_inv
	s_clause 0x2
	flat_load_b128 v[32:35], v[20:21]
	flat_load_b128 v[28:31], v[56:57]
	;; [unrolled: 1-line block ×4, first 2 shown]
	ds_load_b128 v[52:55], v154
	ds_load_b128 v[72:75], v158 offset:256
	v_add_f64 v[205:206], v[128:129], 0
	v_add_f64 v[207:208], v[130:131], 0
	s_waitcnt vmcnt(2) lgkmcnt(1)
	v_mul_f64 v[60:61], v[30:31], v[54:55]
	v_mul_f64 v[56:57], v[34:35], v[54:55]
	;; [unrolled: 1-line block ×4, first 2 shown]
	s_waitcnt vmcnt(1)
	v_mul_f64 v[64:65], v[26:27], v[54:55]
	v_mul_f64 v[68:69], v[24:25], v[54:55]
	s_waitcnt vmcnt(0)
	v_mul_f64 v[70:71], v[22:23], v[54:55]
	v_mul_f64 v[76:77], v[20:21], v[54:55]
	v_fma_f64 v[54:55], v[32:33], v[52:53], -v[56:57]
	v_fma_f64 v[56:57], v[34:35], v[52:53], v[58:59]
	v_fma_f64 v[58:59], v[28:29], v[52:53], -v[60:61]
	v_fma_f64 v[60:61], v[30:31], v[52:53], v[62:63]
	;; [unrolled: 2-line block ×4, first 2 shown]
	v_add_co_u32 v52, s1, v66, s9
	s_delay_alu instid0(VALU_DEP_1) | instskip(NEXT) | instid1(VALU_DEP_2)
	v_add_co_ci_u32_e64 v53, s1, s8, v67, s1
	v_add_co_u32 v88, s1, v52, s4
	s_delay_alu instid0(VALU_DEP_1) | instskip(NEXT) | instid1(VALU_DEP_2)
	v_add_co_ci_u32_e64 v89, s1, s5, v53, s1
	v_add_co_u32 v90, s1, v88, s4
	s_delay_alu instid0(VALU_DEP_1) | instskip(NEXT) | instid1(VALU_DEP_2)
	v_add_co_ci_u32_e64 v91, s1, s5, v89, s1
	v_add_co_u32 v98, s1, v90, s4
	s_delay_alu instid0(VALU_DEP_1)
	v_add_co_ci_u32_e64 v99, s1, s5, v91, s1
	ds_store_b128 v159, v[54:57]
	ds_load_b128 v[80:83], v158 offset:272
	ds_store_b128 v159, v[58:61] offset:1072
	ds_load_b128 v[76:79], v158 offset:288
	ds_store_b128 v159, v[62:65] offset:2144
	;; [unrolled: 2-line block ×3, first 2 shown]
	s_waitcnt lgkmcnt(0)
	s_barrier
	buffer_gl0_inv
	ds_load_b128 v[161:164], v157
	ds_load_b128 v[165:168], v157 offset:16
	ds_load_b128 v[169:172], v157 offset:32
	;; [unrolled: 1-line block ×3, first 2 shown]
	s_waitcnt lgkmcnt(0)
	s_barrier
	buffer_gl0_inv
	flat_load_b128 v[64:67], v[52:53]
	flat_load_b128 v[60:63], v[88:89]
	;; [unrolled: 1-line block ×4, first 2 shown]
	ds_load_b128 v[84:87], v154
	ds_load_b128 v[100:103], v158 offset:512
	v_add_f64 v[161:162], v[161:162], 0
	v_add_f64 v[163:164], v[163:164], 0
	s_delay_alu instid0(VALU_DEP_2) | instskip(NEXT) | instid1(VALU_DEP_2)
	v_add_f64 v[161:162], v[161:162], v[165:166]
	v_add_f64 v[163:164], v[163:164], v[167:168]
	s_delay_alu instid0(VALU_DEP_2) | instskip(NEXT) | instid1(VALU_DEP_2)
	v_add_f64 v[161:162], v[161:162], v[169:170]
	v_add_f64 v[163:164], v[163:164], v[171:172]
	s_waitcnt vmcnt(2) lgkmcnt(1)
	v_mul_f64 v[92:93], v[62:63], v[86:87]
	v_mul_f64 v[88:89], v[66:67], v[86:87]
	;; [unrolled: 1-line block ×4, first 2 shown]
	s_waitcnt vmcnt(1)
	v_mul_f64 v[96:97], v[58:59], v[86:87]
	v_mul_f64 v[104:105], v[56:57], v[86:87]
	s_waitcnt vmcnt(0)
	v_mul_f64 v[106:107], v[54:55], v[86:87]
	v_mul_f64 v[112:113], v[52:53], v[86:87]
	v_fma_f64 v[86:87], v[64:65], v[84:85], -v[88:89]
	v_fma_f64 v[88:89], v[66:67], v[84:85], v[90:91]
	v_fma_f64 v[90:91], v[60:61], v[84:85], -v[92:93]
	v_fma_f64 v[92:93], v[62:63], v[84:85], v[94:95]
	;; [unrolled: 2-line block ×4, first 2 shown]
	v_add_co_u32 v84, s1, v98, s9
	s_delay_alu instid0(VALU_DEP_1) | instskip(NEXT) | instid1(VALU_DEP_2)
	v_add_co_ci_u32_e64 v85, s1, s8, v99, s1
	v_add_co_u32 v124, s1, v84, s4
	s_delay_alu instid0(VALU_DEP_1) | instskip(NEXT) | instid1(VALU_DEP_2)
	v_add_co_ci_u32_e64 v125, s1, s5, v85, s1
	;; [unrolled: 3-line block ×3, first 2 shown]
	v_add_co_u32 v147, s1, v136, s4
	s_delay_alu instid0(VALU_DEP_1)
	v_add_co_ci_u32_e64 v148, s1, s5, v137, s1
	ds_store_b128 v159, v[86:89]
	ds_load_b128 v[112:115], v158 offset:528
	ds_store_b128 v159, v[90:93] offset:1072
	ds_load_b128 v[104:107], v158 offset:544
	ds_store_b128 v159, v[94:97] offset:2144
	;; [unrolled: 2-line block ×3, first 2 shown]
	s_waitcnt lgkmcnt(0)
	s_barrier
	buffer_gl0_inv
	ds_load_b128 v[177:180], v157
	ds_load_b128 v[181:184], v157 offset:16
	ds_load_b128 v[185:188], v157 offset:32
	;; [unrolled: 1-line block ×3, first 2 shown]
	s_waitcnt lgkmcnt(0)
	s_barrier
	buffer_gl0_inv
	flat_load_b128 v[88:91], v[84:85]
	flat_load_b128 v[84:87], v[124:125]
	;; [unrolled: 1-line block ×3, first 2 shown]
	ds_load_b128 v[132:135], v154
	ds_load_b128 v[124:127], v158 offset:768
	v_add_f64 v[177:178], v[177:178], 0
	v_add_f64 v[179:180], v[179:180], 0
	s_delay_alu instid0(VALU_DEP_2) | instskip(NEXT) | instid1(VALU_DEP_2)
	v_add_f64 v[165:166], v[177:178], v[181:182]
	v_add_f64 v[167:168], v[179:180], v[183:184]
	s_delay_alu instid0(VALU_DEP_2) | instskip(NEXT) | instid1(VALU_DEP_2)
	v_add_f64 v[165:166], v[165:166], v[185:186]
	v_add_f64 v[167:168], v[167:168], v[187:188]
	s_waitcnt vmcnt(2) lgkmcnt(1)
	v_mul_f64 v[120:121], v[90:91], v[134:135]
	v_mul_f64 v[122:123], v[88:89], v[134:135]
	s_waitcnt vmcnt(1)
	v_mul_f64 v[193:194], v[86:87], v[134:135]
	v_mul_f64 v[195:196], v[84:85], v[134:135]
	s_waitcnt vmcnt(0)
	v_mul_f64 v[197:198], v[94:95], v[134:135]
	v_mul_f64 v[199:200], v[92:93], v[134:135]
	v_fma_f64 v[136:137], v[88:89], v[132:133], -v[120:121]
	v_fma_f64 v[138:139], v[90:91], v[132:133], v[122:123]
	flat_load_b128 v[120:123], v[147:148]
	v_fma_f64 v[193:194], v[84:85], v[132:133], -v[193:194]
	v_fma_f64 v[195:196], v[86:87], v[132:133], v[195:196]
	v_fma_f64 v[197:198], v[92:93], v[132:133], -v[197:198]
	v_fma_f64 v[199:200], v[94:95], v[132:133], v[199:200]
	ds_store_b128 v159, v[136:139]
	ds_load_b128 v[136:139], v158 offset:784
	ds_store_b128 v159, v[193:196] offset:1072
	s_waitcnt vmcnt(0) lgkmcnt(3)
	v_mul_f64 v[201:202], v[122:123], v[134:135]
	v_mul_f64 v[134:135], v[120:121], v[134:135]
	s_delay_alu instid0(VALU_DEP_2) | instskip(NEXT) | instid1(VALU_DEP_2)
	v_fma_f64 v[201:202], v[120:121], v[132:133], -v[201:202]
	v_fma_f64 v[203:204], v[122:123], v[132:133], v[134:135]
	ds_load_b128 v[132:135], v158 offset:800
	ds_store_b128 v159, v[197:200] offset:2144
	ds_load_b128 v[128:131], v158 offset:816
	v_add_f64 v[197:198], v[205:206], v[140:141]
	v_add_f64 v[199:200], v[207:208], v[142:143]
	ds_store_b128 v159, v[201:204] offset:3216
	s_waitcnt lgkmcnt(0)
	s_barrier
	buffer_gl0_inv
	ds_load_b128 v[193:196], v157
	ds_load_b128 v[140:143], v157 offset:16
	v_add_f64 v[181:182], v[197:198], v[116:117]
	v_add_f64 v[183:184], v[199:200], v[118:119]
	ds_load_b128 v[116:119], v157 offset:48
	s_waitcnt lgkmcnt(2)
	v_add_f64 v[193:194], v[193:194], 0
	v_add_f64 v[195:196], v[195:196], 0
	;; [unrolled: 1-line block ×4, first 2 shown]
	s_waitcnt lgkmcnt(1)
	s_delay_alu instid0(VALU_DEP_4) | instskip(NEXT) | instid1(VALU_DEP_4)
	v_add_f64 v[177:178], v[193:194], v[140:141]
	v_add_f64 v[179:180], v[195:196], v[142:143]
	ds_load_b128 v[140:143], v157 offset:32
	s_waitcnt lgkmcnt(0)
	s_barrier
	buffer_gl0_inv
	v_add_f64 v[169:170], v[177:178], v[140:141]
	v_add_f64 v[171:172], v[179:180], v[142:143]
	;; [unrolled: 1-line block ×8, first 2 shown]
	ds_store_b128 v160, v[108:111]
	ds_store_b128 v160, v[140:143] offset:256
	ds_store_b128 v160, v[161:164] offset:512
	;; [unrolled: 1-line block ×3, first 2 shown]
	s_waitcnt lgkmcnt(0)
	s_barrier
	buffer_gl0_inv
	s_and_saveexec_b32 s7, s0
	s_cbranch_execz .LBB193_100
; %bb.104:                              ;   in Loop: Header=BB193_101 Depth=1
	ds_load_b128 v[108:111], v155
	ds_load_b128 v[116:119], v155 offset:16
	s_waitcnt lgkmcnt(0)
	v_add_f64 v[140:141], v[116:117], v[108:109]
	v_add_f64 v[142:143], v[118:119], v[110:111]
	ds_load_b128 v[108:111], v155 offset:32
	ds_load_b128 v[116:119], v155 offset:48
	s_waitcnt lgkmcnt(1)
	v_add_f64 v[108:109], v[140:141], v[108:109]
	v_add_f64 v[110:111], v[142:143], v[110:111]
	s_waitcnt lgkmcnt(0)
	s_delay_alu instid0(VALU_DEP_2) | instskip(NEXT) | instid1(VALU_DEP_2)
	v_add_f64 v[140:141], v[108:109], v[116:117]
	v_add_f64 v[142:143], v[110:111], v[118:119]
	ds_load_b128 v[108:111], v155 offset:64
	ds_load_b128 v[116:119], v155 offset:80
	s_waitcnt lgkmcnt(1)
	v_add_f64 v[108:109], v[140:141], v[108:109]
	v_add_f64 v[110:111], v[142:143], v[110:111]
	s_waitcnt lgkmcnt(0)
	s_delay_alu instid0(VALU_DEP_2) | instskip(NEXT) | instid1(VALU_DEP_2)
	;; [unrolled: 9-line block ×6, first 2 shown]
	v_add_f64 v[140:141], v[108:109], v[116:117]
	v_add_f64 v[142:143], v[110:111], v[118:119]
	ds_load_b128 v[108:111], v155 offset:224
	ds_load_b128 v[116:119], v156
	s_waitcnt lgkmcnt(1)
	v_add_f64 v[108:109], v[140:141], v[108:109]
	v_add_f64 v[110:111], v[142:143], v[110:111]
	s_waitcnt lgkmcnt(0)
	s_delay_alu instid0(VALU_DEP_2) | instskip(NEXT) | instid1(VALU_DEP_2)
	v_add_f64 v[108:109], v[108:109], v[116:117]
	v_add_f64 v[110:111], v[110:111], v[118:119]
	v_lshlrev_b64 v[116:117], 4, v[145:146]
	s_delay_alu instid0(VALU_DEP_1) | instskip(NEXT) | instid1(VALU_DEP_1)
	v_add_co_u32 v116, s1, s12, v116
	v_add_co_ci_u32_e64 v117, s1, s15, v117, s1
	global_store_b128 v[116:117], v[108:111], off
	s_branch .LBB193_100
.LBB193_105:
	v_mad_u32_u24 v4, 0x430, v149, v150
	s_or_b32 s0, s2, vcc_lo
	s_delay_alu instid0(SALU_CYCLE_1)
	s_xor_b32 s0, s0, -1
	ds_store_b128 v4, v[0:3]
	s_waitcnt lgkmcnt(0)
	s_barrier
	buffer_gl0_inv
	s_and_saveexec_b32 s1, s0
	s_cbranch_execz .LBB193_107
; %bb.106:
	ds_load_b128 v[0:3], v150 offset:1072
	ds_load_b128 v[4:7], v150
	v_ashrrev_i32_e32 v145, 31, v144
	s_waitcnt lgkmcnt(0)
	v_add_f64 v[8:9], v[0:1], v[4:5]
	v_add_f64 v[10:11], v[2:3], v[6:7]
	ds_load_b128 v[0:3], v150 offset:2144
	ds_load_b128 v[4:7], v150 offset:3216
	s_waitcnt lgkmcnt(1)
	v_add_f64 v[0:1], v[8:9], v[0:1]
	v_add_f64 v[2:3], v[10:11], v[2:3]
	s_waitcnt lgkmcnt(0)
	s_delay_alu instid0(VALU_DEP_2) | instskip(NEXT) | instid1(VALU_DEP_2)
	v_add_f64 v[0:1], v[0:1], v[4:5]
	v_add_f64 v[2:3], v[2:3], v[6:7]
	v_lshlrev_b64 v[4:5], 4, v[144:145]
	s_delay_alu instid0(VALU_DEP_1) | instskip(NEXT) | instid1(VALU_DEP_2)
	v_add_co_u32 v4, vcc_lo, s12, v4
	v_add_co_ci_u32_e32 v5, vcc_lo, s15, v5, vcc_lo
	global_store_b128 v[4:5], v[0:3], off
.LBB193_107:
	s_nop 0
	s_sendmsg sendmsg(MSG_DEALLOC_VGPRS)
	s_endpgm
	.section	.rodata,"a",@progbits
	.p2align	6, 0x0
	.amdhsa_kernel _ZL26rocblas_hemvn_kernel_lowerILb0ELi64ELi4ELi33ELi32ELi16EiPK19rocblas_complex_numIdEPKS3_PS1_EviT6_lT7_lT5_lS8_lS9_lS7_lT8_i
		.amdhsa_group_segment_fixed_size 19200
		.amdhsa_private_segment_fixed_size 0
		.amdhsa_kernarg_size 376
		.amdhsa_user_sgpr_count 14
		.amdhsa_user_sgpr_dispatch_ptr 0
		.amdhsa_user_sgpr_queue_ptr 0
		.amdhsa_user_sgpr_kernarg_segment_ptr 1
		.amdhsa_user_sgpr_dispatch_id 0
		.amdhsa_user_sgpr_private_segment_size 0
		.amdhsa_wavefront_size32 1
		.amdhsa_uses_dynamic_stack 0
		.amdhsa_enable_private_segment 0
		.amdhsa_system_sgpr_workgroup_id_x 1
		.amdhsa_system_sgpr_workgroup_id_y 0
		.amdhsa_system_sgpr_workgroup_id_z 1
		.amdhsa_system_sgpr_workgroup_info 0
		.amdhsa_system_vgpr_workitem_id 1
		.amdhsa_next_free_vgpr 209
		.amdhsa_next_free_sgpr 30
		.amdhsa_reserve_vcc 1
		.amdhsa_float_round_mode_32 0
		.amdhsa_float_round_mode_16_64 0
		.amdhsa_float_denorm_mode_32 3
		.amdhsa_float_denorm_mode_16_64 3
		.amdhsa_dx10_clamp 1
		.amdhsa_ieee_mode 1
		.amdhsa_fp16_overflow 0
		.amdhsa_workgroup_processor_mode 1
		.amdhsa_memory_ordered 1
		.amdhsa_forward_progress 0
		.amdhsa_shared_vgpr_count 0
		.amdhsa_exception_fp_ieee_invalid_op 0
		.amdhsa_exception_fp_denorm_src 0
		.amdhsa_exception_fp_ieee_div_zero 0
		.amdhsa_exception_fp_ieee_overflow 0
		.amdhsa_exception_fp_ieee_underflow 0
		.amdhsa_exception_fp_ieee_inexact 0
		.amdhsa_exception_int_div_zero 0
	.end_amdhsa_kernel
	.section	.text._ZL26rocblas_hemvn_kernel_lowerILb0ELi64ELi4ELi33ELi32ELi16EiPK19rocblas_complex_numIdEPKS3_PS1_EviT6_lT7_lT5_lS8_lS9_lS7_lT8_i,"axG",@progbits,_ZL26rocblas_hemvn_kernel_lowerILb0ELi64ELi4ELi33ELi32ELi16EiPK19rocblas_complex_numIdEPKS3_PS1_EviT6_lT7_lT5_lS8_lS9_lS7_lT8_i,comdat
.Lfunc_end193:
	.size	_ZL26rocblas_hemvn_kernel_lowerILb0ELi64ELi4ELi33ELi32ELi16EiPK19rocblas_complex_numIdEPKS3_PS1_EviT6_lT7_lT5_lS8_lS9_lS7_lT8_i, .Lfunc_end193-_ZL26rocblas_hemvn_kernel_lowerILb0ELi64ELi4ELi33ELi32ELi16EiPK19rocblas_complex_numIdEPKS3_PS1_EviT6_lT7_lT5_lS8_lS9_lS7_lT8_i
                                        ; -- End function
	.section	.AMDGPU.csdata,"",@progbits
; Kernel info:
; codeLenInByte = 10460
; NumSgprs: 32
; NumVgprs: 209
; ScratchSize: 0
; MemoryBound: 0
; FloatMode: 240
; IeeeMode: 1
; LDSByteSize: 19200 bytes/workgroup (compile time only)
; SGPRBlocks: 3
; VGPRBlocks: 26
; NumSGPRsForWavesPerEU: 32
; NumVGPRsForWavesPerEU: 209
; Occupancy: 7
; WaveLimiterHint : 1
; COMPUTE_PGM_RSRC2:SCRATCH_EN: 0
; COMPUTE_PGM_RSRC2:USER_SGPR: 14
; COMPUTE_PGM_RSRC2:TRAP_HANDLER: 0
; COMPUTE_PGM_RSRC2:TGID_X_EN: 1
; COMPUTE_PGM_RSRC2:TGID_Y_EN: 0
; COMPUTE_PGM_RSRC2:TGID_Z_EN: 1
; COMPUTE_PGM_RSRC2:TIDIG_COMP_CNT: 1
	.section	.text._ZL26rocblas_hemvn_kernel_lowerILb0ELi64ELi4ELi33ELi32ELi16El19rocblas_complex_numIdEPKPKS1_PS1_EviT6_lT7_lT5_lS8_lS9_lS7_lT8_i,"axG",@progbits,_ZL26rocblas_hemvn_kernel_lowerILb0ELi64ELi4ELi33ELi32ELi16El19rocblas_complex_numIdEPKPKS1_PS1_EviT6_lT7_lT5_lS8_lS9_lS7_lT8_i,comdat
	.globl	_ZL26rocblas_hemvn_kernel_lowerILb0ELi64ELi4ELi33ELi32ELi16El19rocblas_complex_numIdEPKPKS1_PS1_EviT6_lT7_lT5_lS8_lS9_lS7_lT8_i ; -- Begin function _ZL26rocblas_hemvn_kernel_lowerILb0ELi64ELi4ELi33ELi32ELi16El19rocblas_complex_numIdEPKPKS1_PS1_EviT6_lT7_lT5_lS8_lS9_lS7_lT8_i
	.p2align	8
	.type	_ZL26rocblas_hemvn_kernel_lowerILb0ELi64ELi4ELi33ELi32ELi16El19rocblas_complex_numIdEPKPKS1_PS1_EviT6_lT7_lT5_lS8_lS9_lS7_lT8_i,@function
_ZL26rocblas_hemvn_kernel_lowerILb0ELi64ELi4ELi33ELi32ELi16El19rocblas_complex_numIdEPKPKS1_PS1_EviT6_lT7_lT5_lS8_lS9_lS7_lT8_i: ; @_ZL26rocblas_hemvn_kernel_lowerILb0ELi64ELi4ELi33ELi32ELi16El19rocblas_complex_numIdEPKPKS1_PS1_EviT6_lT7_lT5_lS8_lS9_lS7_lT8_i
; %bb.0:
	s_load_b64 s[4:5], s[0:1], 0x94
	s_add_u32 s2, s0, 0x88
	s_addc_u32 s3, s1, 0
	s_waitcnt lgkmcnt(0)
	s_lshr_b32 s6, s4, 16
	s_and_b32 s4, s4, 0xffff
	s_and_b32 s5, s5, 0xffff
	s_mul_i32 s4, s6, s4
	s_delay_alu instid0(SALU_CYCLE_1) | instskip(NEXT) | instid1(SALU_CYCLE_1)
	s_mul_i32 s4, s4, s5
	s_cmpk_lg_i32 s4, 0x100
	s_cbranch_scc1 .LBB194_107
; %bb.1:
	s_clause 0x2
	s_load_b128 s[8:11], s[0:1], 0x8
	s_load_b128 s[4:7], s[0:1], 0x20
	s_load_b64 s[12:13], s[0:1], 0x30
	s_mov_b32 s16, s15
	s_waitcnt lgkmcnt(0)
	v_cmp_neq_f64_e64 s8, s[8:9], 0
	v_cmp_neq_f64_e64 s9, s[10:11], 0
	s_delay_alu instid0(VALU_DEP_1)
	s_or_b32 s15, s8, s9
	s_mov_b64 s[8:9], 0
	s_and_b32 vcc_lo, exec_lo, s15
	s_cbranch_vccnz .LBB194_3
; %bb.2:
	s_load_b128 s[20:23], s[0:1], 0x60
	s_waitcnt lgkmcnt(0)
	v_cmp_neq_f64_e64 s10, s[20:21], 1.0
	v_cmp_neq_f64_e64 s11, s[22:23], 0
	s_delay_alu instid0(VALU_DEP_1)
	s_or_b32 s10, s10, s11
	s_cbranch_execz .LBB194_4
	s_branch .LBB194_5
.LBB194_3:
	s_mov_b32 s10, 0
                                        ; implicit-def: $sgpr8_sgpr9
.LBB194_4:
	s_mov_b32 s17, 0
	s_mov_b32 s10, -1
	s_lshl_b64 s[8:9], s[16:17], 3
	s_delay_alu instid0(SALU_CYCLE_1)
	s_add_u32 s4, s4, s8
	s_addc_u32 s5, s5, s9
	s_lshl_b64 s[6:7], s[6:7], 4
	s_load_b64 s[4:5], s[4:5], 0x0
	s_waitcnt lgkmcnt(0)
	s_add_u32 s8, s4, s6
	s_addc_u32 s9, s5, s7
.LBB194_5:
	s_and_not1_b32 vcc_lo, exec_lo, s10
	s_cbranch_vccnz .LBB194_107
; %bb.6:
	s_clause 0x1
	s_load_b128 s[4:7], s[0:1], 0x40
	s_load_b64 s[10:11], s[0:1], 0x50
	v_cndmask_b32_e64 v1, 0, 1, s15
	s_and_not1_b32 vcc_lo, exec_lo, s15
	s_mov_b64 s[20:21], 0
	s_cbranch_vccnz .LBB194_8
; %bb.7:
	s_mov_b32 s17, 0
	s_delay_alu instid0(SALU_CYCLE_1)
	s_lshl_b64 s[18:19], s[16:17], 3
	s_waitcnt lgkmcnt(0)
	s_add_u32 s4, s4, s18
	s_addc_u32 s5, s5, s19
	s_lshl_b64 s[6:7], s[6:7], 4
	s_load_b64 s[4:5], s[4:5], 0x0
	s_waitcnt lgkmcnt(0)
	s_add_u32 s20, s4, s6
	s_addc_u32 s21, s5, s7
.LBB194_8:
	s_delay_alu instid0(VALU_DEP_1)
	v_cmp_ne_u32_e32 vcc_lo, 1, v1
	s_cbranch_vccnz .LBB194_107
; %bb.9:
	v_and_b32_e32 v42, 0x3ff, v0
	s_lshl_b32 s18, s14, 6
	s_load_b32 s15, s[0:1], 0x0
	s_load_b32 s17, s[2:3], 0x0
	v_bfe_u32 v138, v0, 10, 10
	v_add_nc_u32_e32 v132, s18, v42
	s_delay_alu instid0(VALU_DEP_1) | instskip(SKIP_3) | instid1(VALU_DEP_3)
	v_ashrrev_i32_e32 v133, 31, v132
	s_waitcnt lgkmcnt(0)
	v_mul_lo_u32 v3, v132, s11
	v_mad_u64_u32 v[1:2], null, v132, s10, 0
	v_mul_lo_u32 v4, v133, s10
	s_ashr_i32 s26, s15, 31
	s_delay_alu instid0(VALU_DEP_1)
	v_add3_u32 v2, v2, v3, v4
	s_lshr_b32 s2, s26, 26
	s_add_i32 s4, s17, -1
	s_add_i32 s3, s15, s2
	v_cmp_ne_u32_e64 s2, 0, v138
	v_lshlrev_b64 v[0:1], 4, v[1:2]
	s_and_not1_b32 s3, s3, 63
	s_delay_alu instid0(SALU_CYCLE_1) | instskip(SKIP_2) | instid1(VALU_DEP_2)
	s_sub_i32 s5, s15, s3
	v_cmp_eq_u32_e64 s3, 0, v138
	s_cmp_eq_u32 s14, s4
	v_add_co_u32 v36, vcc_lo, s20, v0
	v_add_co_ci_u32_e32 v37, vcc_lo, s21, v1, vcc_lo
	s_mov_b32 s4, -1
	s_cselect_b32 s20, s5, 0
	s_and_saveexec_b32 s5, s3
	s_cbranch_execz .LBB194_14
; %bb.10:
	v_cmp_le_i32_e32 vcc_lo, s20, v42
	s_cmp_lg_u32 s20, 0
	v_lshl_add_u32 v0, v42, 4, 0x4700
	s_cselect_b32 s6, -1, 0
	s_delay_alu instid0(SALU_CYCLE_1) | instskip(NEXT) | instid1(SALU_CYCLE_1)
	s_and_b32 s6, s6, vcc_lo
	s_and_saveexec_b32 s7, s6
	s_delay_alu instid0(SALU_CYCLE_1)
	s_xor_b32 s6, exec_lo, s7
	s_cbranch_execz .LBB194_12
; %bb.11:
	v_mov_b32_e32 v1, 0
	s_delay_alu instid0(VALU_DEP_1)
	v_mov_b32_e32 v2, v1
	v_mov_b32_e32 v3, v1
	;; [unrolled: 1-line block ×3, first 2 shown]
	ds_store_b128 v0, v[1:4]
                                        ; implicit-def: $vgpr0
.LBB194_12:
	s_and_not1_saveexec_b32 s6, s6
	s_cbranch_execz .LBB194_14
; %bb.13:
	flat_load_b128 v[1:4], v[36:37]
	s_waitcnt vmcnt(0) lgkmcnt(0)
	ds_store_2addr_b64 v0, v[1:2], v[3:4] offset1:1
.LBB194_14:
	s_or_b32 exec_lo, exec_lo, s5
	v_lshl_add_u32 v43, v138, 6, v42
	v_dual_mov_b32 v5, 0 :: v_dual_and_b32 v4, 31, v42
	s_ashr_i32 s19, s18, 31
	s_mul_i32 s5, s18, s13
	s_delay_alu instid0(VALU_DEP_2)
	v_lshrrev_b32_e32 v9, 5, v43
	s_lshl_b64 s[6:7], s[18:19], 4
	s_mul_hi_u32 s21, s18, s12
	s_add_u32 s8, s8, s6
	s_mul_i32 s22, s19, s12
	v_mad_u64_u32 v[0:1], null, v9, s12, v[4:5]
	s_addc_u32 s9, s9, s7
	s_add_i32 s5, s21, s5
	s_mul_i32 s6, s18, s12
	s_add_i32 s7, s5, s22
	s_delay_alu instid0(SALU_CYCLE_1) | instskip(NEXT) | instid1(VALU_DEP_1)
	s_lshl_b64 s[22:23], s[6:7], 4
	v_mad_u64_u32 v[2:3], null, v9, s13, v[1:2]
	s_add_u32 s5, s22, s8
	s_addc_u32 s6, s23, s9
	s_cmp_lg_u32 s20, 0
	s_cselect_b32 s27, -1, 0
	s_cmp_eq_u32 s20, 0
	s_delay_alu instid0(VALU_DEP_1) | instskip(SKIP_1) | instid1(VALU_DEP_1)
	v_mov_b32_e32 v1, v2
	s_cselect_b32 s9, -1, 0
	v_lshlrev_b64 v[38:39], 4, v[0:1]
	s_delay_alu instid0(VALU_DEP_1) | instskip(NEXT) | instid1(VALU_DEP_2)
	v_add_co_u32 v5, vcc_lo, s5, v38
	v_add_co_ci_u32_e32 v6, vcc_lo, s6, v39, vcc_lo
	s_and_b32 vcc_lo, exec_lo, s27
	s_cbranch_vccnz .LBB194_16
; %bb.15:
	flat_load_b128 v[0:3], v[5:6]
	v_mul_u32_u24_e32 v7, 33, v9
	s_lshl_b64 s[4:5], s[12:13], 7
	s_delay_alu instid0(VALU_DEP_1) | instskip(SKIP_2) | instid1(VALU_DEP_3)
	v_add_lshl_u32 v12, v7, v4, 4
	v_add_co_u32 v7, vcc_lo, v5, s4
	v_add_co_ci_u32_e32 v8, vcc_lo, s5, v6, vcc_lo
	v_add_nc_u32_e32 v10, 0x1080, v12
	s_waitcnt vmcnt(0) lgkmcnt(0)
	ds_store_2addr_b64 v12, v[0:1], v[2:3] offset1:1
	flat_load_b128 v[0:3], v[7:8]
	v_add_co_u32 v7, vcc_lo, v7, s4
	v_add_co_ci_u32_e32 v8, vcc_lo, s5, v8, vcc_lo
	s_mov_b32 s4, 0
	s_waitcnt vmcnt(0) lgkmcnt(0)
	ds_store_2addr_b64 v10, v[0:1], v[2:3] offset1:1
	flat_load_b128 v[0:3], v[7:8]
	v_mad_u64_u32 v[7:8], null, 0x180, s12, v[5:6]
	s_delay_alu instid0(VALU_DEP_1) | instskip(NEXT) | instid1(VALU_DEP_1)
	v_mad_u64_u32 v[10:11], null, 0x180, s13, v[8:9]
	v_dual_mov_b32 v8, v10 :: v_dual_add_nc_u32 v11, 0x2100, v12
	s_waitcnt vmcnt(0) lgkmcnt(0)
	ds_store_2addr_b64 v11, v[0:1], v[2:3] offset1:1
	flat_load_b128 v[0:3], v[7:8]
	v_add_nc_u32_e32 v7, 0x3180, v12
	s_waitcnt vmcnt(0) lgkmcnt(0)
	ds_store_2addr_b64 v7, v[0:1], v[2:3] offset1:1
.LBB194_16:
	s_and_not1_b32 vcc_lo, exec_lo, s4
	s_cbranch_vccnz .LBB194_34
; %bb.17:
	v_lshlrev_b32_e32 v2, 4, v4
	s_ashr_i32 s21, s20, 31
	v_mul_u32_u24_e32 v3, 33, v9
	s_lshl_b64 s[6:7], s[20:21], 4
	v_cmp_le_i32_e64 s4, s20, v9
	v_sub_co_u32 v0, vcc_lo, v5, v2
	v_subrev_co_ci_u32_e32 v1, vcc_lo, 0, v6, vcc_lo
	v_add_lshl_u32 v3, v3, v4, 4
	s_delay_alu instid0(VALU_DEP_3) | instskip(NEXT) | instid1(VALU_DEP_3)
	v_add_co_u32 v0, vcc_lo, v0, s6
	v_add_co_ci_u32_e32 v1, vcc_lo, s7, v1, vcc_lo
	s_delay_alu instid0(VALU_DEP_2) | instskip(NEXT) | instid1(VALU_DEP_2)
	v_add_co_u32 v0, vcc_lo, v0, -16
	v_add_co_ci_u32_e32 v1, vcc_lo, -1, v1, vcc_lo
	v_cmp_gt_i32_e32 vcc_lo, s20, v4
	s_delay_alu instid0(VALU_DEP_2) | instskip(SKIP_1) | instid1(SALU_CYCLE_1)
	v_dual_cndmask_b32 v1, v1, v6 :: v_dual_cndmask_b32 v0, v0, v5
	s_and_saveexec_b32 s5, s4
	s_xor_b32 s4, exec_lo, s5
	s_cbranch_execz .LBB194_19
; %bb.18:
	v_mov_b32_e32 v10, 0
	s_delay_alu instid0(VALU_DEP_1)
	v_mov_b32_e32 v11, v10
	v_mov_b32_e32 v12, v10
	;; [unrolled: 1-line block ×3, first 2 shown]
	ds_store_b128 v3, v[10:13]
.LBB194_19:
	s_and_not1_saveexec_b32 s4, s4
	s_cbranch_execz .LBB194_21
; %bb.20:
	flat_load_b128 v[10:13], v[0:1]
	s_waitcnt vmcnt(0) lgkmcnt(0)
	ds_store_2addr_b64 v3, v[10:11], v[12:13] offset1:1
.LBB194_21:
	s_or_b32 exec_lo, exec_lo, s4
	v_add_nc_u32_e32 v7, 8, v9
	s_delay_alu instid0(VALU_DEP_1) | instskip(NEXT) | instid1(VALU_DEP_1)
	v_cmp_le_i32_e64 s4, s20, v7
	s_and_saveexec_b32 s5, s4
	s_delay_alu instid0(SALU_CYCLE_1)
	s_xor_b32 s4, exec_lo, s5
	s_cbranch_execz .LBB194_23
; %bb.22:
	v_mul_u32_u24_e32 v7, 33, v7
	v_mov_b32_e32 v10, 0
	s_delay_alu instid0(VALU_DEP_2) | instskip(NEXT) | instid1(VALU_DEP_2)
	v_add_lshl_u32 v7, v7, v4, 4
	v_mov_b32_e32 v11, v10
	v_mov_b32_e32 v12, v10
	;; [unrolled: 1-line block ×3, first 2 shown]
	ds_store_b128 v7, v[10:13]
.LBB194_23:
	s_and_not1_saveexec_b32 s5, s4
	s_cbranch_execz .LBB194_25
; %bb.24:
	s_lshl_b64 s[24:25], s[12:13], 7
	s_delay_alu instid0(SALU_CYCLE_1) | instskip(NEXT) | instid1(VALU_DEP_1)
	v_add_co_u32 v7, s4, v0, s24
	v_add_co_ci_u32_e64 v8, s4, s25, v1, s4
	flat_load_b128 v[10:13], v[7:8]
	v_add_nc_u32_e32 v7, 0x1080, v3
	s_waitcnt vmcnt(0) lgkmcnt(0)
	ds_store_2addr_b64 v7, v[10:11], v[12:13] offset1:1
.LBB194_25:
	s_or_b32 exec_lo, exec_lo, s5
	v_add_nc_u32_e32 v7, 16, v9
	s_delay_alu instid0(VALU_DEP_1) | instskip(NEXT) | instid1(VALU_DEP_1)
	v_cmp_le_i32_e64 s4, s20, v7
	s_and_saveexec_b32 s5, s4
	s_delay_alu instid0(SALU_CYCLE_1)
	s_xor_b32 s4, exec_lo, s5
	s_cbranch_execz .LBB194_27
; %bb.26:
	v_mov_b32_e32 v10, 0
	s_delay_alu instid0(VALU_DEP_1)
	v_mov_b32_e32 v11, v10
	v_mov_b32_e32 v12, v10
	;; [unrolled: 1-line block ×3, first 2 shown]
	ds_store_b128 v3, v[10:13] offset:8448
.LBB194_27:
	s_and_not1_saveexec_b32 s5, s4
	s_cbranch_execz .LBB194_29
; %bb.28:
	s_lshl_b64 s[24:25], s[12:13], 8
	s_delay_alu instid0(SALU_CYCLE_1) | instskip(NEXT) | instid1(VALU_DEP_1)
	v_add_co_u32 v7, s4, v0, s24
	v_add_co_ci_u32_e64 v8, s4, s25, v1, s4
	flat_load_b128 v[10:13], v[7:8]
	v_add_nc_u32_e32 v7, 0x2100, v3
	s_waitcnt vmcnt(0) lgkmcnt(0)
	ds_store_2addr_b64 v7, v[10:11], v[12:13] offset1:1
.LBB194_29:
	s_or_b32 exec_lo, exec_lo, s5
	v_add_nc_u32_e32 v7, 24, v9
	s_delay_alu instid0(VALU_DEP_1) | instskip(NEXT) | instid1(VALU_DEP_1)
	v_cmp_le_i32_e64 s4, s20, v7
	s_and_saveexec_b32 s5, s4
	s_delay_alu instid0(SALU_CYCLE_1)
	s_xor_b32 s4, exec_lo, s5
	s_cbranch_execz .LBB194_31
; %bb.30:
	v_mov_b32_e32 v10, 0
	s_delay_alu instid0(VALU_DEP_1)
	v_mov_b32_e32 v11, v10
	v_mov_b32_e32 v12, v10
	;; [unrolled: 1-line block ×3, first 2 shown]
	ds_store_b128 v3, v[10:13] offset:12672
                                        ; implicit-def: $vgpr3
.LBB194_31:
	s_and_not1_saveexec_b32 s4, s4
	s_cbranch_execz .LBB194_33
; %bb.32:
	v_mad_u64_u32 v[7:8], null, 0x180, s12, v[0:1]
	v_add_nc_u32_e32 v3, 0x3180, v3
	s_delay_alu instid0(VALU_DEP_2) | instskip(NEXT) | instid1(VALU_DEP_1)
	v_mad_u64_u32 v[10:11], null, 0x180, s13, v[8:9]
	v_mov_b32_e32 v8, v10
	flat_load_b128 v[10:13], v[7:8]
	s_waitcnt vmcnt(0) lgkmcnt(0)
	ds_store_2addr_b64 v3, v[10:11], v[12:13] offset1:1
.LBB194_33:
	s_or_b32 exec_lo, exec_lo, s4
	v_add_co_u32 v0, s4, v0, v2
	s_delay_alu instid0(VALU_DEP_1) | instskip(NEXT) | instid1(VALU_DEP_2)
	v_add_co_ci_u32_e64 v1, s4, 0, v1, s4
	v_sub_co_u32 v0, s4, v0, s6
	s_delay_alu instid0(VALU_DEP_1) | instskip(NEXT) | instid1(VALU_DEP_2)
	v_subrev_co_ci_u32_e64 v1, s4, s7, v1, s4
	v_add_co_u32 v0, s4, v0, 16
	s_delay_alu instid0(VALU_DEP_1) | instskip(NEXT) | instid1(VALU_DEP_1)
	v_add_co_ci_u32_e64 v1, s4, 0, v1, s4
	v_dual_cndmask_b32 v5, v0, v5 :: v_dual_cndmask_b32 v6, v1, v6
.LBB194_34:
	v_lshlrev_b32_e32 v0, 2, v9
	v_mul_u32_u24_e32 v44, 33, v4
	v_mul_u32_u24_e32 v1, 0x84, v9
	s_waitcnt lgkmcnt(0)
	s_barrier
	v_cmp_lt_u32_e64 s5, v0, v4
	v_add_lshl_u32 v12, v0, v44, 4
	buffer_gl0_inv
	s_and_saveexec_b32 s4, s5
	s_cbranch_execz .LBB194_36
; %bb.35:
	v_add_lshl_u32 v2, v1, v4, 4
	ds_load_b128 v[13:16], v2
	s_waitcnt lgkmcnt(0)
	ds_store_b128 v12, v[13:16]
.LBB194_36:
	s_or_b32 exec_lo, exec_lo, s4
	v_or_b32_e32 v2, 1, v0
	s_delay_alu instid0(VALU_DEP_1) | instskip(NEXT) | instid1(VALU_DEP_1)
	v_cmp_lt_u32_e64 s6, v2, v4
	s_and_saveexec_b32 s4, s6
	s_cbranch_execz .LBB194_38
; %bb.37:
	v_mul_u32_u24_e32 v2, 33, v2
	s_delay_alu instid0(VALU_DEP_1)
	v_add_lshl_u32 v2, v2, v4, 4
	ds_load_b128 v[13:16], v2
	s_waitcnt lgkmcnt(0)
	ds_store_b128 v12, v[13:16] offset:16
.LBB194_38:
	s_or_b32 exec_lo, exec_lo, s4
	v_or_b32_e32 v2, 2, v0
	s_delay_alu instid0(VALU_DEP_1) | instskip(NEXT) | instid1(VALU_DEP_1)
	v_cmp_lt_u32_e64 s7, v2, v4
	s_and_saveexec_b32 s4, s7
	s_cbranch_execz .LBB194_40
; %bb.39:
	v_mul_u32_u24_e32 v2, 33, v2
	s_delay_alu instid0(VALU_DEP_1)
	v_add_lshl_u32 v2, v2, v4, 4
	ds_load_b128 v[13:16], v2
	s_waitcnt lgkmcnt(0)
	ds_store_b128 v12, v[13:16] offset:32
.LBB194_40:
	s_or_b32 exec_lo, exec_lo, s4
	v_or_b32_e32 v2, 3, v0
	s_delay_alu instid0(VALU_DEP_1) | instskip(SKIP_1) | instid1(VALU_DEP_2)
	v_mad_u32_u24 v3, v2, 33, v4
	v_cmp_lt_u32_e64 s8, v2, v4
	v_lshlrev_b32_e32 v10, 4, v3
	s_delay_alu instid0(VALU_DEP_2)
	s_and_saveexec_b32 s4, s8
	s_cbranch_execz .LBB194_42
; %bb.41:
	ds_load_b128 v[13:16], v10
	s_waitcnt lgkmcnt(0)
	ds_store_b128 v12, v[13:16] offset:48
.LBB194_42:
	s_or_b32 exec_lo, exec_lo, s4
	v_lshlrev_b32_e32 v13, 4, v0
	v_add_lshl_u32 v14, v1, v4, 4
	s_waitcnt lgkmcnt(0)
	s_barrier
	buffer_gl0_inv
	ds_load_b128 v[0:3], v13 offset:18176
	ds_load_b128 v[15:18], v14
	v_add_nc_u32_e32 v11, 0xfffffbe0, v10
	ds_load_b128 v[19:22], v11
	ds_load_b128 v[23:26], v11 offset:528
	ds_load_b128 v[27:30], v13 offset:18192
	;; [unrolled: 1-line block ×3, first 2 shown]
	v_add_lshl_u32 v45, v9, v44, 4
	v_cmp_gt_u32_e64 s4, 32, v43
	s_waitcnt lgkmcnt(4)
	v_mul_f64 v[7:8], v[2:3], v[17:18]
	v_mul_f64 v[17:18], v[0:1], v[17:18]
	s_waitcnt lgkmcnt(1)
	v_mul_f64 v[40:41], v[29:30], v[21:22]
	v_mul_f64 v[21:22], v[27:28], v[21:22]
	s_delay_alu instid0(VALU_DEP_4) | instskip(NEXT) | instid1(VALU_DEP_4)
	v_fma_f64 v[0:1], v[0:1], v[15:16], -v[7:8]
	v_fma_f64 v[2:3], v[2:3], v[15:16], v[17:18]
	s_waitcnt lgkmcnt(0)
	v_mul_f64 v[7:8], v[33:34], v[25:26]
	v_mul_f64 v[25:26], v[31:32], v[25:26]
	v_fma_f64 v[27:28], v[27:28], v[19:20], -v[40:41]
	v_fma_f64 v[19:20], v[29:30], v[19:20], v[21:22]
	v_add_f64 v[21:22], v[0:1], 0
	v_add_f64 v[29:30], v[2:3], 0
	ds_load_b128 v[0:3], v13 offset:18224
	ds_load_b128 v[15:18], v10
	v_fma_f64 v[7:8], v[31:32], v[23:24], -v[7:8]
	v_fma_f64 v[23:24], v[33:34], v[23:24], v[25:26]
	s_waitcnt lgkmcnt(0)
	s_barrier
	buffer_gl0_inv
	v_mul_f64 v[40:41], v[2:3], v[17:18]
	v_mul_f64 v[17:18], v[0:1], v[17:18]
	v_add_f64 v[21:22], v[21:22], v[27:28]
	v_add_f64 v[19:20], v[29:30], v[19:20]
	s_delay_alu instid0(VALU_DEP_4) | instskip(NEXT) | instid1(VALU_DEP_4)
	v_fma_f64 v[0:1], v[0:1], v[15:16], -v[40:41]
	v_fma_f64 v[2:3], v[2:3], v[15:16], v[17:18]
	s_delay_alu instid0(VALU_DEP_4) | instskip(NEXT) | instid1(VALU_DEP_4)
	v_add_f64 v[7:8], v[21:22], v[7:8]
	v_add_f64 v[17:18], v[19:20], v[23:24]
	s_delay_alu instid0(VALU_DEP_2) | instskip(NEXT) | instid1(VALU_DEP_2)
	v_add_f64 v[15:16], v[7:8], v[0:1]
	v_add_f64 v[17:18], v[17:18], v[2:3]
	v_mov_b32_e32 v0, 0
	v_mov_b32_e32 v1, 0
	s_delay_alu instid0(VALU_DEP_1)
	v_dual_mov_b32 v3, v1 :: v_dual_mov_b32 v2, v0
	ds_store_b128 v45, v[15:18]
	s_waitcnt lgkmcnt(0)
	s_barrier
	buffer_gl0_inv
	s_and_saveexec_b32 s21, s4
	s_cbranch_execz .LBB194_44
; %bb.43:
	v_lshlrev_b32_e32 v21, 4, v44
	ds_load_b128 v[0:3], v21
	ds_load_b128 v[15:18], v21 offset:16
	s_waitcnt lgkmcnt(0)
	v_add_f64 v[7:8], v[15:16], v[0:1]
	v_add_f64 v[19:20], v[17:18], v[2:3]
	ds_load_b128 v[0:3], v21 offset:32
	ds_load_b128 v[15:18], v21 offset:48
	s_waitcnt lgkmcnt(1)
	v_add_f64 v[0:1], v[7:8], v[0:1]
	v_add_f64 v[2:3], v[19:20], v[2:3]
	s_waitcnt lgkmcnt(0)
	s_delay_alu instid0(VALU_DEP_2) | instskip(NEXT) | instid1(VALU_DEP_2)
	v_add_f64 v[7:8], v[0:1], v[15:16]
	v_add_f64 v[19:20], v[2:3], v[17:18]
	ds_load_b128 v[0:3], v21 offset:64
	ds_load_b128 v[15:18], v21 offset:80
	s_waitcnt lgkmcnt(1)
	v_add_f64 v[0:1], v[7:8], v[0:1]
	v_add_f64 v[2:3], v[19:20], v[2:3]
	s_waitcnt lgkmcnt(0)
	s_delay_alu instid0(VALU_DEP_2) | instskip(NEXT) | instid1(VALU_DEP_2)
	;; [unrolled: 9-line block ×3, first 2 shown]
	v_add_f64 v[0:1], v[0:1], v[15:16]
	v_add_f64 v[2:3], v[2:3], v[17:18]
.LBB194_44:
	s_or_b32 exec_lo, exec_lo, s21
	s_lshl_b64 s[24:25], s[12:13], 9
	v_cndmask_b32_e64 v15, 0, 1, s9
	v_add_co_u32 v7, vcc_lo, v5, s24
	v_add_co_ci_u32_e32 v8, vcc_lo, s25, v6, vcc_lo
	s_delay_alu instid0(VALU_DEP_2) | instskip(NEXT) | instid1(VALU_DEP_2)
	v_add_co_u32 v5, vcc_lo, 0x200, v7
	v_add_co_ci_u32_e32 v6, vcc_lo, 0, v8, vcc_lo
	s_and_not1_b32 vcc_lo, exec_lo, s9
	s_barrier
	buffer_gl0_inv
	s_cbranch_vccnz .LBB194_46
; %bb.45:
	flat_load_b128 v[16:19], v[5:6]
	v_mul_u32_u24_e32 v20, 33, v9
	s_lshl_b64 s[24:25], s[12:13], 7
	s_delay_alu instid0(VALU_DEP_1) | instskip(SKIP_2) | instid1(VALU_DEP_3)
	v_add_lshl_u32 v23, v20, v4, 4
	v_add_co_u32 v20, vcc_lo, v7, s24
	v_add_co_ci_u32_e32 v21, vcc_lo, s25, v8, vcc_lo
	v_add_nc_u32_e32 v22, 0x1080, v23
	s_waitcnt vmcnt(0) lgkmcnt(0)
	ds_store_2addr_b64 v23, v[16:17], v[18:19] offset1:1
	flat_load_b128 v[16:19], v[20:21] offset:512
	v_add_co_u32 v20, vcc_lo, v20, s24
	v_add_co_ci_u32_e32 v21, vcc_lo, s25, v21, vcc_lo
	s_waitcnt vmcnt(0) lgkmcnt(0)
	ds_store_2addr_b64 v22, v[16:17], v[18:19] offset1:1
	flat_load_b128 v[16:19], v[20:21] offset:512
	v_mad_u64_u32 v[20:21], null, 0x180, s12, v[7:8]
	s_delay_alu instid0(VALU_DEP_1) | instskip(NEXT) | instid1(VALU_DEP_1)
	v_mov_b32_e32 v7, v21
	v_mad_u64_u32 v[21:22], null, 0x180, s13, v[7:8]
	v_add_nc_u32_e32 v7, 0x2100, v23
	s_waitcnt vmcnt(0) lgkmcnt(0)
	ds_store_2addr_b64 v7, v[16:17], v[18:19] offset1:1
	flat_load_b128 v[16:19], v[20:21] offset:512
	v_add_nc_u32_e32 v7, 0x3180, v23
	s_waitcnt vmcnt(0) lgkmcnt(0)
	ds_store_2addr_b64 v7, v[16:17], v[18:19] offset1:1
	s_cbranch_execz .LBB194_47
	s_branch .LBB194_64
.LBB194_46:
.LBB194_47:
	v_or_b32_e32 v7, 32, v4
	s_ashr_i32 s21, s20, 31
	v_mul_u32_u24_e32 v17, 33, v9
	s_lshl_b64 s[24:25], s[20:21], 4
	s_sub_i32 s21, s20, 32
	v_lshlrev_b32_e32 v8, 4, v7
	v_cmp_le_i32_e64 s9, s21, v9
	s_delay_alu instid0(VALU_DEP_2) | instskip(SKIP_1) | instid1(VALU_DEP_2)
	v_sub_co_u32 v8, vcc_lo, v5, v8
	v_subrev_co_ci_u32_e32 v16, vcc_lo, 0, v6, vcc_lo
	v_add_co_u32 v8, vcc_lo, v8, s24
	s_delay_alu instid0(VALU_DEP_2) | instskip(NEXT) | instid1(VALU_DEP_2)
	v_add_co_ci_u32_e32 v16, vcc_lo, s25, v16, vcc_lo
	v_add_co_u32 v18, vcc_lo, v8, -16
	s_delay_alu instid0(VALU_DEP_2) | instskip(SKIP_2) | instid1(VALU_DEP_3)
	v_add_co_ci_u32_e32 v8, vcc_lo, -1, v16, vcc_lo
	v_cmp_gt_i32_e32 vcc_lo, s20, v7
	v_add_lshl_u32 v16, v17, v4, 4
	v_dual_cndmask_b32 v7, v18, v5 :: v_dual_cndmask_b32 v8, v8, v6
	s_and_saveexec_b32 s28, s9
	s_delay_alu instid0(SALU_CYCLE_1)
	s_xor_b32 s9, exec_lo, s28
	s_cbranch_execz .LBB194_49
; %bb.48:
	v_mov_b32_e32 v17, 0
	s_delay_alu instid0(VALU_DEP_1)
	v_mov_b32_e32 v18, v17
	v_mov_b32_e32 v19, v17
	;; [unrolled: 1-line block ×3, first 2 shown]
	ds_store_b128 v16, v[17:20]
.LBB194_49:
	s_and_not1_saveexec_b32 s9, s9
	s_cbranch_execz .LBB194_51
; %bb.50:
	flat_load_b128 v[17:20], v[7:8]
	s_waitcnt vmcnt(0) lgkmcnt(0)
	ds_store_2addr_b64 v16, v[17:18], v[19:20] offset1:1
.LBB194_51:
	s_or_b32 exec_lo, exec_lo, s9
	v_add_nc_u32_e32 v17, 8, v9
	s_delay_alu instid0(VALU_DEP_1) | instskip(NEXT) | instid1(VALU_DEP_1)
	v_cmp_le_i32_e64 s9, s21, v17
	s_and_saveexec_b32 s28, s9
	s_delay_alu instid0(SALU_CYCLE_1)
	s_xor_b32 s9, exec_lo, s28
	s_cbranch_execz .LBB194_53
; %bb.52:
	v_mul_u32_u24_e32 v18, 33, v17
	v_mov_b32_e32 v17, 0
	s_delay_alu instid0(VALU_DEP_2) | instskip(NEXT) | instid1(VALU_DEP_2)
	v_add_lshl_u32 v21, v18, v4, 4
	v_mov_b32_e32 v18, v17
	v_mov_b32_e32 v19, v17
	;; [unrolled: 1-line block ×3, first 2 shown]
	ds_store_b128 v21, v[17:20]
.LBB194_53:
	s_and_not1_saveexec_b32 s28, s9
	s_cbranch_execz .LBB194_55
; %bb.54:
	s_lshl_b64 s[30:31], s[12:13], 7
	v_add_nc_u32_e32 v21, 0x1080, v16
	v_add_co_u32 v17, s9, v7, s30
	s_delay_alu instid0(VALU_DEP_1)
	v_add_co_ci_u32_e64 v18, s9, s31, v8, s9
	flat_load_b128 v[17:20], v[17:18]
	s_waitcnt vmcnt(0) lgkmcnt(0)
	ds_store_2addr_b64 v21, v[17:18], v[19:20] offset1:1
.LBB194_55:
	s_or_b32 exec_lo, exec_lo, s28
	v_add_nc_u32_e32 v17, 16, v9
	s_delay_alu instid0(VALU_DEP_1) | instskip(NEXT) | instid1(VALU_DEP_1)
	v_cmp_le_i32_e64 s9, s21, v17
	s_and_saveexec_b32 s28, s9
	s_delay_alu instid0(SALU_CYCLE_1)
	s_xor_b32 s9, exec_lo, s28
	s_cbranch_execz .LBB194_57
; %bb.56:
	v_mov_b32_e32 v17, 0
	s_delay_alu instid0(VALU_DEP_1)
	v_mov_b32_e32 v18, v17
	v_mov_b32_e32 v19, v17
	;; [unrolled: 1-line block ×3, first 2 shown]
	ds_store_b128 v16, v[17:20] offset:8448
.LBB194_57:
	s_and_not1_saveexec_b32 s28, s9
	s_cbranch_execz .LBB194_59
; %bb.58:
	s_lshl_b64 s[30:31], s[12:13], 8
	v_add_nc_u32_e32 v21, 0x2100, v16
	v_add_co_u32 v17, s9, v7, s30
	s_delay_alu instid0(VALU_DEP_1)
	v_add_co_ci_u32_e64 v18, s9, s31, v8, s9
	flat_load_b128 v[17:20], v[17:18]
	s_waitcnt vmcnt(0) lgkmcnt(0)
	ds_store_2addr_b64 v21, v[17:18], v[19:20] offset1:1
.LBB194_59:
	s_or_b32 exec_lo, exec_lo, s28
	v_add_nc_u32_e32 v17, 24, v9
	s_delay_alu instid0(VALU_DEP_1) | instskip(NEXT) | instid1(VALU_DEP_1)
	v_cmp_le_i32_e64 s9, s21, v17
	s_and_saveexec_b32 s21, s9
	s_delay_alu instid0(SALU_CYCLE_1)
	s_xor_b32 s9, exec_lo, s21
	s_cbranch_execz .LBB194_61
; %bb.60:
	v_mov_b32_e32 v17, 0
	s_delay_alu instid0(VALU_DEP_1)
	v_mov_b32_e32 v18, v17
	v_mov_b32_e32 v19, v17
	;; [unrolled: 1-line block ×3, first 2 shown]
	ds_store_b128 v16, v[17:20] offset:12672
                                        ; implicit-def: $vgpr16
.LBB194_61:
	s_and_not1_saveexec_b32 s9, s9
	s_cbranch_execz .LBB194_63
; %bb.62:
	v_mad_u64_u32 v[17:18], null, 0x180, s12, v[7:8]
	v_add_nc_u32_e32 v16, 0x3180, v16
	s_delay_alu instid0(VALU_DEP_2) | instskip(NEXT) | instid1(VALU_DEP_1)
	v_mad_u64_u32 v[19:20], null, 0x180, s13, v[18:19]
	v_mov_b32_e32 v18, v19
	flat_load_b128 v[17:20], v[17:18]
	s_waitcnt vmcnt(0) lgkmcnt(0)
	ds_store_2addr_b64 v16, v[17:18], v[19:20] offset1:1
.LBB194_63:
	s_or_b32 exec_lo, exec_lo, s9
	v_lshlrev_b32_e32 v16, 4, v4
	s_delay_alu instid0(VALU_DEP_1) | instskip(NEXT) | instid1(VALU_DEP_1)
	v_add_co_u32 v7, s9, v7, v16
	v_add_co_ci_u32_e64 v8, s9, 0, v8, s9
	s_delay_alu instid0(VALU_DEP_2) | instskip(NEXT) | instid1(VALU_DEP_1)
	v_sub_co_u32 v7, s9, v7, s24
	v_subrev_co_ci_u32_e64 v8, s9, s25, v8, s9
	s_delay_alu instid0(VALU_DEP_2) | instskip(NEXT) | instid1(VALU_DEP_1)
	v_add_co_u32 v7, s9, 0x210, v7
	v_add_co_ci_u32_e64 v8, s9, 0, v8, s9
	s_delay_alu instid0(VALU_DEP_1)
	v_dual_cndmask_b32 v5, v7, v5 :: v_dual_cndmask_b32 v6, v8, v6
.LBB194_64:
	v_add_nc_u32_e32 v13, 0x4700, v13
	v_add_nc_u32_e32 v7, 0x210, v11
	s_lshl_b64 s[24:25], s[12:13], 5
	s_waitcnt lgkmcnt(0)
	s_barrier
	buffer_gl0_inv
	s_and_saveexec_b32 s9, s5
	s_cbranch_execnz .LBB194_73
; %bb.65:
	s_or_b32 exec_lo, exec_lo, s9
	s_and_saveexec_b32 s5, s6
	s_cbranch_execnz .LBB194_74
.LBB194_66:
	s_or_b32 exec_lo, exec_lo, s5
	s_and_saveexec_b32 s5, s7
	s_cbranch_execnz .LBB194_75
.LBB194_67:
	s_or_b32 exec_lo, exec_lo, s5
	s_and_saveexec_b32 s5, s8
	s_cbranch_execz .LBB194_69
.LBB194_68:
	ds_load_b128 v[16:19], v10
	s_waitcnt lgkmcnt(0)
	ds_store_b128 v12, v[16:19] offset:48
.LBB194_69:
	s_or_b32 exec_lo, exec_lo, s5
	s_waitcnt lgkmcnt(0)
	s_barrier
	buffer_gl0_inv
	ds_load_b128 v[16:19], v13 offset:512
	ds_load_b128 v[20:23], v14
	v_cmp_eq_u32_e64 s5, 1, v9
	s_waitcnt lgkmcnt(0)
	v_mul_f64 v[7:8], v[18:19], v[22:23]
	v_mul_f64 v[34:35], v[16:17], v[22:23]
	ds_load_b128 v[22:25], v11
	ds_load_b128 v[26:29], v13 offset:528
	ds_load_b128 v[30:33], v13 offset:544
	s_waitcnt lgkmcnt(1)
	v_mul_f64 v[40:41], v[28:29], v[24:25]
	v_mul_f64 v[24:25], v[26:27], v[24:25]
	v_fma_f64 v[7:8], v[16:17], v[20:21], -v[7:8]
	v_fma_f64 v[20:21], v[18:19], v[20:21], v[34:35]
	ds_load_b128 v[16:19], v11 offset:528
	ds_load_b128 v[46:49], v10
	s_waitcnt lgkmcnt(1)
	v_mul_f64 v[10:11], v[32:33], v[18:19]
	v_mul_f64 v[34:35], v[30:31], v[18:19]
	v_fma_f64 v[26:27], v[26:27], v[22:23], -v[40:41]
	v_fma_f64 v[22:23], v[28:29], v[22:23], v[24:25]
	v_add_f64 v[7:8], v[7:8], 0
	v_add_f64 v[24:25], v[20:21], 0
	ds_load_b128 v[18:21], v13 offset:560
	s_waitcnt lgkmcnt(0)
	s_barrier
	buffer_gl0_inv
	v_fma_f64 v[10:11], v[30:31], v[16:17], -v[10:11]
	v_mul_f64 v[28:29], v[20:21], v[48:49]
	v_mul_f64 v[40:41], v[18:19], v[48:49]
	v_fma_f64 v[16:17], v[32:33], v[16:17], v[34:35]
	v_add_f64 v[7:8], v[7:8], v[26:27]
	v_add_f64 v[22:23], v[24:25], v[22:23]
	v_fma_f64 v[18:19], v[18:19], v[46:47], -v[28:29]
	v_fma_f64 v[20:21], v[20:21], v[46:47], v[40:41]
	s_delay_alu instid0(VALU_DEP_4) | instskip(NEXT) | instid1(VALU_DEP_4)
	v_add_f64 v[7:8], v[7:8], v[10:11]
	v_add_f64 v[10:11], v[22:23], v[16:17]
	s_delay_alu instid0(VALU_DEP_2) | instskip(NEXT) | instid1(VALU_DEP_2)
	v_add_f64 v[16:17], v[7:8], v[18:19]
	v_add_f64 v[18:19], v[10:11], v[20:21]
	ds_store_b128 v45, v[16:19]
	s_waitcnt lgkmcnt(0)
	s_barrier
	buffer_gl0_inv
	s_and_saveexec_b32 s6, s5
	s_cbranch_execz .LBB194_71
; %bb.70:
	v_lshlrev_b32_e32 v14, 4, v44
	ds_load_b128 v[0:3], v14
	ds_load_b128 v[16:19], v14 offset:16
	s_waitcnt lgkmcnt(0)
	v_add_f64 v[7:8], v[16:17], v[0:1]
	v_add_f64 v[10:11], v[18:19], v[2:3]
	ds_load_b128 v[0:3], v14 offset:32
	ds_load_b128 v[16:19], v14 offset:48
	s_waitcnt lgkmcnt(1)
	v_add_f64 v[0:1], v[7:8], v[0:1]
	v_add_f64 v[2:3], v[10:11], v[2:3]
	s_waitcnt lgkmcnt(0)
	s_delay_alu instid0(VALU_DEP_2) | instskip(NEXT) | instid1(VALU_DEP_2)
	v_add_f64 v[7:8], v[0:1], v[16:17]
	v_add_f64 v[10:11], v[2:3], v[18:19]
	ds_load_b128 v[0:3], v14 offset:64
	ds_load_b128 v[16:19], v14 offset:80
	s_waitcnt lgkmcnt(1)
	v_add_f64 v[0:1], v[7:8], v[0:1]
	v_add_f64 v[2:3], v[10:11], v[2:3]
	s_waitcnt lgkmcnt(0)
	s_delay_alu instid0(VALU_DEP_2) | instskip(NEXT) | instid1(VALU_DEP_2)
	;; [unrolled: 9-line block ×3, first 2 shown]
	v_add_f64 v[0:1], v[0:1], v[16:17]
	v_add_f64 v[2:3], v[2:3], v[18:19]
.LBB194_71:
	s_or_b32 exec_lo, exec_lo, s6
	s_lshl_b64 s[6:7], s[24:25], 4
	v_cmp_ne_u32_e32 vcc_lo, 1, v15
	v_sub_co_u32 v40, s6, v5, s6
	s_delay_alu instid0(VALU_DEP_1)
	v_subrev_co_ci_u32_e64 v41, s6, s7, v6, s6
	s_barrier
	buffer_gl0_inv
	s_cbranch_vccnz .LBB194_76
; %bb.72:
	flat_load_b128 v[5:8], v[40:41]
	v_mad_u32_u24 v10, v9, 33, v4
	s_lshl_b64 s[6:7], s[12:13], 7
	s_delay_alu instid0(SALU_CYCLE_1) | instskip(NEXT) | instid1(VALU_DEP_2)
	v_add_co_u32 v14, vcc_lo, v40, s6
	v_lshlrev_b32_e32 v19, 4, v10
	v_add_co_ci_u32_e32 v15, vcc_lo, s7, v41, vcc_lo
	s_delay_alu instid0(VALU_DEP_2)
	v_add_nc_u32_e32 v11, 0x1080, v19
	s_waitcnt vmcnt(0) lgkmcnt(0)
	ds_store_2addr_b64 v19, v[5:6], v[7:8] offset1:1
	flat_load_b128 v[5:8], v[14:15]
	v_add_co_u32 v14, vcc_lo, v14, s6
	v_add_co_ci_u32_e32 v15, vcc_lo, s7, v15, vcc_lo
	s_waitcnt vmcnt(0) lgkmcnt(0)
	ds_store_2addr_b64 v11, v[5:6], v[7:8] offset1:1
	flat_load_b128 v[5:8], v[14:15]
	v_mad_u64_u32 v[14:15], null, 0x180, s12, v[40:41]
	s_delay_alu instid0(VALU_DEP_1) | instskip(NEXT) | instid1(VALU_DEP_1)
	v_mov_b32_e32 v11, v15
	v_mad_u64_u32 v[15:16], null, 0x180, s13, v[11:12]
	v_add_nc_u32_e32 v11, 0x2100, v19
	v_add_nc_u32_e32 v19, 0x3180, v19
	s_waitcnt vmcnt(0) lgkmcnt(0)
	ds_store_2addr_b64 v11, v[5:6], v[7:8] offset1:1
	v_add_nc_u32_e32 v6, 0x108, v10
	flat_load_b128 v[15:18], v[14:15]
	v_add_nc_u32_e32 v7, 8, v9
	v_add_nc_u32_e32 v8, 16, v9
	v_add_nc_u32_e32 v5, 0x210, v10
	v_add_nc_u32_e32 v11, 24, v9
	v_add_nc_u32_e32 v14, 0x318, v10
	s_waitcnt vmcnt(0) lgkmcnt(0)
	ds_store_2addr_b64 v19, v[15:16], v[17:18] offset1:1
	s_cbranch_execz .LBB194_77
	s_branch .LBB194_94
.LBB194_73:
	ds_load_b128 v[16:19], v14
	s_waitcnt lgkmcnt(0)
	ds_store_b128 v12, v[16:19]
	s_or_b32 exec_lo, exec_lo, s9
	s_and_saveexec_b32 s5, s6
	s_cbranch_execz .LBB194_66
.LBB194_74:
	ds_load_b128 v[16:19], v11
	s_waitcnt lgkmcnt(0)
	ds_store_b128 v12, v[16:19] offset:16
	s_or_b32 exec_lo, exec_lo, s5
	s_and_saveexec_b32 s5, s7
	s_cbranch_execz .LBB194_67
.LBB194_75:
	ds_load_b128 v[16:19], v7
	s_waitcnt lgkmcnt(0)
	ds_store_b128 v12, v[16:19] offset:32
	s_or_b32 exec_lo, exec_lo, s5
	s_and_saveexec_b32 s5, s8
	s_cbranch_execnz .LBB194_68
	s_branch .LBB194_69
.LBB194_76:
                                        ; implicit-def: $vgpr10
                                        ; implicit-def: $vgpr7
                                        ; implicit-def: $vgpr6
                                        ; implicit-def: $vgpr8
                                        ; implicit-def: $vgpr5
                                        ; implicit-def: $vgpr11
                                        ; implicit-def: $vgpr14
.LBB194_77:
	v_or_b32_e32 v5, 32, v4
	s_ashr_i32 s21, s20, 31
	v_mad_u32_u24 v10, v9, 33, v4
	s_lshl_b64 s[8:9], s[20:21], 4
	v_cmp_le_i32_e64 s6, s20, v9
	v_lshlrev_b32_e32 v6, 4, v5
	s_delay_alu instid0(VALU_DEP_3) | instskip(NEXT) | instid1(VALU_DEP_2)
	v_lshlrev_b32_e32 v15, 4, v10
	v_sub_co_u32 v6, vcc_lo, v40, v6
	v_subrev_co_ci_u32_e32 v7, vcc_lo, 0, v41, vcc_lo
	s_delay_alu instid0(VALU_DEP_2) | instskip(NEXT) | instid1(VALU_DEP_2)
	v_add_co_u32 v6, vcc_lo, v6, s8
	v_add_co_ci_u32_e32 v7, vcc_lo, s9, v7, vcc_lo
	s_delay_alu instid0(VALU_DEP_2) | instskip(NEXT) | instid1(VALU_DEP_2)
	v_add_co_u32 v8, vcc_lo, v6, -16
	v_add_co_ci_u32_e32 v6, vcc_lo, -1, v7, vcc_lo
	v_cmp_gt_i32_e32 vcc_lo, s20, v5
	s_delay_alu instid0(VALU_DEP_2) | instskip(SKIP_1) | instid1(SALU_CYCLE_1)
	v_dual_cndmask_b32 v5, v8, v40 :: v_dual_cndmask_b32 v6, v6, v41
	s_and_saveexec_b32 s7, s6
	s_xor_b32 s6, exec_lo, s7
	s_cbranch_execz .LBB194_79
; %bb.78:
	v_mov_b32_e32 v16, 0
	s_delay_alu instid0(VALU_DEP_1)
	v_mov_b32_e32 v17, v16
	v_mov_b32_e32 v18, v16
	;; [unrolled: 1-line block ×3, first 2 shown]
	ds_store_b128 v15, v[16:19]
.LBB194_79:
	s_and_not1_saveexec_b32 s6, s6
	s_cbranch_execz .LBB194_81
; %bb.80:
	flat_load_b128 v[16:19], v[5:6]
	s_waitcnt vmcnt(0) lgkmcnt(0)
	ds_store_2addr_b64 v15, v[16:17], v[18:19] offset1:1
.LBB194_81:
	s_or_b32 exec_lo, exec_lo, s6
	v_add_nc_u32_e32 v7, 8, v9
	s_delay_alu instid0(VALU_DEP_1) | instskip(NEXT) | instid1(VALU_DEP_1)
	v_cmp_le_i32_e64 s6, s20, v7
	s_and_saveexec_b32 s7, s6
	s_delay_alu instid0(SALU_CYCLE_1)
	s_xor_b32 s6, exec_lo, s7
	s_cbranch_execz .LBB194_83
; %bb.82:
	v_mul_u32_u24_e32 v8, 33, v7
	v_mov_b32_e32 v16, 0
	s_delay_alu instid0(VALU_DEP_2) | instskip(NEXT) | instid1(VALU_DEP_2)
	v_add_lshl_u32 v8, v8, v4, 4
	v_mov_b32_e32 v17, v16
	v_mov_b32_e32 v18, v16
	;; [unrolled: 1-line block ×3, first 2 shown]
	ds_store_b128 v8, v[16:19]
.LBB194_83:
	s_and_not1_saveexec_b32 s7, s6
	s_cbranch_execz .LBB194_85
; %bb.84:
	s_lshl_b64 s[24:25], s[12:13], 7
	v_add_nc_u32_e32 v8, 0x1080, v15
	v_add_co_u32 v16, s6, v5, s24
	s_delay_alu instid0(VALU_DEP_1)
	v_add_co_ci_u32_e64 v17, s6, s25, v6, s6
	flat_load_b128 v[16:19], v[16:17]
	s_waitcnt vmcnt(0) lgkmcnt(0)
	ds_store_2addr_b64 v8, v[16:17], v[18:19] offset1:1
.LBB194_85:
	s_or_b32 exec_lo, exec_lo, s7
	v_add_nc_u32_e32 v8, 16, v9
	s_delay_alu instid0(VALU_DEP_1) | instskip(NEXT) | instid1(VALU_DEP_1)
	v_cmp_le_i32_e64 s6, s20, v8
	s_and_saveexec_b32 s7, s6
	s_delay_alu instid0(SALU_CYCLE_1)
	s_xor_b32 s6, exec_lo, s7
	s_cbranch_execz .LBB194_87
; %bb.86:
	v_mul_u32_u24_e32 v11, 33, v8
	v_mov_b32_e32 v16, 0
	s_delay_alu instid0(VALU_DEP_2) | instskip(NEXT) | instid1(VALU_DEP_2)
	v_add_lshl_u32 v11, v11, v4, 4
	v_mov_b32_e32 v17, v16
	v_mov_b32_e32 v18, v16
	;; [unrolled: 1-line block ×3, first 2 shown]
	ds_store_b128 v11, v[16:19]
.LBB194_87:
	s_and_not1_saveexec_b32 s7, s6
	s_cbranch_execz .LBB194_89
; %bb.88:
	s_lshl_b64 s[24:25], s[12:13], 8
	v_add_nc_u32_e32 v11, 0x2100, v15
	v_add_co_u32 v16, s6, v5, s24
	s_delay_alu instid0(VALU_DEP_1)
	v_add_co_ci_u32_e64 v17, s6, s25, v6, s6
	flat_load_b128 v[16:19], v[16:17]
	s_waitcnt vmcnt(0) lgkmcnt(0)
	ds_store_2addr_b64 v11, v[16:17], v[18:19] offset1:1
.LBB194_89:
	s_or_b32 exec_lo, exec_lo, s7
	v_add_nc_u32_e32 v11, 24, v9
                                        ; implicit-def: $vgpr14
	s_delay_alu instid0(VALU_DEP_1) | instskip(NEXT) | instid1(VALU_DEP_1)
	v_cmp_le_i32_e64 s6, s20, v11
	s_and_saveexec_b32 s7, s6
	s_delay_alu instid0(SALU_CYCLE_1)
	s_xor_b32 s6, exec_lo, s7
	s_cbranch_execz .LBB194_91
; %bb.90:
	v_mov_b32_e32 v16, 0
	s_delay_alu instid0(VALU_DEP_1)
	v_dual_mov_b32 v17, v16 :: v_dual_add_nc_u32 v14, 0x318, v10
	v_mov_b32_e32 v18, v16
	v_mov_b32_e32 v19, v16
	ds_store_b128 v15, v[16:19] offset:12672
                                        ; implicit-def: $vgpr15
.LBB194_91:
	s_and_not1_saveexec_b32 s6, s6
	s_cbranch_execz .LBB194_93
; %bb.92:
	v_mad_u64_u32 v[16:17], null, 0x180, s12, v[5:6]
	s_delay_alu instid0(VALU_DEP_1) | instskip(NEXT) | instid1(VALU_DEP_1)
	v_mov_b32_e32 v14, v17
	v_mad_u64_u32 v[17:18], null, 0x180, s13, v[14:15]
	v_add_nc_u32_e32 v15, 0x3180, v15
	v_add_nc_u32_e32 v14, 0x318, v10
	flat_load_b128 v[16:19], v[16:17]
	s_waitcnt vmcnt(0) lgkmcnt(0)
	ds_store_2addr_b64 v15, v[16:17], v[18:19] offset1:1
.LBB194_93:
	s_or_b32 exec_lo, exec_lo, s6
	v_lshlrev_b32_e32 v4, 4, v4
	s_delay_alu instid0(VALU_DEP_1) | instskip(NEXT) | instid1(VALU_DEP_1)
	v_add_co_u32 v4, s6, v5, v4
	v_add_co_ci_u32_e64 v5, s6, 0, v6, s6
	v_add_nc_u32_e32 v6, 0x108, v10
	s_delay_alu instid0(VALU_DEP_3) | instskip(NEXT) | instid1(VALU_DEP_1)
	v_sub_co_u32 v4, s6, v4, s8
	v_subrev_co_ci_u32_e64 v5, s6, s9, v5, s6
	s_delay_alu instid0(VALU_DEP_2) | instskip(NEXT) | instid1(VALU_DEP_1)
	v_add_co_u32 v4, s6, 0x210, v4
	v_add_co_ci_u32_e64 v5, s6, 0, v5, s6
	s_delay_alu instid0(VALU_DEP_1)
	v_dual_cndmask_b32 v40, v4, v40 :: v_dual_cndmask_b32 v41, v5, v41
	v_add_nc_u32_e32 v5, 0x210, v10
.LBB194_94:
	v_lshlrev_b32_e32 v4, 4, v9
	v_lshlrev_b32_e32 v9, 4, v10
	s_waitcnt lgkmcnt(0)
	s_barrier
	buffer_gl0_inv
	ds_load_b128 v[15:18], v4 offset:18176
	ds_load_b128 v[19:22], v9
	v_lshlrev_b32_e32 v4, 4, v7
	v_lshlrev_b32_e32 v6, 4, v6
	;; [unrolled: 1-line block ×3, first 2 shown]
	s_waitcnt lgkmcnt(0)
	v_mul_f64 v[9:10], v[17:18], v[21:22]
	v_mul_f64 v[29:30], v[15:16], v[21:22]
	ds_load_b128 v[21:24], v4 offset:18176
	ds_load_b128 v[25:28], v6
	v_lshlrev_b32_e32 v4, 4, v8
	v_lshlrev_b32_e32 v8, 4, v5
	s_waitcnt lgkmcnt(0)
	v_mul_f64 v[31:32], v[23:24], v[27:28]
	v_mul_f64 v[27:28], v[21:22], v[27:28]
	v_fma_f64 v[9:10], v[15:16], v[19:20], -v[9:10]
	v_fma_f64 v[19:20], v[17:18], v[19:20], v[29:30]
	ds_load_b128 v[4:7], v4 offset:18176
	ds_load_b128 v[15:18], v8
	v_lshlrev_b32_e32 v8, 4, v11
	s_waitcnt lgkmcnt(0)
	v_mul_f64 v[29:30], v[6:7], v[17:18]
	v_mul_f64 v[33:34], v[4:5], v[17:18]
	v_fma_f64 v[21:22], v[21:22], v[25:26], -v[31:32]
	v_fma_f64 v[23:24], v[23:24], v[25:26], v[27:28]
	v_add_f64 v[25:26], v[9:10], 0
	v_add_f64 v[27:28], v[19:20], 0
	ds_load_b128 v[8:11], v8 offset:18176
	ds_load_b128 v[17:20], v14
	s_waitcnt lgkmcnt(0)
	v_mul_f64 v[31:32], v[10:11], v[19:20]
	v_mul_f64 v[19:20], v[8:9], v[19:20]
	v_fma_f64 v[4:5], v[4:5], v[15:16], -v[29:30]
	v_fma_f64 v[6:7], v[6:7], v[15:16], v[33:34]
	v_add_f64 v[14:15], v[25:26], v[21:22]
	v_add_f64 v[21:22], v[27:28], v[23:24]
	v_fma_f64 v[8:9], v[8:9], v[17:18], -v[31:32]
	v_fma_f64 v[10:11], v[10:11], v[17:18], v[19:20]
	s_delay_alu instid0(VALU_DEP_4) | instskip(NEXT) | instid1(VALU_DEP_4)
	v_add_f64 v[4:5], v[14:15], v[4:5]
	v_add_f64 v[6:7], v[21:22], v[6:7]
	s_delay_alu instid0(VALU_DEP_2) | instskip(NEXT) | instid1(VALU_DEP_2)
	v_add_f64 v[46:47], v[4:5], v[8:9]
	v_add_f64 v[48:49], v[6:7], v[10:11]
	ds_load_b128 v[28:31], v12
	ds_load_b128 v[20:23], v12 offset:16
	ds_load_b128 v[8:11], v12 offset:32
	;; [unrolled: 1-line block ×7, first 2 shown]
	s_waitcnt lgkmcnt(0)
	s_barrier
	buffer_gl0_inv
	ds_store_b128 v45, v[46:49]
	s_waitcnt lgkmcnt(0)
	s_barrier
	buffer_gl0_inv
	s_and_saveexec_b32 s6, s5
	s_cbranch_execz .LBB194_96
; %bb.95:
	v_lshlrev_b32_e32 v54, 4, v44
	ds_load_b128 v[46:49], v54
	ds_load_b128 v[50:53], v54 offset:16
	s_waitcnt lgkmcnt(1)
	v_add_f64 v[0:1], v[0:1], v[46:47]
	v_add_f64 v[2:3], v[2:3], v[48:49]
	s_waitcnt lgkmcnt(0)
	s_delay_alu instid0(VALU_DEP_2) | instskip(NEXT) | instid1(VALU_DEP_2)
	v_add_f64 v[50:51], v[0:1], v[50:51]
	v_add_f64 v[52:53], v[2:3], v[52:53]
	ds_load_b128 v[0:3], v54 offset:32
	ds_load_b128 v[46:49], v54 offset:48
	s_waitcnt lgkmcnt(1)
	v_add_f64 v[0:1], v[50:51], v[0:1]
	v_add_f64 v[2:3], v[52:53], v[2:3]
	s_waitcnt lgkmcnt(0)
	s_delay_alu instid0(VALU_DEP_2) | instskip(NEXT) | instid1(VALU_DEP_2)
	v_add_f64 v[50:51], v[0:1], v[46:47]
	v_add_f64 v[52:53], v[2:3], v[48:49]
	ds_load_b128 v[0:3], v54 offset:64
	;; [unrolled: 9-line block ×3, first 2 shown]
	ds_load_b128 v[46:49], v54 offset:112
	s_waitcnt lgkmcnt(1)
	v_add_f64 v[0:1], v[50:51], v[0:1]
	v_add_f64 v[2:3], v[52:53], v[2:3]
	s_waitcnt lgkmcnt(0)
	s_delay_alu instid0(VALU_DEP_2) | instskip(NEXT) | instid1(VALU_DEP_2)
	v_add_f64 v[0:1], v[0:1], v[46:47]
	v_add_f64 v[2:3], v[2:3], v[48:49]
.LBB194_96:
	s_or_b32 exec_lo, exec_lo, s6
	v_mul_f64 v[46:47], v[30:31], v[34:35]
	v_mul_f64 v[34:35], v[28:29], v[34:35]
	;; [unrolled: 1-line block ×4, first 2 shown]
	s_barrier
	buffer_gl0_inv
	v_fma_f64 v[28:29], v[28:29], v[32:33], -v[46:47]
	v_fma_f64 v[30:31], v[30:31], v[32:33], v[34:35]
	v_mul_f64 v[32:33], v[10:11], v[18:19]
	v_mul_f64 v[18:19], v[8:9], v[18:19]
	v_fma_f64 v[20:21], v[20:21], v[24:25], -v[48:49]
	v_fma_f64 v[22:23], v[22:23], v[24:25], v[26:27]
	v_add_f64 v[24:25], v[28:29], 0
	v_add_f64 v[26:27], v[30:31], 0
	v_mul_f64 v[28:29], v[6:7], v[14:15]
	v_mul_f64 v[14:15], v[4:5], v[14:15]
	v_fma_f64 v[8:9], v[8:9], v[16:17], -v[32:33]
	v_fma_f64 v[10:11], v[10:11], v[16:17], v[18:19]
	v_add_f64 v[16:17], v[24:25], v[20:21]
	v_add_f64 v[18:19], v[26:27], v[22:23]
	v_fma_f64 v[4:5], v[4:5], v[12:13], -v[28:29]
	v_fma_f64 v[6:7], v[6:7], v[12:13], v[14:15]
	s_delay_alu instid0(VALU_DEP_4) | instskip(NEXT) | instid1(VALU_DEP_4)
	v_add_f64 v[8:9], v[16:17], v[8:9]
	v_add_f64 v[10:11], v[18:19], v[10:11]
	s_delay_alu instid0(VALU_DEP_2) | instskip(NEXT) | instid1(VALU_DEP_2)
	v_add_f64 v[4:5], v[8:9], v[4:5]
	v_add_f64 v[6:7], v[10:11], v[6:7]
	ds_store_b128 v45, v[4:7]
	s_waitcnt lgkmcnt(0)
	s_barrier
	buffer_gl0_inv
	s_and_saveexec_b32 s5, s4
	s_cbranch_execz .LBB194_98
; %bb.97:
	v_lshlrev_b32_e32 v12, 4, v44
	ds_load_b128 v[4:7], v12
	ds_load_b128 v[8:11], v12 offset:16
	s_waitcnt lgkmcnt(1)
	v_add_f64 v[0:1], v[0:1], v[4:5]
	v_add_f64 v[2:3], v[2:3], v[6:7]
	s_waitcnt lgkmcnt(0)
	s_delay_alu instid0(VALU_DEP_2) | instskip(NEXT) | instid1(VALU_DEP_2)
	v_add_f64 v[8:9], v[0:1], v[8:9]
	v_add_f64 v[10:11], v[2:3], v[10:11]
	ds_load_b128 v[0:3], v12 offset:32
	ds_load_b128 v[4:7], v12 offset:48
	s_waitcnt lgkmcnt(1)
	v_add_f64 v[0:1], v[8:9], v[0:1]
	v_add_f64 v[2:3], v[10:11], v[2:3]
	s_waitcnt lgkmcnt(0)
	s_delay_alu instid0(VALU_DEP_2) | instskip(NEXT) | instid1(VALU_DEP_2)
	v_add_f64 v[8:9], v[0:1], v[4:5]
	v_add_f64 v[10:11], v[2:3], v[6:7]
	ds_load_b128 v[0:3], v12 offset:64
	;; [unrolled: 9-line block ×3, first 2 shown]
	ds_load_b128 v[4:7], v12 offset:112
	s_waitcnt lgkmcnt(1)
	v_add_f64 v[0:1], v[8:9], v[0:1]
	v_add_f64 v[2:3], v[10:11], v[2:3]
	s_waitcnt lgkmcnt(0)
	s_delay_alu instid0(VALU_DEP_2) | instskip(NEXT) | instid1(VALU_DEP_2)
	v_add_f64 v[0:1], v[0:1], v[4:5]
	v_add_f64 v[2:3], v[2:3], v[6:7]
.LBB194_98:
	s_or_b32 exec_lo, exec_lo, s5
	s_load_b64 s[0:1], s[0:1], 0x78
	s_mul_hi_u32 s4, s15, s16
	s_mul_i32 s26, s26, s16
	s_mul_i32 s5, s15, s16
	s_add_i32 s4, s4, s26
	s_mul_hi_u32 s6, s5, s17
	s_mul_i32 s7, s4, s17
	s_mul_i32 s4, s5, s17
	s_add_i32 s5, s6, s7
	s_mul_i32 s6, s14, s15
	s_lshl_b64 s[4:5], s[4:5], 4
	v_cmp_le_i32_e32 vcc_lo, s20, v42
	v_lshlrev_b32_e32 v139, 4, v42
	s_waitcnt lgkmcnt(0)
	s_barrier
	buffer_gl0_inv
	s_add_u32 s4, s0, s4
	s_addc_u32 s5, s1, s5
	s_ashr_i32 s7, s6, 31
	s_delay_alu instid0(SALU_CYCLE_1) | instskip(NEXT) | instid1(SALU_CYCLE_1)
	s_lshl_b64 s[0:1], s[6:7], 4
	s_add_u32 s6, s4, s0
	s_addc_u32 s7, s5, s1
	s_and_b32 vcc_lo, s27, vcc_lo
	s_cmp_lt_i32 s14, 1
	s_cbranch_scc1 .LBB194_105
; %bb.99:
	v_dual_mov_b32 v135, 0 :: v_dual_lshlrev_b32 v8, 2, v138
	s_ashr_i32 s21, s20, 31
	s_mul_i32 s1, s18, s11
	s_lshl_b64 s[8:9], s[20:21], 4
	s_delay_alu instid0(VALU_DEP_1)
	v_mad_u64_u32 v[4:5], null, v8, s12, 0
	s_mul_hi_u32 s5, s18, s10
	v_lshlrev_b32_e32 v10, 2, v43
	s_mul_i32 s15, s19, s10
	s_add_i32 s1, s5, s1
	s_mul_i32 s4, s18, s10
	s_add_i32 s5, s1, s15
	s_delay_alu instid0(VALU_DEP_2) | instskip(SKIP_2) | instid1(VALU_DEP_1)
	v_mad_u64_u32 v[6:7], null, v8, s13, v[5:6]
	v_add_nc_u32_e32 v140, 0x4300, v139
	v_sub_co_u32 v7, s0, v40, s22
	v_subrev_co_ci_u32_e64 v8, s0, s23, v41, s0
	s_lshl_b64 s[4:5], s[4:5], 4
	s_delay_alu instid0(VALU_DEP_4) | instskip(NEXT) | instid1(VALU_DEP_3)
	v_mov_b32_e32 v5, v6
	v_sub_co_u32 v7, s0, v7, v38
	s_delay_alu instid0(VALU_DEP_1) | instskip(NEXT) | instid1(VALU_DEP_3)
	v_sub_co_ci_u32_e64 v8, s0, v8, v39, s0
	v_lshlrev_b64 v[4:5], 4, v[4:5]
	v_and_b32_e32 v10, 0x7ffc0, v10
	v_add_nc_u32_e32 v141, 0x4700, v139
	v_lshl_add_u32 v147, v138, 6, 0x4300
	v_mad_u32_u24 v148, 0x10c0, v138, v139
	s_mul_i32 s1, s13, 0xd0
	v_add_co_u32 v4, s0, v7, v4
	s_delay_alu instid0(VALU_DEP_1) | instskip(NEXT) | instid1(VALU_DEP_2)
	v_add_co_ci_u32_e64 v5, s0, v8, v5, s0
	v_add_co_u32 v4, s0, 0xfffffe00, v4
	s_delay_alu instid0(VALU_DEP_1) | instskip(NEXT) | instid1(VALU_DEP_2)
	v_add_co_ci_u32_e64 v5, s0, -1, v5, s0
	v_add_co_u32 v8, s0, v4, s8
	s_delay_alu instid0(VALU_DEP_1) | instskip(SKIP_1) | instid1(VALU_DEP_1)
	v_add_co_ci_u32_e64 v11, s0, s9, v5, s0
	v_add_co_u32 v4, s0, v4, v139
	v_add_co_ci_u32_e64 v5, s0, 0, v5, s0
	s_delay_alu instid0(VALU_DEP_4) | instskip(NEXT) | instid1(VALU_DEP_1)
	v_add_co_u32 v8, s0, v8, -16
	v_add_co_ci_u32_e64 v11, s0, -1, v11, s0
	v_and_b32_e32 v6, 48, v42
	s_delay_alu instid0(VALU_DEP_3) | instskip(NEXT) | instid1(VALU_DEP_3)
	v_dual_cndmask_b32 v4, v4, v8 :: v_dual_and_b32 v9, 15, v42
	v_cndmask_b32_e32 v5, v5, v11, vcc_lo
	v_or_b32_e32 v8, 0xf0, v139
	s_delay_alu instid0(VALU_DEP_4) | instskip(SKIP_1) | instid1(VALU_DEP_1)
	v_lshlrev_b32_e32 v7, 4, v6
	v_sub_co_u32 v142, s0, v36, s4
	v_subrev_co_ci_u32_e64 v143, s0, s5, v37, s0
	s_delay_alu instid0(VALU_DEP_3)
	v_mad_u32_u24 v144, 0x430, v9, v7
	v_and_b32_e32 v7, 0x1fff0, v43
	v_cmp_gt_u32_e64 s0, 64, v43
	v_mad_u32_u24 v145, 0x430, v9, v8
	v_mad_u32_u24 v146, 0x430, v9, v10
	v_or_b32_e32 v150, v6, v9
	v_mad_u32_u24 v149, 0x430, v9, v7
	s_mul_hi_u32 s8, s12, 0xd0
	s_lshl_b64 s[4:5], s[12:13], 4
	s_add_i32 s8, s8, s1
	s_mul_i32 s9, s12, 0xd0
	s_mov_b32 s12, 0
	s_branch .LBB194_101
.LBB194_100:                            ;   in Loop: Header=BB194_101 Depth=1
	s_or_b32 exec_lo, exec_lo, s13
	v_mul_f64 v[151:152], v[10:11], v[38:39]
	v_mul_f64 v[38:39], v[8:9], v[38:39]
	;; [unrolled: 1-line block ×4, first 2 shown]
	s_add_i32 s14, s14, -1
	s_add_i32 s12, s12, 64
	s_cmp_eq_u32 s14, 0
	s_waitcnt_vscnt null, 0x0
	s_barrier
	buffer_gl0_inv
	v_fma_f64 v[8:9], v[8:9], v[36:37], -v[151:152]
	v_fma_f64 v[10:11], v[10:11], v[36:37], v[38:39]
	v_mul_f64 v[36:37], v[14:15], v[46:47]
	v_mul_f64 v[38:39], v[12:13], v[46:47]
	v_fma_f64 v[16:17], v[16:17], v[48:49], -v[153:154]
	v_fma_f64 v[18:19], v[18:19], v[48:49], v[50:51]
	v_add_f64 v[0:1], v[0:1], v[8:9]
	v_add_f64 v[2:3], v[2:3], v[10:11]
	v_mul_f64 v[8:9], v[6:7], v[42:43]
	v_mul_f64 v[10:11], v[4:5], v[42:43]
	v_fma_f64 v[12:13], v[12:13], v[44:45], -v[36:37]
	v_fma_f64 v[14:15], v[14:15], v[44:45], v[38:39]
	v_add_f64 v[0:1], v[0:1], v[16:17]
	v_add_f64 v[2:3], v[2:3], v[18:19]
	v_mul_f64 v[16:17], v[34:35], v[74:75]
	v_mul_f64 v[18:19], v[32:33], v[74:75]
	v_fma_f64 v[4:5], v[4:5], v[40:41], -v[8:9]
	v_fma_f64 v[6:7], v[6:7], v[40:41], v[10:11]
	v_mul_f64 v[8:9], v[30:31], v[82:83]
	v_mul_f64 v[10:11], v[28:29], v[82:83]
	v_add_f64 v[0:1], v[0:1], v[12:13]
	v_add_f64 v[2:3], v[2:3], v[14:15]
	v_fma_f64 v[12:13], v[32:33], v[72:73], -v[16:17]
	v_fma_f64 v[14:15], v[34:35], v[72:73], v[18:19]
	v_fma_f64 v[8:9], v[28:29], v[80:81], -v[8:9]
	v_fma_f64 v[10:11], v[30:31], v[80:81], v[10:11]
	v_add_f64 v[0:1], v[0:1], v[4:5]
	v_add_f64 v[2:3], v[2:3], v[6:7]
	v_mul_f64 v[4:5], v[26:27], v[78:79]
	v_mul_f64 v[6:7], v[24:25], v[78:79]
	s_delay_alu instid0(VALU_DEP_4) | instskip(NEXT) | instid1(VALU_DEP_4)
	v_add_f64 v[0:1], v[0:1], v[12:13]
	v_add_f64 v[2:3], v[2:3], v[14:15]
	v_mul_f64 v[12:13], v[22:23], v[70:71]
	v_mul_f64 v[14:15], v[20:21], v[70:71]
	v_fma_f64 v[4:5], v[24:25], v[76:77], -v[4:5]
	v_fma_f64 v[6:7], v[26:27], v[76:77], v[6:7]
	v_add_f64 v[0:1], v[0:1], v[8:9]
	v_add_f64 v[2:3], v[2:3], v[10:11]
	v_mul_f64 v[8:9], v[66:67], v[102:103]
	v_mul_f64 v[10:11], v[64:65], v[102:103]
	v_fma_f64 v[12:13], v[20:21], v[68:69], -v[12:13]
	v_fma_f64 v[14:15], v[22:23], v[68:69], v[14:15]
	;; [unrolled: 6-line block ×9, first 2 shown]
	v_add_f64 v[0:1], v[0:1], v[12:13]
	v_add_f64 v[2:3], v[2:3], v[14:15]
	v_fma_f64 v[4:5], v[104:105], v[120:121], -v[4:5]
	v_fma_f64 v[6:7], v[106:107], v[120:121], v[6:7]
	s_delay_alu instid0(VALU_DEP_4) | instskip(NEXT) | instid1(VALU_DEP_4)
	v_add_f64 v[0:1], v[0:1], v[8:9]
	v_add_f64 v[2:3], v[2:3], v[10:11]
	s_delay_alu instid0(VALU_DEP_2) | instskip(NEXT) | instid1(VALU_DEP_2)
	v_add_f64 v[0:1], v[0:1], v[4:5]
	v_add_f64 v[2:3], v[2:3], v[6:7]
	v_add_co_u32 v4, s1, v136, s9
	s_delay_alu instid0(VALU_DEP_1)
	v_add_co_ci_u32_e64 v5, s1, s8, v137, s1
	s_cbranch_scc1 .LBB194_105
.LBB194_101:                            ; =>This Inner Loop Header: Depth=1
	s_and_saveexec_b32 s13, s3
	s_cbranch_execz .LBB194_103
; %bb.102:                              ;   in Loop: Header=BB194_101 Depth=1
	s_mul_i32 s1, s12, s11
	s_mul_hi_u32 s15, s12, s10
	s_mul_i32 s16, s12, s10
	s_add_i32 s17, s15, s1
	s_delay_alu instid0(SALU_CYCLE_1) | instskip(NEXT) | instid1(SALU_CYCLE_1)
	s_lshl_b64 s[16:17], s[16:17], 4
	v_add_co_u32 v6, s1, v142, s16
	s_delay_alu instid0(VALU_DEP_1)
	v_add_co_ci_u32_e64 v7, s1, s17, v143, s1
	flat_load_b128 v[6:9], v[6:7]
	s_waitcnt vmcnt(0) lgkmcnt(0)
	ds_store_2addr_b64 v140, v[6:7], v[8:9] offset1:1
.LBB194_103:                            ;   in Loop: Header=BB194_101 Depth=1
	s_or_b32 exec_lo, exec_lo, s13
	v_add_co_u32 v6, s1, v4, s4
	s_delay_alu instid0(VALU_DEP_1) | instskip(SKIP_1) | instid1(VALU_DEP_2)
	v_add_co_ci_u32_e64 v7, s1, s5, v5, s1
	s_waitcnt lgkmcnt(0)
	v_add_co_u32 v12, s1, v6, s4
	s_delay_alu instid0(VALU_DEP_1) | instskip(SKIP_1) | instid1(VALU_DEP_2)
	v_add_co_ci_u32_e64 v13, s1, s5, v7, s1
	s_barrier
	v_add_co_u32 v34, s1, v12, s4
	buffer_gl0_inv
	flat_load_b128 v[8:11], v[4:5]
	v_add_co_ci_u32_e64 v35, s1, s5, v13, s1
	s_clause 0x2
	flat_load_b128 v[16:19], v[6:7]
	flat_load_b128 v[12:15], v[12:13]
	;; [unrolled: 1-line block ×3, first 2 shown]
	ds_load_b128 v[20:23], v141
	s_waitcnt vmcnt(3) lgkmcnt(0)
	v_mul_f64 v[24:25], v[10:11], v[22:23]
	v_mul_f64 v[26:27], v[8:9], v[22:23]
	s_waitcnt vmcnt(2)
	v_mul_f64 v[28:29], v[18:19], v[22:23]
	v_mul_f64 v[30:31], v[16:17], v[22:23]
	s_waitcnt vmcnt(1)
	;; [unrolled: 3-line block ×3, first 2 shown]
	v_mul_f64 v[38:39], v[6:7], v[22:23]
	v_mul_f64 v[40:41], v[4:5], v[22:23]
	v_fma_f64 v[22:23], v[8:9], v[20:21], -v[24:25]
	v_fma_f64 v[24:25], v[10:11], v[20:21], v[26:27]
	v_fma_f64 v[26:27], v[16:17], v[20:21], -v[28:29]
	v_fma_f64 v[28:29], v[18:19], v[20:21], v[30:31]
	;; [unrolled: 2-line block ×4, first 2 shown]
	v_add_co_u32 v20, s1, v34, s9
	s_delay_alu instid0(VALU_DEP_1) | instskip(SKIP_2) | instid1(VALU_DEP_1)
	v_add_co_ci_u32_e64 v21, s1, s8, v35, s1
	ds_load_b128 v[36:39], v147
	v_add_co_u32 v56, s1, v20, s4
	v_add_co_ci_u32_e64 v57, s1, s5, v21, s1
	s_delay_alu instid0(VALU_DEP_2) | instskip(NEXT) | instid1(VALU_DEP_1)
	v_add_co_u32 v58, s1, v56, s4
	v_add_co_ci_u32_e64 v59, s1, s5, v57, s1
	s_delay_alu instid0(VALU_DEP_2) | instskip(NEXT) | instid1(VALU_DEP_1)
	v_add_co_u32 v66, s1, v58, s4
	v_add_co_ci_u32_e64 v67, s1, s5, v59, s1
	ds_store_b128 v148, v[22:25]
	ds_load_b128 v[48:51], v147 offset:16
	ds_store_b128 v148, v[26:29] offset:1072
	ds_load_b128 v[44:47], v147 offset:32
	ds_store_b128 v148, v[30:33] offset:2144
	;; [unrolled: 2-line block ×3, first 2 shown]
	s_waitcnt lgkmcnt(0)
	s_barrier
	buffer_gl0_inv
	ds_load_b128 v[84:87], v146
	ds_load_b128 v[88:91], v146 offset:16
	ds_load_b128 v[116:119], v146 offset:32
	;; [unrolled: 1-line block ×3, first 2 shown]
	s_waitcnt lgkmcnt(0)
	s_barrier
	buffer_gl0_inv
	s_clause 0x2
	flat_load_b128 v[32:35], v[20:21]
	flat_load_b128 v[28:31], v[56:57]
	;; [unrolled: 1-line block ×4, first 2 shown]
	ds_load_b128 v[52:55], v141
	v_add_f64 v[159:160], v[84:85], 0
	v_add_f64 v[161:162], v[86:87], 0
	s_delay_alu instid0(VALU_DEP_2) | instskip(NEXT) | instid1(VALU_DEP_2)
	v_add_f64 v[169:170], v[159:160], v[88:89]
	v_add_f64 v[171:172], v[161:162], v[90:91]
	s_waitcnt vmcnt(2) lgkmcnt(0)
	v_mul_f64 v[60:61], v[30:31], v[54:55]
	v_mul_f64 v[56:57], v[34:35], v[54:55]
	;; [unrolled: 1-line block ×4, first 2 shown]
	s_waitcnt vmcnt(1)
	v_mul_f64 v[64:65], v[26:27], v[54:55]
	v_mul_f64 v[68:69], v[24:25], v[54:55]
	s_waitcnt vmcnt(0)
	v_mul_f64 v[70:71], v[22:23], v[54:55]
	v_mul_f64 v[72:73], v[20:21], v[54:55]
	v_fma_f64 v[54:55], v[32:33], v[52:53], -v[56:57]
	v_fma_f64 v[56:57], v[34:35], v[52:53], v[58:59]
	v_fma_f64 v[58:59], v[28:29], v[52:53], -v[60:61]
	v_fma_f64 v[60:61], v[30:31], v[52:53], v[62:63]
	;; [unrolled: 2-line block ×4, first 2 shown]
	v_add_co_u32 v52, s1, v66, s9
	s_delay_alu instid0(VALU_DEP_1) | instskip(SKIP_2) | instid1(VALU_DEP_1)
	v_add_co_ci_u32_e64 v53, s1, s8, v67, s1
	ds_load_b128 v[72:75], v147 offset:256
	v_add_co_u32 v96, s1, v52, s4
	v_add_co_ci_u32_e64 v97, s1, s5, v53, s1
	s_delay_alu instid0(VALU_DEP_2) | instskip(NEXT) | instid1(VALU_DEP_1)
	v_add_co_u32 v98, s1, v96, s4
	v_add_co_ci_u32_e64 v99, s1, s5, v97, s1
	s_delay_alu instid0(VALU_DEP_2) | instskip(NEXT) | instid1(VALU_DEP_1)
	v_add_co_u32 v100, s1, v98, s4
	v_add_co_ci_u32_e64 v101, s1, s5, v99, s1
	ds_store_b128 v148, v[54:57]
	ds_load_b128 v[80:83], v147 offset:272
	ds_store_b128 v148, v[58:61] offset:1072
	ds_load_b128 v[76:79], v147 offset:288
	ds_store_b128 v148, v[62:65] offset:2144
	;; [unrolled: 2-line block ×3, first 2 shown]
	s_waitcnt lgkmcnt(0)
	s_barrier
	buffer_gl0_inv
	ds_load_b128 v[92:95], v146
	ds_load_b128 v[120:123], v146 offset:16
	ds_load_b128 v[124:127], v146 offset:32
	;; [unrolled: 1-line block ×3, first 2 shown]
	s_waitcnt lgkmcnt(0)
	s_barrier
	buffer_gl0_inv
	flat_load_b128 v[64:67], v[52:53]
	flat_load_b128 v[60:63], v[96:97]
	;; [unrolled: 1-line block ×4, first 2 shown]
	ds_load_b128 v[96:99], v141
	v_add_f64 v[92:93], v[92:93], 0
	v_add_f64 v[94:95], v[94:95], 0
	s_delay_alu instid0(VALU_DEP_2) | instskip(NEXT) | instid1(VALU_DEP_2)
	v_add_f64 v[120:121], v[92:93], v[120:121]
	v_add_f64 v[122:123], v[94:95], v[122:123]
	s_delay_alu instid0(VALU_DEP_2) | instskip(NEXT) | instid1(VALU_DEP_2)
	v_add_f64 v[120:121], v[120:121], v[124:125]
	v_add_f64 v[122:123], v[122:123], v[126:127]
	s_delay_alu instid0(VALU_DEP_1)
	v_add_f64 v[173:174], v[122:123], v[130:131]
	s_waitcnt vmcnt(2) lgkmcnt(0)
	v_mul_f64 v[110:111], v[62:63], v[98:99]
	v_mul_f64 v[102:103], v[66:67], v[98:99]
	;; [unrolled: 1-line block ×4, first 2 shown]
	s_waitcnt vmcnt(1)
	v_mul_f64 v[114:115], v[58:59], v[98:99]
	v_mul_f64 v[136:137], v[56:57], v[98:99]
	s_waitcnt vmcnt(0)
	v_mul_f64 v[155:156], v[54:55], v[98:99]
	v_mul_f64 v[98:99], v[52:53], v[98:99]
	v_fma_f64 v[84:85], v[64:65], v[96:97], -v[102:103]
	v_fma_f64 v[86:87], v[66:67], v[96:97], v[108:109]
	v_fma_f64 v[108:109], v[60:61], v[96:97], -v[110:111]
	v_fma_f64 v[110:111], v[62:63], v[96:97], v[112:113]
	;; [unrolled: 2-line block ×4, first 2 shown]
	v_add_co_u32 v136, s1, v100, s9
	s_delay_alu instid0(VALU_DEP_1) | instskip(SKIP_2) | instid1(VALU_DEP_1)
	v_add_co_ci_u32_e64 v137, s1, s8, v101, s1
	ds_load_b128 v[100:103], v147 offset:512
	v_add_co_u32 v167, s1, v136, s4
	v_add_co_ci_u32_e64 v168, s1, s5, v137, s1
	s_delay_alu instid0(VALU_DEP_2) | instskip(NEXT) | instid1(VALU_DEP_1)
	v_add_co_u32 v175, s1, v167, s4
	v_add_co_ci_u32_e64 v176, s1, s5, v168, s1
	ds_store_b128 v148, v[84:87]
	ds_load_b128 v[112:115], v147 offset:528
	ds_store_b128 v148, v[108:111] offset:1072
	ds_load_b128 v[108:111], v147 offset:544
	ds_store_b128 v148, v[151:154] offset:2144
	;; [unrolled: 2-line block ×3, first 2 shown]
	s_waitcnt lgkmcnt(0)
	s_barrier
	buffer_gl0_inv
	ds_load_b128 v[151:154], v146
	ds_load_b128 v[155:158], v146 offset:16
	ds_load_b128 v[159:162], v146 offset:32
	;; [unrolled: 1-line block ×3, first 2 shown]
	s_waitcnt lgkmcnt(0)
	s_barrier
	buffer_gl0_inv
	flat_load_b128 v[88:91], v[136:137]
	v_add_f64 v[136:137], v[169:170], v[116:117]
	v_add_f64 v[169:170], v[171:172], v[118:119]
	ds_load_b128 v[116:119], v141
	flat_load_b128 v[84:87], v[167:168]
	flat_load_b128 v[92:95], v[175:176]
	v_add_f64 v[171:172], v[120:121], v[128:129]
	v_add_f64 v[167:168], v[136:137], v[104:105]
	;; [unrolled: 1-line block ×3, first 2 shown]
	v_add_co_u32 v136, s1, v175, s4
	s_delay_alu instid0(VALU_DEP_1)
	v_add_co_ci_u32_e64 v137, s1, s5, v176, s1
	s_waitcnt vmcnt(2) lgkmcnt(2)
	v_mul_f64 v[104:105], v[90:91], v[118:119]
	v_mul_f64 v[106:107], v[88:89], v[118:119]
	s_waitcnt vmcnt(1) lgkmcnt(1)
	v_mul_f64 v[124:125], v[86:87], v[118:119]
	s_waitcnt vmcnt(0) lgkmcnt(0)
	v_mul_f64 v[128:129], v[94:95], v[118:119]
	v_mul_f64 v[126:127], v[84:85], v[118:119]
	;; [unrolled: 1-line block ×3, first 2 shown]
	v_fma_f64 v[120:121], v[88:89], v[116:117], -v[104:105]
	v_fma_f64 v[122:123], v[90:91], v[116:117], v[106:107]
	flat_load_b128 v[104:107], v[136:137]
	v_fma_f64 v[124:125], v[84:85], v[116:117], -v[124:125]
	v_fma_f64 v[175:176], v[92:93], v[116:117], -v[128:129]
	v_fma_f64 v[126:127], v[86:87], v[116:117], v[126:127]
	v_fma_f64 v[177:178], v[94:95], v[116:117], v[130:131]
	s_waitcnt vmcnt(0) lgkmcnt(0)
	v_mul_f64 v[128:129], v[106:107], v[118:119]
	v_mul_f64 v[118:119], v[104:105], v[118:119]
	s_delay_alu instid0(VALU_DEP_2) | instskip(NEXT) | instid1(VALU_DEP_2)
	v_fma_f64 v[179:180], v[104:105], v[116:117], -v[128:129]
	v_fma_f64 v[181:182], v[106:107], v[116:117], v[118:119]
	v_add_f64 v[116:117], v[151:152], 0
	v_add_f64 v[118:119], v[153:154], 0
	s_delay_alu instid0(VALU_DEP_2) | instskip(NEXT) | instid1(VALU_DEP_2)
	v_add_f64 v[155:156], v[116:117], v[155:156]
	v_add_f64 v[157:158], v[118:119], v[157:158]
	ds_load_b128 v[116:119], v147 offset:768
	ds_store_b128 v148, v[120:123]
	ds_load_b128 v[128:131], v147 offset:784
	ds_store_b128 v148, v[124:127] offset:1072
	ds_load_b128 v[124:127], v147 offset:800
	ds_store_b128 v148, v[175:178] offset:2144
	;; [unrolled: 2-line block ×3, first 2 shown]
	s_waitcnt lgkmcnt(0)
	s_barrier
	buffer_gl0_inv
	ds_load_b128 v[151:154], v146
	s_waitcnt lgkmcnt(0)
	v_add_f64 v[175:176], v[151:152], 0
	v_add_f64 v[177:178], v[153:154], 0
	ds_load_b128 v[151:154], v146 offset:16
	v_add_f64 v[155:156], v[155:156], v[159:160]
	v_add_f64 v[157:158], v[157:158], v[161:162]
	s_waitcnt lgkmcnt(0)
	v_add_f64 v[175:176], v[175:176], v[151:152]
	v_add_f64 v[177:178], v[177:178], v[153:154]
	ds_load_b128 v[151:154], v146 offset:32
	s_waitcnt lgkmcnt(0)
	v_add_f64 v[159:160], v[175:176], v[151:152]
	v_add_f64 v[161:162], v[177:178], v[153:154]
	;; [unrolled: 1-line block ×4, first 2 shown]
	ds_load_b128 v[155:158], v146 offset:48
	s_waitcnt lgkmcnt(0)
	s_barrier
	buffer_gl0_inv
	v_add_f64 v[155:156], v[159:160], v[155:156]
	v_add_f64 v[157:158], v[161:162], v[157:158]
	ds_store_b128 v149, v[167:170]
	ds_store_b128 v149, v[171:174] offset:256
	ds_store_b128 v149, v[151:154] offset:512
	;; [unrolled: 1-line block ×3, first 2 shown]
	s_waitcnt lgkmcnt(0)
	s_barrier
	buffer_gl0_inv
	s_and_saveexec_b32 s13, s0
	s_cbranch_execz .LBB194_100
; %bb.104:                              ;   in Loop: Header=BB194_101 Depth=1
	ds_load_b128 v[151:154], v144
	ds_load_b128 v[155:158], v144 offset:16
	v_add_nc_u32_e32 v134, s12, v150
	s_waitcnt lgkmcnt(0)
	v_add_f64 v[159:160], v[155:156], v[151:152]
	v_add_f64 v[161:162], v[157:158], v[153:154]
	ds_load_b128 v[151:154], v144 offset:32
	ds_load_b128 v[155:158], v144 offset:48
	s_waitcnt lgkmcnt(1)
	v_add_f64 v[151:152], v[159:160], v[151:152]
	v_add_f64 v[153:154], v[161:162], v[153:154]
	s_waitcnt lgkmcnt(0)
	s_delay_alu instid0(VALU_DEP_2) | instskip(NEXT) | instid1(VALU_DEP_2)
	v_add_f64 v[159:160], v[151:152], v[155:156]
	v_add_f64 v[161:162], v[153:154], v[157:158]
	ds_load_b128 v[151:154], v144 offset:64
	ds_load_b128 v[155:158], v144 offset:80
	s_waitcnt lgkmcnt(1)
	v_add_f64 v[151:152], v[159:160], v[151:152]
	v_add_f64 v[153:154], v[161:162], v[153:154]
	s_waitcnt lgkmcnt(0)
	s_delay_alu instid0(VALU_DEP_2) | instskip(NEXT) | instid1(VALU_DEP_2)
	;; [unrolled: 9-line block ×6, first 2 shown]
	v_add_f64 v[159:160], v[151:152], v[155:156]
	v_add_f64 v[161:162], v[153:154], v[157:158]
	ds_load_b128 v[151:154], v144 offset:224
	ds_load_b128 v[155:158], v145
	s_waitcnt lgkmcnt(1)
	v_add_f64 v[151:152], v[159:160], v[151:152]
	v_add_f64 v[153:154], v[161:162], v[153:154]
	s_waitcnt lgkmcnt(0)
	s_delay_alu instid0(VALU_DEP_2) | instskip(NEXT) | instid1(VALU_DEP_2)
	v_add_f64 v[151:152], v[151:152], v[155:156]
	v_add_f64 v[153:154], v[153:154], v[157:158]
	v_lshlrev_b64 v[155:156], 4, v[134:135]
	s_delay_alu instid0(VALU_DEP_1) | instskip(NEXT) | instid1(VALU_DEP_1)
	v_add_co_u32 v155, s1, s6, v155
	v_add_co_ci_u32_e64 v156, s1, s7, v156, s1
	global_store_b128 v[155:156], v[151:154], off
	s_branch .LBB194_100
.LBB194_105:
	v_mad_u32_u24 v4, 0x430, v138, v139
	s_or_b32 s0, s2, vcc_lo
	s_delay_alu instid0(SALU_CYCLE_1)
	s_xor_b32 s0, s0, -1
	ds_store_b128 v4, v[0:3]
	s_waitcnt lgkmcnt(0)
	s_barrier
	buffer_gl0_inv
	s_and_saveexec_b32 s1, s0
	s_cbranch_execz .LBB194_107
; %bb.106:
	ds_load_b128 v[0:3], v139 offset:1072
	ds_load_b128 v[4:7], v139
	s_waitcnt lgkmcnt(0)
	v_add_f64 v[8:9], v[0:1], v[4:5]
	v_add_f64 v[10:11], v[2:3], v[6:7]
	ds_load_b128 v[0:3], v139 offset:2144
	ds_load_b128 v[4:7], v139 offset:3216
	s_waitcnt lgkmcnt(1)
	v_add_f64 v[0:1], v[8:9], v[0:1]
	v_add_f64 v[2:3], v[10:11], v[2:3]
	s_waitcnt lgkmcnt(0)
	s_delay_alu instid0(VALU_DEP_2) | instskip(NEXT) | instid1(VALU_DEP_2)
	v_add_f64 v[0:1], v[0:1], v[4:5]
	v_add_f64 v[2:3], v[2:3], v[6:7]
	v_lshlrev_b64 v[4:5], 4, v[132:133]
	s_delay_alu instid0(VALU_DEP_1) | instskip(NEXT) | instid1(VALU_DEP_2)
	v_add_co_u32 v4, vcc_lo, s6, v4
	v_add_co_ci_u32_e32 v5, vcc_lo, s7, v5, vcc_lo
	global_store_b128 v[4:5], v[0:3], off
.LBB194_107:
	s_nop 0
	s_sendmsg sendmsg(MSG_DEALLOC_VGPRS)
	s_endpgm
	.section	.rodata,"a",@progbits
	.p2align	6, 0x0
	.amdhsa_kernel _ZL26rocblas_hemvn_kernel_lowerILb0ELi64ELi4ELi33ELi32ELi16El19rocblas_complex_numIdEPKPKS1_PS1_EviT6_lT7_lT5_lS8_lS9_lS7_lT8_i
		.amdhsa_group_segment_fixed_size 19200
		.amdhsa_private_segment_fixed_size 0
		.amdhsa_kernarg_size 392
		.amdhsa_user_sgpr_count 14
		.amdhsa_user_sgpr_dispatch_ptr 0
		.amdhsa_user_sgpr_queue_ptr 0
		.amdhsa_user_sgpr_kernarg_segment_ptr 1
		.amdhsa_user_sgpr_dispatch_id 0
		.amdhsa_user_sgpr_private_segment_size 0
		.amdhsa_wavefront_size32 1
		.amdhsa_uses_dynamic_stack 0
		.amdhsa_enable_private_segment 0
		.amdhsa_system_sgpr_workgroup_id_x 1
		.amdhsa_system_sgpr_workgroup_id_y 0
		.amdhsa_system_sgpr_workgroup_id_z 1
		.amdhsa_system_sgpr_workgroup_info 0
		.amdhsa_system_vgpr_workitem_id 1
		.amdhsa_next_free_vgpr 183
		.amdhsa_next_free_sgpr 32
		.amdhsa_reserve_vcc 1
		.amdhsa_float_round_mode_32 0
		.amdhsa_float_round_mode_16_64 0
		.amdhsa_float_denorm_mode_32 3
		.amdhsa_float_denorm_mode_16_64 3
		.amdhsa_dx10_clamp 1
		.amdhsa_ieee_mode 1
		.amdhsa_fp16_overflow 0
		.amdhsa_workgroup_processor_mode 1
		.amdhsa_memory_ordered 1
		.amdhsa_forward_progress 0
		.amdhsa_shared_vgpr_count 0
		.amdhsa_exception_fp_ieee_invalid_op 0
		.amdhsa_exception_fp_denorm_src 0
		.amdhsa_exception_fp_ieee_div_zero 0
		.amdhsa_exception_fp_ieee_overflow 0
		.amdhsa_exception_fp_ieee_underflow 0
		.amdhsa_exception_fp_ieee_inexact 0
		.amdhsa_exception_int_div_zero 0
	.end_amdhsa_kernel
	.section	.text._ZL26rocblas_hemvn_kernel_lowerILb0ELi64ELi4ELi33ELi32ELi16El19rocblas_complex_numIdEPKPKS1_PS1_EviT6_lT7_lT5_lS8_lS9_lS7_lT8_i,"axG",@progbits,_ZL26rocblas_hemvn_kernel_lowerILb0ELi64ELi4ELi33ELi32ELi16El19rocblas_complex_numIdEPKPKS1_PS1_EviT6_lT7_lT5_lS8_lS9_lS7_lT8_i,comdat
.Lfunc_end194:
	.size	_ZL26rocblas_hemvn_kernel_lowerILb0ELi64ELi4ELi33ELi32ELi16El19rocblas_complex_numIdEPKPKS1_PS1_EviT6_lT7_lT5_lS8_lS9_lS7_lT8_i, .Lfunc_end194-_ZL26rocblas_hemvn_kernel_lowerILb0ELi64ELi4ELi33ELi32ELi16El19rocblas_complex_numIdEPKPKS1_PS1_EviT6_lT7_lT5_lS8_lS9_lS7_lT8_i
                                        ; -- End function
	.section	.AMDGPU.csdata,"",@progbits
; Kernel info:
; codeLenInByte = 10364
; NumSgprs: 34
; NumVgprs: 183
; ScratchSize: 0
; MemoryBound: 0
; FloatMode: 240
; IeeeMode: 1
; LDSByteSize: 19200 bytes/workgroup (compile time only)
; SGPRBlocks: 4
; VGPRBlocks: 22
; NumSGPRsForWavesPerEU: 34
; NumVGPRsForWavesPerEU: 183
; Occupancy: 8
; WaveLimiterHint : 0
; COMPUTE_PGM_RSRC2:SCRATCH_EN: 0
; COMPUTE_PGM_RSRC2:USER_SGPR: 14
; COMPUTE_PGM_RSRC2:TRAP_HANDLER: 0
; COMPUTE_PGM_RSRC2:TGID_X_EN: 1
; COMPUTE_PGM_RSRC2:TGID_Y_EN: 0
; COMPUTE_PGM_RSRC2:TGID_Z_EN: 1
; COMPUTE_PGM_RSRC2:TIDIG_COMP_CNT: 1
	.section	.text._ZL26rocblas_hemvn_kernel_lowerILb0ELi64ELi4ELi33ELi32ELi16Ei19rocblas_complex_numIdEPKPKS1_PS1_EviT6_lT7_lT5_lS8_lS9_lS7_lT8_i,"axG",@progbits,_ZL26rocblas_hemvn_kernel_lowerILb0ELi64ELi4ELi33ELi32ELi16Ei19rocblas_complex_numIdEPKPKS1_PS1_EviT6_lT7_lT5_lS8_lS9_lS7_lT8_i,comdat
	.globl	_ZL26rocblas_hemvn_kernel_lowerILb0ELi64ELi4ELi33ELi32ELi16Ei19rocblas_complex_numIdEPKPKS1_PS1_EviT6_lT7_lT5_lS8_lS9_lS7_lT8_i ; -- Begin function _ZL26rocblas_hemvn_kernel_lowerILb0ELi64ELi4ELi33ELi32ELi16Ei19rocblas_complex_numIdEPKPKS1_PS1_EviT6_lT7_lT5_lS8_lS9_lS7_lT8_i
	.p2align	8
	.type	_ZL26rocblas_hemvn_kernel_lowerILb0ELi64ELi4ELi33ELi32ELi16Ei19rocblas_complex_numIdEPKPKS1_PS1_EviT6_lT7_lT5_lS8_lS9_lS7_lT8_i,@function
_ZL26rocblas_hemvn_kernel_lowerILb0ELi64ELi4ELi33ELi32ELi16Ei19rocblas_complex_numIdEPKPKS1_PS1_EviT6_lT7_lT5_lS8_lS9_lS7_lT8_i: ; @_ZL26rocblas_hemvn_kernel_lowerILb0ELi64ELi4ELi33ELi32ELi16Ei19rocblas_complex_numIdEPKPKS1_PS1_EviT6_lT7_lT5_lS8_lS9_lS7_lT8_i
; %bb.0:
	s_load_b64 s[4:5], s[0:1], 0x94
	s_add_u32 s2, s0, 0x88
	s_addc_u32 s3, s1, 0
	s_waitcnt lgkmcnt(0)
	s_lshr_b32 s6, s4, 16
	s_and_b32 s4, s4, 0xffff
	s_and_b32 s5, s5, 0xffff
	s_mul_i32 s4, s6, s4
	s_delay_alu instid0(SALU_CYCLE_1) | instskip(NEXT) | instid1(SALU_CYCLE_1)
	s_mul_i32 s4, s4, s5
	s_cmpk_lg_i32 s4, 0x100
	s_cbranch_scc1 .LBB195_107
; %bb.1:
	s_load_b128 s[4:7], s[0:1], 0x8
	s_mov_b32 s10, s15
	s_waitcnt lgkmcnt(0)
	v_cmp_neq_f64_e64 s4, s[4:5], 0
	v_cmp_neq_f64_e64 s5, s[6:7], 0
	s_delay_alu instid0(VALU_DEP_1)
	s_or_b32 s6, s4, s5
	s_mov_b64 s[4:5], 0
	s_and_b32 vcc_lo, exec_lo, s6
	s_cbranch_vccnz .LBB195_3
; %bb.2:
	s_load_b128 s[16:19], s[0:1], 0x60
	s_waitcnt lgkmcnt(0)
	v_cmp_neq_f64_e64 s7, s[16:17], 1.0
	v_cmp_neq_f64_e64 s8, s[18:19], 0
	s_delay_alu instid0(VALU_DEP_1)
	s_or_b32 s7, s7, s8
	s_cbranch_execz .LBB195_4
	s_branch .LBB195_5
.LBB195_3:
	s_mov_b32 s7, 0
                                        ; implicit-def: $sgpr4_sgpr5
.LBB195_4:
	s_load_b128 s[16:19], s[0:1], 0x20
	s_mov_b32 s11, 0
	s_mov_b32 s7, -1
	s_lshl_b64 s[4:5], s[10:11], 3
	s_waitcnt lgkmcnt(0)
	s_add_u32 s4, s16, s4
	s_addc_u32 s5, s17, s5
	s_lshl_b64 s[8:9], s[18:19], 4
	s_load_b64 s[4:5], s[4:5], 0x0
	s_waitcnt lgkmcnt(0)
	s_add_u32 s4, s4, s8
	s_addc_u32 s5, s5, s9
.LBB195_5:
	s_and_not1_b32 vcc_lo, exec_lo, s7
	s_cbranch_vccnz .LBB195_107
; %bb.6:
	v_cndmask_b32_e64 v1, 0, 1, s6
	s_and_not1_b32 vcc_lo, exec_lo, s6
	s_mov_b64 s[6:7], 0
	s_cbranch_vccnz .LBB195_8
; %bb.7:
	s_load_b128 s[16:19], s[0:1], 0x40
	s_mov_b32 s11, 0
	s_delay_alu instid0(SALU_CYCLE_1)
	s_lshl_b64 s[6:7], s[10:11], 3
	s_waitcnt lgkmcnt(0)
	s_add_u32 s6, s16, s6
	s_addc_u32 s7, s17, s7
	s_lshl_b64 s[8:9], s[18:19], 4
	s_load_b64 s[6:7], s[6:7], 0x0
	s_waitcnt lgkmcnt(0)
	s_add_u32 s6, s6, s8
	s_addc_u32 s7, s7, s9
.LBB195_8:
	s_delay_alu instid0(VALU_DEP_1)
	v_cmp_ne_u32_e32 vcc_lo, 1, v1
	s_cbranch_vccnz .LBB195_107
; %bb.9:
	s_clause 0x1
	s_load_b32 s11, s[0:1], 0x50
	s_load_b32 s15, s[0:1], 0x0
	v_and_b32_e32 v42, 0x3ff, v0
	s_lshl_b32 s18, s14, 6
	s_load_b32 s26, s[2:3], 0x0
	v_bfe_u32 v149, v0, 10, 10
	s_delay_alu instid0(VALU_DEP_2) | instskip(SKIP_1) | instid1(VALU_DEP_1)
	v_add_nc_u32_e32 v144, s18, v42
	s_waitcnt lgkmcnt(0)
	v_mul_lo_u32 v1, v144, s11
	s_ashr_i32 s27, s15, 31
	s_delay_alu instid0(SALU_CYCLE_1) | instskip(SKIP_4) | instid1(VALU_DEP_2)
	s_lshr_b32 s2, s27, 26
	s_add_i32 s8, s26, -1
	s_add_i32 s3, s15, s2
	v_cmp_ne_u32_e64 s2, 0, v149
	s_and_not1_b32 s3, s3, 63
	v_ashrrev_i32_e32 v2, 31, v1
	s_sub_i32 s9, s15, s3
	v_cmp_eq_u32_e64 s3, 0, v149
	s_cmp_eq_u32 s14, s8
	s_cselect_b32 s12, s9, 0
	v_lshlrev_b64 v[0:1], 4, v[1:2]
	s_delay_alu instid0(VALU_DEP_1) | instskip(NEXT) | instid1(VALU_DEP_2)
	v_add_co_u32 v36, vcc_lo, s6, v0
	v_add_co_ci_u32_e32 v37, vcc_lo, s7, v1, vcc_lo
	s_mov_b32 s6, -1
	s_and_saveexec_b32 s7, s3
	s_cbranch_execz .LBB195_14
; %bb.10:
	v_cmp_le_i32_e32 vcc_lo, s12, v42
	s_cmp_lg_u32 s12, 0
	v_lshl_add_u32 v0, v42, 4, 0x4700
	s_cselect_b32 s8, -1, 0
	s_delay_alu instid0(SALU_CYCLE_1) | instskip(NEXT) | instid1(SALU_CYCLE_1)
	s_and_b32 s8, s8, vcc_lo
	s_and_saveexec_b32 s9, s8
	s_delay_alu instid0(SALU_CYCLE_1)
	s_xor_b32 s8, exec_lo, s9
	s_cbranch_execz .LBB195_12
; %bb.11:
	v_mov_b32_e32 v1, 0
	s_delay_alu instid0(VALU_DEP_1)
	v_mov_b32_e32 v2, v1
	v_mov_b32_e32 v3, v1
	;; [unrolled: 1-line block ×3, first 2 shown]
	ds_store_b128 v0, v[1:4]
                                        ; implicit-def: $vgpr0
.LBB195_12:
	s_and_not1_saveexec_b32 s8, s8
	s_cbranch_execz .LBB195_14
; %bb.13:
	flat_load_b128 v[1:4], v[36:37]
	s_waitcnt vmcnt(0) lgkmcnt(0)
	ds_store_2addr_b64 v0, v[1:2], v[3:4] offset1:1
.LBB195_14:
	s_or_b32 exec_lo, exec_lo, s7
	s_load_b32 s16, s[0:1], 0x30
	v_lshl_add_u32 v43, v149, 6, v42
	v_and_b32_e32 v4, 31, v42
	s_ashr_i32 s19, s18, 31
	s_delay_alu instid0(SALU_CYCLE_1) | instskip(NEXT) | instid1(VALU_DEP_2)
	s_lshl_b64 s[8:9], s[18:19], 4
	v_lshrrev_b32_e32 v9, 5, v43
	s_add_u32 s7, s4, s8
	s_addc_u32 s8, s5, s9
	s_waitcnt lgkmcnt(0)
	s_delay_alu instid0(VALU_DEP_1) | instskip(SKIP_1) | instid1(SALU_CYCLE_1)
	v_mad_u64_u32 v[0:1], null, v9, s16, v[4:5]
	s_mul_i32 s4, s18, s16
	s_ashr_i32 s5, s4, 31
	s_delay_alu instid0(SALU_CYCLE_1) | instskip(NEXT) | instid1(SALU_CYCLE_1)
	s_lshl_b64 s[20:21], s[4:5], 4
	s_add_u32 s4, s20, s7
	s_delay_alu instid0(VALU_DEP_1) | instskip(SKIP_3) | instid1(VALU_DEP_1)
	v_ashrrev_i32_e32 v1, 31, v0
	s_addc_u32 s5, s21, s8
	s_cmp_lg_u32 s12, 0
	s_cselect_b32 s19, -1, 0
	v_lshlrev_b64 v[38:39], 4, v[0:1]
	s_cmp_eq_u32 s12, 0
	s_cselect_b32 s9, -1, 0
	s_delay_alu instid0(VALU_DEP_1) | instskip(NEXT) | instid1(VALU_DEP_2)
	v_add_co_u32 v5, vcc_lo, s4, v38
	v_add_co_ci_u32_e32 v6, vcc_lo, s5, v39, vcc_lo
	s_and_b32 vcc_lo, exec_lo, s19
	s_cbranch_vccnz .LBB195_16
; %bb.15:
	flat_load_b128 v[0:3], v[5:6]
	s_lshl_b32 s4, s16, 3
	v_mul_u32_u24_e32 v7, 33, v9
	s_ashr_i32 s5, s4, 31
	s_ashr_i32 s17, s16, 31
	s_lshl_b64 s[4:5], s[4:5], 4
	s_mov_b32 s6, 0
	v_add_lshl_u32 v10, v7, v4, 4
	v_add_co_u32 v7, vcc_lo, v5, s4
	v_add_co_ci_u32_e32 v8, vcc_lo, s5, v6, vcc_lo
	s_lshl_b64 s[4:5], s[16:17], 7
	s_delay_alu instid0(VALU_DEP_3)
	v_add_nc_u32_e32 v11, 0x1080, v10
	s_waitcnt vmcnt(0) lgkmcnt(0)
	ds_store_2addr_b64 v10, v[0:1], v[2:3] offset1:1
	flat_load_b128 v[0:3], v[7:8]
	v_add_co_u32 v7, vcc_lo, v7, s4
	v_add_co_ci_u32_e32 v8, vcc_lo, s5, v8, vcc_lo
	s_waitcnt vmcnt(0) lgkmcnt(0)
	ds_store_2addr_b64 v11, v[0:1], v[2:3] offset1:1
	flat_load_b128 v[0:3], v[7:8]
	v_add_co_u32 v7, vcc_lo, v7, s4
	v_add_nc_u32_e32 v11, 0x2100, v10
	v_add_co_ci_u32_e32 v8, vcc_lo, s5, v8, vcc_lo
	s_waitcnt vmcnt(0) lgkmcnt(0)
	ds_store_2addr_b64 v11, v[0:1], v[2:3] offset1:1
	flat_load_b128 v[0:3], v[7:8]
	v_add_nc_u32_e32 v7, 0x3180, v10
	s_waitcnt vmcnt(0) lgkmcnt(0)
	ds_store_2addr_b64 v7, v[0:1], v[2:3] offset1:1
.LBB195_16:
	s_and_not1_b32 vcc_lo, exec_lo, s6
	s_cbranch_vccnz .LBB195_34
; %bb.17:
	v_lshlrev_b32_e32 v2, 4, v4
	s_ashr_i32 s13, s12, 31
	v_mul_u32_u24_e32 v3, 33, v9
	s_lshl_b64 s[6:7], s[12:13], 4
	v_cmp_le_i32_e64 s4, s12, v9
	v_sub_co_u32 v0, vcc_lo, v5, v2
	v_subrev_co_ci_u32_e32 v1, vcc_lo, 0, v6, vcc_lo
	v_add_lshl_u32 v3, v3, v4, 4
	s_delay_alu instid0(VALU_DEP_3) | instskip(NEXT) | instid1(VALU_DEP_3)
	v_add_co_u32 v0, vcc_lo, v0, s6
	v_add_co_ci_u32_e32 v1, vcc_lo, s7, v1, vcc_lo
	s_delay_alu instid0(VALU_DEP_2) | instskip(NEXT) | instid1(VALU_DEP_2)
	v_add_co_u32 v0, vcc_lo, v0, -16
	v_add_co_ci_u32_e32 v1, vcc_lo, -1, v1, vcc_lo
	v_cmp_gt_i32_e32 vcc_lo, s12, v4
	s_delay_alu instid0(VALU_DEP_2) | instskip(SKIP_1) | instid1(SALU_CYCLE_1)
	v_dual_cndmask_b32 v1, v1, v6 :: v_dual_cndmask_b32 v0, v0, v5
	s_and_saveexec_b32 s5, s4
	s_xor_b32 s4, exec_lo, s5
	s_cbranch_execz .LBB195_19
; %bb.18:
	v_mov_b32_e32 v10, 0
	s_delay_alu instid0(VALU_DEP_1)
	v_mov_b32_e32 v11, v10
	v_mov_b32_e32 v12, v10
	;; [unrolled: 1-line block ×3, first 2 shown]
	ds_store_b128 v3, v[10:13]
.LBB195_19:
	s_and_not1_saveexec_b32 s4, s4
	s_cbranch_execz .LBB195_21
; %bb.20:
	flat_load_b128 v[10:13], v[0:1]
	s_waitcnt vmcnt(0) lgkmcnt(0)
	ds_store_2addr_b64 v3, v[10:11], v[12:13] offset1:1
.LBB195_21:
	s_or_b32 exec_lo, exec_lo, s4
	v_add_nc_u32_e32 v7, 8, v9
	s_delay_alu instid0(VALU_DEP_1) | instskip(NEXT) | instid1(VALU_DEP_1)
	v_cmp_le_i32_e64 s4, s12, v7
	s_and_saveexec_b32 s5, s4
	s_delay_alu instid0(SALU_CYCLE_1)
	s_xor_b32 s4, exec_lo, s5
	s_cbranch_execz .LBB195_23
; %bb.22:
	v_mul_u32_u24_e32 v7, 33, v7
	v_mov_b32_e32 v10, 0
	s_delay_alu instid0(VALU_DEP_2) | instskip(NEXT) | instid1(VALU_DEP_2)
	v_add_lshl_u32 v7, v7, v4, 4
	v_mov_b32_e32 v11, v10
	v_mov_b32_e32 v12, v10
	v_mov_b32_e32 v13, v10
	ds_store_b128 v7, v[10:13]
.LBB195_23:
	s_and_not1_saveexec_b32 s5, s4
	s_cbranch_execz .LBB195_25
; %bb.24:
	s_lshl_b32 s22, s16, 3
	s_delay_alu instid0(SALU_CYCLE_1) | instskip(NEXT) | instid1(SALU_CYCLE_1)
	s_ashr_i32 s23, s22, 31
	s_lshl_b64 s[22:23], s[22:23], 4
	s_delay_alu instid0(SALU_CYCLE_1) | instskip(NEXT) | instid1(VALU_DEP_1)
	v_add_co_u32 v7, s4, v0, s22
	v_add_co_ci_u32_e64 v8, s4, s23, v1, s4
	flat_load_b128 v[10:13], v[7:8]
	v_add_nc_u32_e32 v7, 0x1080, v3
	s_waitcnt vmcnt(0) lgkmcnt(0)
	ds_store_2addr_b64 v7, v[10:11], v[12:13] offset1:1
.LBB195_25:
	s_or_b32 exec_lo, exec_lo, s5
	v_add_nc_u32_e32 v7, 16, v9
	s_delay_alu instid0(VALU_DEP_1) | instskip(NEXT) | instid1(VALU_DEP_1)
	v_cmp_le_i32_e64 s4, s12, v7
	s_and_saveexec_b32 s5, s4
	s_delay_alu instid0(SALU_CYCLE_1)
	s_xor_b32 s4, exec_lo, s5
	s_cbranch_execz .LBB195_27
; %bb.26:
	v_mul_u32_u24_e32 v7, 33, v7
	v_mov_b32_e32 v10, 0
	s_delay_alu instid0(VALU_DEP_2) | instskip(NEXT) | instid1(VALU_DEP_2)
	v_add_lshl_u32 v7, v7, v4, 4
	v_mov_b32_e32 v11, v10
	v_mov_b32_e32 v12, v10
	;; [unrolled: 1-line block ×3, first 2 shown]
	ds_store_b128 v7, v[10:13]
.LBB195_27:
	s_and_not1_saveexec_b32 s5, s4
	s_cbranch_execz .LBB195_29
; %bb.28:
	s_lshl_b32 s22, s16, 4
	s_delay_alu instid0(SALU_CYCLE_1) | instskip(NEXT) | instid1(SALU_CYCLE_1)
	s_ashr_i32 s23, s22, 31
	s_lshl_b64 s[22:23], s[22:23], 4
	s_delay_alu instid0(SALU_CYCLE_1) | instskip(NEXT) | instid1(VALU_DEP_1)
	v_add_co_u32 v7, s4, v0, s22
	v_add_co_ci_u32_e64 v8, s4, s23, v1, s4
	flat_load_b128 v[10:13], v[7:8]
	v_add_nc_u32_e32 v7, 0x2100, v3
	s_waitcnt vmcnt(0) lgkmcnt(0)
	ds_store_2addr_b64 v7, v[10:11], v[12:13] offset1:1
.LBB195_29:
	s_or_b32 exec_lo, exec_lo, s5
	v_add_nc_u32_e32 v7, 24, v9
	s_delay_alu instid0(VALU_DEP_1) | instskip(NEXT) | instid1(VALU_DEP_1)
	v_cmp_le_i32_e64 s4, s12, v7
	s_and_saveexec_b32 s5, s4
	s_delay_alu instid0(SALU_CYCLE_1)
	s_xor_b32 s4, exec_lo, s5
	s_cbranch_execz .LBB195_31
; %bb.30:
	v_mov_b32_e32 v10, 0
	s_delay_alu instid0(VALU_DEP_1)
	v_mov_b32_e32 v11, v10
	v_mov_b32_e32 v12, v10
	;; [unrolled: 1-line block ×3, first 2 shown]
	ds_store_b128 v3, v[10:13] offset:12672
                                        ; implicit-def: $vgpr3
.LBB195_31:
	s_and_not1_saveexec_b32 s5, s4
	s_cbranch_execz .LBB195_33
; %bb.32:
	s_mul_i32 s22, s16, 24
	v_add_nc_u32_e32 v3, 0x3180, v3
	s_ashr_i32 s23, s22, 31
	s_delay_alu instid0(SALU_CYCLE_1) | instskip(NEXT) | instid1(SALU_CYCLE_1)
	s_lshl_b64 s[22:23], s[22:23], 4
	v_add_co_u32 v7, s4, v0, s22
	s_delay_alu instid0(VALU_DEP_1)
	v_add_co_ci_u32_e64 v8, s4, s23, v1, s4
	flat_load_b128 v[10:13], v[7:8]
	s_waitcnt vmcnt(0) lgkmcnt(0)
	ds_store_2addr_b64 v3, v[10:11], v[12:13] offset1:1
.LBB195_33:
	s_or_b32 exec_lo, exec_lo, s5
	v_add_co_u32 v0, s4, v0, v2
	s_delay_alu instid0(VALU_DEP_1) | instskip(NEXT) | instid1(VALU_DEP_2)
	v_add_co_ci_u32_e64 v1, s4, 0, v1, s4
	v_sub_co_u32 v0, s4, v0, s6
	s_delay_alu instid0(VALU_DEP_1) | instskip(NEXT) | instid1(VALU_DEP_2)
	v_subrev_co_ci_u32_e64 v1, s4, s7, v1, s4
	v_add_co_u32 v0, s4, v0, 16
	s_delay_alu instid0(VALU_DEP_1) | instskip(NEXT) | instid1(VALU_DEP_1)
	v_add_co_ci_u32_e64 v1, s4, 0, v1, s4
	v_dual_cndmask_b32 v5, v0, v5 :: v_dual_cndmask_b32 v6, v1, v6
.LBB195_34:
	v_lshlrev_b32_e32 v0, 2, v9
	v_mul_u32_u24_e32 v44, 33, v4
	v_mul_u32_u24_e32 v1, 0x84, v9
	s_waitcnt lgkmcnt(0)
	s_barrier
	v_cmp_lt_u32_e64 s5, v0, v4
	v_add_lshl_u32 v12, v0, v44, 4
	buffer_gl0_inv
	s_and_saveexec_b32 s4, s5
	s_cbranch_execz .LBB195_36
; %bb.35:
	v_add_lshl_u32 v2, v1, v4, 4
	ds_load_b128 v[13:16], v2
	s_waitcnt lgkmcnt(0)
	ds_store_b128 v12, v[13:16]
.LBB195_36:
	s_or_b32 exec_lo, exec_lo, s4
	v_or_b32_e32 v2, 1, v0
	s_delay_alu instid0(VALU_DEP_1) | instskip(NEXT) | instid1(VALU_DEP_1)
	v_cmp_lt_u32_e64 s6, v2, v4
	s_and_saveexec_b32 s4, s6
	s_cbranch_execz .LBB195_38
; %bb.37:
	v_mul_u32_u24_e32 v2, 33, v2
	s_delay_alu instid0(VALU_DEP_1)
	v_add_lshl_u32 v2, v2, v4, 4
	ds_load_b128 v[13:16], v2
	s_waitcnt lgkmcnt(0)
	ds_store_b128 v12, v[13:16] offset:16
.LBB195_38:
	s_or_b32 exec_lo, exec_lo, s4
	v_or_b32_e32 v2, 2, v0
	s_delay_alu instid0(VALU_DEP_1) | instskip(NEXT) | instid1(VALU_DEP_1)
	v_cmp_lt_u32_e64 s7, v2, v4
	s_and_saveexec_b32 s4, s7
	s_cbranch_execz .LBB195_40
; %bb.39:
	v_mul_u32_u24_e32 v2, 33, v2
	s_delay_alu instid0(VALU_DEP_1)
	v_add_lshl_u32 v2, v2, v4, 4
	ds_load_b128 v[13:16], v2
	s_waitcnt lgkmcnt(0)
	ds_store_b128 v12, v[13:16] offset:32
.LBB195_40:
	s_or_b32 exec_lo, exec_lo, s4
	v_or_b32_e32 v2, 3, v0
	s_delay_alu instid0(VALU_DEP_1) | instskip(SKIP_1) | instid1(VALU_DEP_2)
	v_mad_u32_u24 v3, v2, 33, v4
	v_cmp_lt_u32_e64 s8, v2, v4
	v_lshlrev_b32_e32 v10, 4, v3
	s_delay_alu instid0(VALU_DEP_2)
	s_and_saveexec_b32 s4, s8
	s_cbranch_execz .LBB195_42
; %bb.41:
	ds_load_b128 v[13:16], v10
	s_waitcnt lgkmcnt(0)
	ds_store_b128 v12, v[13:16] offset:48
.LBB195_42:
	s_or_b32 exec_lo, exec_lo, s4
	v_lshlrev_b32_e32 v13, 4, v0
	v_add_lshl_u32 v14, v1, v4, 4
	s_waitcnt lgkmcnt(0)
	s_barrier
	buffer_gl0_inv
	ds_load_b128 v[0:3], v13 offset:18176
	ds_load_b128 v[15:18], v14
	v_add_nc_u32_e32 v11, 0xfffffbe0, v10
	ds_load_b128 v[19:22], v11
	ds_load_b128 v[23:26], v11 offset:528
	ds_load_b128 v[27:30], v13 offset:18192
	;; [unrolled: 1-line block ×3, first 2 shown]
	v_add_lshl_u32 v45, v9, v44, 4
	v_cmp_gt_u32_e64 s4, 32, v43
	s_waitcnt lgkmcnt(4)
	v_mul_f64 v[7:8], v[2:3], v[17:18]
	v_mul_f64 v[17:18], v[0:1], v[17:18]
	s_waitcnt lgkmcnt(1)
	v_mul_f64 v[40:41], v[29:30], v[21:22]
	v_mul_f64 v[21:22], v[27:28], v[21:22]
	s_delay_alu instid0(VALU_DEP_4) | instskip(NEXT) | instid1(VALU_DEP_4)
	v_fma_f64 v[0:1], v[0:1], v[15:16], -v[7:8]
	v_fma_f64 v[2:3], v[2:3], v[15:16], v[17:18]
	s_waitcnt lgkmcnt(0)
	v_mul_f64 v[7:8], v[33:34], v[25:26]
	v_mul_f64 v[25:26], v[31:32], v[25:26]
	v_fma_f64 v[27:28], v[27:28], v[19:20], -v[40:41]
	v_fma_f64 v[19:20], v[29:30], v[19:20], v[21:22]
	v_add_f64 v[21:22], v[0:1], 0
	v_add_f64 v[29:30], v[2:3], 0
	ds_load_b128 v[0:3], v13 offset:18224
	ds_load_b128 v[15:18], v10
	v_fma_f64 v[7:8], v[31:32], v[23:24], -v[7:8]
	v_fma_f64 v[23:24], v[33:34], v[23:24], v[25:26]
	s_waitcnt lgkmcnt(0)
	s_barrier
	buffer_gl0_inv
	v_mul_f64 v[40:41], v[2:3], v[17:18]
	v_mul_f64 v[17:18], v[0:1], v[17:18]
	v_add_f64 v[21:22], v[21:22], v[27:28]
	v_add_f64 v[19:20], v[29:30], v[19:20]
	s_delay_alu instid0(VALU_DEP_4) | instskip(NEXT) | instid1(VALU_DEP_4)
	v_fma_f64 v[0:1], v[0:1], v[15:16], -v[40:41]
	v_fma_f64 v[2:3], v[2:3], v[15:16], v[17:18]
	s_delay_alu instid0(VALU_DEP_4) | instskip(NEXT) | instid1(VALU_DEP_4)
	v_add_f64 v[7:8], v[21:22], v[7:8]
	v_add_f64 v[17:18], v[19:20], v[23:24]
	s_delay_alu instid0(VALU_DEP_2) | instskip(NEXT) | instid1(VALU_DEP_2)
	v_add_f64 v[15:16], v[7:8], v[0:1]
	v_add_f64 v[17:18], v[17:18], v[2:3]
	v_mov_b32_e32 v0, 0
	v_mov_b32_e32 v1, 0
	s_delay_alu instid0(VALU_DEP_1)
	v_dual_mov_b32 v3, v1 :: v_dual_mov_b32 v2, v0
	ds_store_b128 v45, v[15:18]
	s_waitcnt lgkmcnt(0)
	s_barrier
	buffer_gl0_inv
	s_and_saveexec_b32 s13, s4
	s_cbranch_execz .LBB195_44
; %bb.43:
	v_lshlrev_b32_e32 v21, 4, v44
	ds_load_b128 v[0:3], v21
	ds_load_b128 v[15:18], v21 offset:16
	s_waitcnt lgkmcnt(0)
	v_add_f64 v[7:8], v[15:16], v[0:1]
	v_add_f64 v[19:20], v[17:18], v[2:3]
	ds_load_b128 v[0:3], v21 offset:32
	ds_load_b128 v[15:18], v21 offset:48
	s_waitcnt lgkmcnt(1)
	v_add_f64 v[0:1], v[7:8], v[0:1]
	v_add_f64 v[2:3], v[19:20], v[2:3]
	s_waitcnt lgkmcnt(0)
	s_delay_alu instid0(VALU_DEP_2) | instskip(NEXT) | instid1(VALU_DEP_2)
	v_add_f64 v[7:8], v[0:1], v[15:16]
	v_add_f64 v[19:20], v[2:3], v[17:18]
	ds_load_b128 v[0:3], v21 offset:64
	ds_load_b128 v[15:18], v21 offset:80
	s_waitcnt lgkmcnt(1)
	v_add_f64 v[0:1], v[7:8], v[0:1]
	v_add_f64 v[2:3], v[19:20], v[2:3]
	s_waitcnt lgkmcnt(0)
	s_delay_alu instid0(VALU_DEP_2) | instskip(NEXT) | instid1(VALU_DEP_2)
	v_add_f64 v[7:8], v[0:1], v[15:16]
	v_add_f64 v[19:20], v[2:3], v[17:18]
	ds_load_b128 v[0:3], v21 offset:96
	ds_load_b128 v[15:18], v21 offset:112
	s_waitcnt lgkmcnt(1)
	v_add_f64 v[0:1], v[7:8], v[0:1]
	v_add_f64 v[2:3], v[19:20], v[2:3]
	s_waitcnt lgkmcnt(0)
	s_delay_alu instid0(VALU_DEP_2) | instskip(NEXT) | instid1(VALU_DEP_2)
	v_add_f64 v[0:1], v[0:1], v[15:16]
	v_add_f64 v[2:3], v[2:3], v[17:18]
.LBB195_44:
	s_or_b32 exec_lo, exec_lo, s13
	s_lshl_b32 s22, s16, 5
	v_cndmask_b32_e64 v15, 0, 1, s9
	s_ashr_i32 s23, s22, 31
	s_delay_alu instid0(SALU_CYCLE_1)
	s_lshl_b64 s[22:23], s[22:23], 4
	s_barrier
	v_add_co_u32 v7, vcc_lo, v5, s22
	v_add_co_ci_u32_e32 v8, vcc_lo, s23, v6, vcc_lo
	buffer_gl0_inv
	v_add_co_u32 v5, vcc_lo, 0x200, v7
	v_add_co_ci_u32_e32 v6, vcc_lo, 0, v8, vcc_lo
	s_and_not1_b32 vcc_lo, exec_lo, s9
	s_cbranch_vccnz .LBB195_46
; %bb.45:
	flat_load_b128 v[16:19], v[5:6]
	s_lshl_b32 s24, s16, 3
	v_mul_u32_u24_e32 v20, 33, v9
	s_ashr_i32 s25, s24, 31
	s_ashr_i32 s17, s16, 31
	s_lshl_b64 s[24:25], s[24:25], 4
	s_delay_alu instid0(SALU_CYCLE_1) | instskip(SKIP_3) | instid1(VALU_DEP_2)
	v_add_co_u32 v7, vcc_lo, v7, s24
	v_add_lshl_u32 v20, v20, v4, 4
	v_add_co_ci_u32_e32 v8, vcc_lo, s25, v8, vcc_lo
	s_lshl_b64 s[24:25], s[16:17], 7
	v_add_nc_u32_e32 v21, 0x1080, v20
	s_waitcnt vmcnt(0) lgkmcnt(0)
	ds_store_2addr_b64 v20, v[16:17], v[18:19] offset1:1
	flat_load_b128 v[16:19], v[7:8] offset:512
	v_add_co_u32 v7, vcc_lo, v7, s24
	v_add_co_ci_u32_e32 v8, vcc_lo, s25, v8, vcc_lo
	s_waitcnt vmcnt(0) lgkmcnt(0)
	ds_store_2addr_b64 v21, v[16:17], v[18:19] offset1:1
	flat_load_b128 v[16:19], v[7:8] offset:512
	v_add_co_u32 v7, vcc_lo, v7, s24
	v_add_nc_u32_e32 v21, 0x2100, v20
	v_add_co_ci_u32_e32 v8, vcc_lo, s25, v8, vcc_lo
	s_waitcnt vmcnt(0) lgkmcnt(0)
	ds_store_2addr_b64 v21, v[16:17], v[18:19] offset1:1
	flat_load_b128 v[16:19], v[7:8] offset:512
	v_add_nc_u32_e32 v7, 0x3180, v20
	s_waitcnt vmcnt(0) lgkmcnt(0)
	ds_store_2addr_b64 v7, v[16:17], v[18:19] offset1:1
	s_cbranch_execz .LBB195_47
	s_branch .LBB195_64
.LBB195_46:
.LBB195_47:
	v_or_b32_e32 v7, 32, v4
	s_ashr_i32 s13, s12, 31
	v_mul_u32_u24_e32 v17, 33, v9
	s_lshl_b64 s[24:25], s[12:13], 4
	s_sub_i32 s13, s12, 32
	v_lshlrev_b32_e32 v8, 4, v7
	v_cmp_le_i32_e64 s9, s13, v9
	s_delay_alu instid0(VALU_DEP_2) | instskip(SKIP_1) | instid1(VALU_DEP_2)
	v_sub_co_u32 v8, vcc_lo, v5, v8
	v_subrev_co_ci_u32_e32 v16, vcc_lo, 0, v6, vcc_lo
	v_add_co_u32 v8, vcc_lo, v8, s24
	s_delay_alu instid0(VALU_DEP_2) | instskip(NEXT) | instid1(VALU_DEP_2)
	v_add_co_ci_u32_e32 v16, vcc_lo, s25, v16, vcc_lo
	v_add_co_u32 v18, vcc_lo, v8, -16
	s_delay_alu instid0(VALU_DEP_2) | instskip(SKIP_2) | instid1(VALU_DEP_3)
	v_add_co_ci_u32_e32 v8, vcc_lo, -1, v16, vcc_lo
	v_cmp_gt_i32_e32 vcc_lo, s12, v7
	v_add_lshl_u32 v16, v17, v4, 4
	v_dual_cndmask_b32 v7, v18, v5 :: v_dual_cndmask_b32 v8, v8, v6
	s_and_saveexec_b32 s17, s9
	s_delay_alu instid0(SALU_CYCLE_1)
	s_xor_b32 s9, exec_lo, s17
	s_cbranch_execz .LBB195_49
; %bb.48:
	v_mov_b32_e32 v17, 0
	s_delay_alu instid0(VALU_DEP_1)
	v_mov_b32_e32 v18, v17
	v_mov_b32_e32 v19, v17
	;; [unrolled: 1-line block ×3, first 2 shown]
	ds_store_b128 v16, v[17:20]
.LBB195_49:
	s_and_not1_saveexec_b32 s9, s9
	s_cbranch_execz .LBB195_51
; %bb.50:
	flat_load_b128 v[17:20], v[7:8]
	s_waitcnt vmcnt(0) lgkmcnt(0)
	ds_store_2addr_b64 v16, v[17:18], v[19:20] offset1:1
.LBB195_51:
	s_or_b32 exec_lo, exec_lo, s9
	v_add_nc_u32_e32 v17, 8, v9
	s_delay_alu instid0(VALU_DEP_1) | instskip(NEXT) | instid1(VALU_DEP_1)
	v_cmp_le_i32_e64 s9, s13, v17
	s_and_saveexec_b32 s17, s9
	s_delay_alu instid0(SALU_CYCLE_1)
	s_xor_b32 s9, exec_lo, s17
	s_cbranch_execz .LBB195_53
; %bb.52:
	v_mul_u32_u24_e32 v18, 33, v17
	v_mov_b32_e32 v17, 0
	s_delay_alu instid0(VALU_DEP_2) | instskip(NEXT) | instid1(VALU_DEP_2)
	v_add_lshl_u32 v21, v18, v4, 4
	v_mov_b32_e32 v18, v17
	v_mov_b32_e32 v19, v17
	;; [unrolled: 1-line block ×3, first 2 shown]
	ds_store_b128 v21, v[17:20]
.LBB195_53:
	s_and_not1_saveexec_b32 s17, s9
	s_cbranch_execz .LBB195_55
; %bb.54:
	s_lshl_b32 s28, s16, 3
	v_add_nc_u32_e32 v21, 0x1080, v16
	s_ashr_i32 s29, s28, 31
	s_delay_alu instid0(SALU_CYCLE_1) | instskip(NEXT) | instid1(SALU_CYCLE_1)
	s_lshl_b64 s[28:29], s[28:29], 4
	v_add_co_u32 v17, s9, v7, s28
	s_delay_alu instid0(VALU_DEP_1)
	v_add_co_ci_u32_e64 v18, s9, s29, v8, s9
	flat_load_b128 v[17:20], v[17:18]
	s_waitcnt vmcnt(0) lgkmcnt(0)
	ds_store_2addr_b64 v21, v[17:18], v[19:20] offset1:1
.LBB195_55:
	s_or_b32 exec_lo, exec_lo, s17
	v_add_nc_u32_e32 v17, 16, v9
	s_delay_alu instid0(VALU_DEP_1) | instskip(NEXT) | instid1(VALU_DEP_1)
	v_cmp_le_i32_e64 s9, s13, v17
	s_and_saveexec_b32 s17, s9
	s_delay_alu instid0(SALU_CYCLE_1)
	s_xor_b32 s9, exec_lo, s17
	s_cbranch_execz .LBB195_57
; %bb.56:
	v_mul_u32_u24_e32 v18, 33, v17
	v_mov_b32_e32 v17, 0
	s_delay_alu instid0(VALU_DEP_2) | instskip(NEXT) | instid1(VALU_DEP_2)
	v_add_lshl_u32 v21, v18, v4, 4
	v_mov_b32_e32 v18, v17
	v_mov_b32_e32 v19, v17
	v_mov_b32_e32 v20, v17
	ds_store_b128 v21, v[17:20]
.LBB195_57:
	s_and_not1_saveexec_b32 s17, s9
	s_cbranch_execz .LBB195_59
; %bb.58:
	s_lshl_b32 s28, s16, 4
	v_add_nc_u32_e32 v21, 0x2100, v16
	s_ashr_i32 s29, s28, 31
	s_delay_alu instid0(SALU_CYCLE_1) | instskip(NEXT) | instid1(SALU_CYCLE_1)
	s_lshl_b64 s[28:29], s[28:29], 4
	v_add_co_u32 v17, s9, v7, s28
	s_delay_alu instid0(VALU_DEP_1)
	v_add_co_ci_u32_e64 v18, s9, s29, v8, s9
	flat_load_b128 v[17:20], v[17:18]
	s_waitcnt vmcnt(0) lgkmcnt(0)
	ds_store_2addr_b64 v21, v[17:18], v[19:20] offset1:1
.LBB195_59:
	s_or_b32 exec_lo, exec_lo, s17
	v_add_nc_u32_e32 v17, 24, v9
	s_delay_alu instid0(VALU_DEP_1) | instskip(NEXT) | instid1(VALU_DEP_1)
	v_cmp_le_i32_e64 s9, s13, v17
	s_and_saveexec_b32 s13, s9
	s_delay_alu instid0(SALU_CYCLE_1)
	s_xor_b32 s9, exec_lo, s13
	s_cbranch_execz .LBB195_61
; %bb.60:
	v_mov_b32_e32 v17, 0
	s_delay_alu instid0(VALU_DEP_1)
	v_mov_b32_e32 v18, v17
	v_mov_b32_e32 v19, v17
	;; [unrolled: 1-line block ×3, first 2 shown]
	ds_store_b128 v16, v[17:20] offset:12672
                                        ; implicit-def: $vgpr16
.LBB195_61:
	s_and_not1_saveexec_b32 s13, s9
	s_cbranch_execz .LBB195_63
; %bb.62:
	s_mul_i32 s28, s16, 24
	v_add_nc_u32_e32 v16, 0x3180, v16
	s_ashr_i32 s29, s28, 31
	s_delay_alu instid0(SALU_CYCLE_1) | instskip(NEXT) | instid1(SALU_CYCLE_1)
	s_lshl_b64 s[28:29], s[28:29], 4
	v_add_co_u32 v17, s9, v7, s28
	s_delay_alu instid0(VALU_DEP_1)
	v_add_co_ci_u32_e64 v18, s9, s29, v8, s9
	flat_load_b128 v[17:20], v[17:18]
	s_waitcnt vmcnt(0) lgkmcnt(0)
	ds_store_2addr_b64 v16, v[17:18], v[19:20] offset1:1
.LBB195_63:
	s_or_b32 exec_lo, exec_lo, s13
	v_lshlrev_b32_e32 v16, 4, v4
	s_delay_alu instid0(VALU_DEP_1) | instskip(NEXT) | instid1(VALU_DEP_1)
	v_add_co_u32 v7, s9, v7, v16
	v_add_co_ci_u32_e64 v8, s9, 0, v8, s9
	s_delay_alu instid0(VALU_DEP_2) | instskip(NEXT) | instid1(VALU_DEP_1)
	v_sub_co_u32 v7, s9, v7, s24
	v_subrev_co_ci_u32_e64 v8, s9, s25, v8, s9
	s_delay_alu instid0(VALU_DEP_2) | instskip(NEXT) | instid1(VALU_DEP_1)
	v_add_co_u32 v7, s9, 0x210, v7
	v_add_co_ci_u32_e64 v8, s9, 0, v8, s9
	s_delay_alu instid0(VALU_DEP_1)
	v_dual_cndmask_b32 v5, v7, v5 :: v_dual_cndmask_b32 v6, v8, v6
.LBB195_64:
	v_add_nc_u32_e32 v13, 0x4700, v13
	v_add_nc_u32_e32 v7, 0x210, v11
	s_waitcnt lgkmcnt(0)
	s_barrier
	buffer_gl0_inv
	s_and_saveexec_b32 s9, s5
	s_cbranch_execnz .LBB195_73
; %bb.65:
	s_or_b32 exec_lo, exec_lo, s9
	s_and_saveexec_b32 s5, s6
	s_cbranch_execnz .LBB195_74
.LBB195_66:
	s_or_b32 exec_lo, exec_lo, s5
	s_and_saveexec_b32 s5, s7
	s_cbranch_execnz .LBB195_75
.LBB195_67:
	s_or_b32 exec_lo, exec_lo, s5
	s_and_saveexec_b32 s5, s8
	s_cbranch_execz .LBB195_69
.LBB195_68:
	ds_load_b128 v[16:19], v10
	s_waitcnt lgkmcnt(0)
	ds_store_b128 v12, v[16:19] offset:48
.LBB195_69:
	s_or_b32 exec_lo, exec_lo, s5
	s_waitcnt lgkmcnt(0)
	s_barrier
	buffer_gl0_inv
	ds_load_b128 v[16:19], v13 offset:512
	ds_load_b128 v[20:23], v14
	v_cmp_eq_u32_e64 s5, 1, v9
	s_waitcnt lgkmcnt(0)
	v_mul_f64 v[7:8], v[18:19], v[22:23]
	v_mul_f64 v[34:35], v[16:17], v[22:23]
	ds_load_b128 v[22:25], v11
	ds_load_b128 v[26:29], v13 offset:528
	ds_load_b128 v[30:33], v13 offset:544
	s_waitcnt lgkmcnt(1)
	v_mul_f64 v[40:41], v[28:29], v[24:25]
	v_mul_f64 v[24:25], v[26:27], v[24:25]
	v_fma_f64 v[7:8], v[16:17], v[20:21], -v[7:8]
	v_fma_f64 v[20:21], v[18:19], v[20:21], v[34:35]
	ds_load_b128 v[16:19], v11 offset:528
	ds_load_b128 v[46:49], v10
	s_waitcnt lgkmcnt(1)
	v_mul_f64 v[10:11], v[32:33], v[18:19]
	v_mul_f64 v[34:35], v[30:31], v[18:19]
	v_fma_f64 v[26:27], v[26:27], v[22:23], -v[40:41]
	v_fma_f64 v[22:23], v[28:29], v[22:23], v[24:25]
	v_add_f64 v[7:8], v[7:8], 0
	v_add_f64 v[24:25], v[20:21], 0
	ds_load_b128 v[18:21], v13 offset:560
	s_waitcnt lgkmcnt(0)
	s_barrier
	buffer_gl0_inv
	v_fma_f64 v[10:11], v[30:31], v[16:17], -v[10:11]
	v_mul_f64 v[28:29], v[20:21], v[48:49]
	v_mul_f64 v[40:41], v[18:19], v[48:49]
	v_fma_f64 v[16:17], v[32:33], v[16:17], v[34:35]
	v_add_f64 v[7:8], v[7:8], v[26:27]
	v_add_f64 v[22:23], v[24:25], v[22:23]
	v_fma_f64 v[18:19], v[18:19], v[46:47], -v[28:29]
	v_fma_f64 v[20:21], v[20:21], v[46:47], v[40:41]
	s_delay_alu instid0(VALU_DEP_4) | instskip(NEXT) | instid1(VALU_DEP_4)
	v_add_f64 v[7:8], v[7:8], v[10:11]
	v_add_f64 v[10:11], v[22:23], v[16:17]
	s_delay_alu instid0(VALU_DEP_2) | instskip(NEXT) | instid1(VALU_DEP_2)
	v_add_f64 v[16:17], v[7:8], v[18:19]
	v_add_f64 v[18:19], v[10:11], v[20:21]
	ds_store_b128 v45, v[16:19]
	s_waitcnt lgkmcnt(0)
	s_barrier
	buffer_gl0_inv
	s_and_saveexec_b32 s6, s5
	s_cbranch_execz .LBB195_71
; %bb.70:
	v_lshlrev_b32_e32 v14, 4, v44
	ds_load_b128 v[0:3], v14
	ds_load_b128 v[16:19], v14 offset:16
	s_waitcnt lgkmcnt(0)
	v_add_f64 v[7:8], v[16:17], v[0:1]
	v_add_f64 v[10:11], v[18:19], v[2:3]
	ds_load_b128 v[0:3], v14 offset:32
	ds_load_b128 v[16:19], v14 offset:48
	s_waitcnt lgkmcnt(1)
	v_add_f64 v[0:1], v[7:8], v[0:1]
	v_add_f64 v[2:3], v[10:11], v[2:3]
	s_waitcnt lgkmcnt(0)
	s_delay_alu instid0(VALU_DEP_2) | instskip(NEXT) | instid1(VALU_DEP_2)
	v_add_f64 v[7:8], v[0:1], v[16:17]
	v_add_f64 v[10:11], v[2:3], v[18:19]
	ds_load_b128 v[0:3], v14 offset:64
	ds_load_b128 v[16:19], v14 offset:80
	s_waitcnt lgkmcnt(1)
	v_add_f64 v[0:1], v[7:8], v[0:1]
	v_add_f64 v[2:3], v[10:11], v[2:3]
	s_waitcnt lgkmcnt(0)
	s_delay_alu instid0(VALU_DEP_2) | instskip(NEXT) | instid1(VALU_DEP_2)
	;; [unrolled: 9-line block ×3, first 2 shown]
	v_add_f64 v[0:1], v[0:1], v[16:17]
	v_add_f64 v[2:3], v[2:3], v[18:19]
.LBB195_71:
	s_or_b32 exec_lo, exec_lo, s6
	v_cmp_ne_u32_e32 vcc_lo, 1, v15
	v_sub_co_u32 v40, s6, v5, s22
	s_delay_alu instid0(VALU_DEP_1)
	v_subrev_co_ci_u32_e64 v41, s6, s23, v6, s6
	s_barrier
	buffer_gl0_inv
	s_cbranch_vccnz .LBB195_76
; %bb.72:
	flat_load_b128 v[14:17], v[40:41]
	s_lshl_b32 s6, s16, 3
	v_mad_u32_u24 v8, v9, 33, v4
	s_ashr_i32 s7, s6, 31
	s_ashr_i32 s17, s16, 31
	s_lshl_b64 s[6:7], s[6:7], 4
	v_add_nc_u32_e32 v10, 16, v9
	v_add_co_u32 v5, vcc_lo, v40, s6
	v_lshlrev_b32_e32 v19, 4, v8
	v_add_co_ci_u32_e32 v6, vcc_lo, s7, v41, vcc_lo
	s_lshl_b64 s[6:7], s[16:17], 7
	v_add_nc_u32_e32 v11, 24, v9
	s_delay_alu instid0(VALU_DEP_3)
	v_add_nc_u32_e32 v7, 0x1080, v19
	s_waitcnt vmcnt(0) lgkmcnt(0)
	ds_store_2addr_b64 v19, v[14:15], v[16:17] offset1:1
	flat_load_b128 v[14:17], v[5:6]
	v_add_co_u32 v5, vcc_lo, v5, s6
	v_add_co_ci_u32_e32 v6, vcc_lo, s7, v6, vcc_lo
	s_waitcnt vmcnt(0) lgkmcnt(0)
	ds_store_2addr_b64 v7, v[14:15], v[16:17] offset1:1
	flat_load_b128 v[14:17], v[5:6]
	v_add_co_u32 v5, vcc_lo, v5, s6
	v_add_nc_u32_e32 v7, 0x2100, v19
	v_add_co_ci_u32_e32 v6, vcc_lo, s7, v6, vcc_lo
	v_add_nc_u32_e32 v19, 0x3180, v19
	s_waitcnt vmcnt(0) lgkmcnt(0)
	ds_store_2addr_b64 v7, v[14:15], v[16:17] offset1:1
	flat_load_b128 v[15:18], v[5:6]
	v_add_nc_u32_e32 v7, 8, v9
	v_add_nc_u32_e32 v6, 0x108, v8
	;; [unrolled: 1-line block ×4, first 2 shown]
	s_waitcnt vmcnt(0) lgkmcnt(0)
	ds_store_2addr_b64 v19, v[15:16], v[17:18] offset1:1
	s_cbranch_execz .LBB195_77
	s_branch .LBB195_94
.LBB195_73:
	ds_load_b128 v[16:19], v14
	s_waitcnt lgkmcnt(0)
	ds_store_b128 v12, v[16:19]
	s_or_b32 exec_lo, exec_lo, s9
	s_and_saveexec_b32 s5, s6
	s_cbranch_execz .LBB195_66
.LBB195_74:
	ds_load_b128 v[16:19], v11
	s_waitcnt lgkmcnt(0)
	ds_store_b128 v12, v[16:19] offset:16
	s_or_b32 exec_lo, exec_lo, s5
	s_and_saveexec_b32 s5, s7
	s_cbranch_execz .LBB195_67
.LBB195_75:
	ds_load_b128 v[16:19], v7
	s_waitcnt lgkmcnt(0)
	ds_store_b128 v12, v[16:19] offset:32
	s_or_b32 exec_lo, exec_lo, s5
	s_and_saveexec_b32 s5, s8
	s_cbranch_execnz .LBB195_68
	s_branch .LBB195_69
.LBB195_76:
                                        ; implicit-def: $vgpr8
                                        ; implicit-def: $vgpr7
                                        ; implicit-def: $vgpr6
                                        ; implicit-def: $vgpr10
                                        ; implicit-def: $vgpr5
                                        ; implicit-def: $vgpr11
                                        ; implicit-def: $vgpr14
.LBB195_77:
	v_or_b32_e32 v5, 32, v4
	s_ashr_i32 s13, s12, 31
	v_mad_u32_u24 v8, v9, 33, v4
	s_lshl_b64 s[8:9], s[12:13], 4
	v_cmp_le_i32_e64 s6, s12, v9
	v_lshlrev_b32_e32 v6, 4, v5
	s_delay_alu instid0(VALU_DEP_3) | instskip(NEXT) | instid1(VALU_DEP_2)
	v_lshlrev_b32_e32 v15, 4, v8
	v_sub_co_u32 v6, vcc_lo, v40, v6
	v_subrev_co_ci_u32_e32 v7, vcc_lo, 0, v41, vcc_lo
	s_delay_alu instid0(VALU_DEP_2) | instskip(NEXT) | instid1(VALU_DEP_2)
	v_add_co_u32 v6, vcc_lo, v6, s8
	v_add_co_ci_u32_e32 v7, vcc_lo, s9, v7, vcc_lo
	s_delay_alu instid0(VALU_DEP_2) | instskip(NEXT) | instid1(VALU_DEP_2)
	v_add_co_u32 v10, vcc_lo, v6, -16
	v_add_co_ci_u32_e32 v6, vcc_lo, -1, v7, vcc_lo
	v_cmp_gt_i32_e32 vcc_lo, s12, v5
	s_delay_alu instid0(VALU_DEP_3) | instskip(NEXT) | instid1(VALU_DEP_3)
	v_cndmask_b32_e32 v5, v10, v40, vcc_lo
	v_cndmask_b32_e32 v6, v6, v41, vcc_lo
	s_and_saveexec_b32 s7, s6
	s_delay_alu instid0(SALU_CYCLE_1)
	s_xor_b32 s6, exec_lo, s7
	s_cbranch_execz .LBB195_79
; %bb.78:
	v_mov_b32_e32 v16, 0
	s_delay_alu instid0(VALU_DEP_1)
	v_mov_b32_e32 v17, v16
	v_mov_b32_e32 v18, v16
	;; [unrolled: 1-line block ×3, first 2 shown]
	ds_store_b128 v15, v[16:19]
.LBB195_79:
	s_and_not1_saveexec_b32 s6, s6
	s_cbranch_execz .LBB195_81
; %bb.80:
	flat_load_b128 v[16:19], v[5:6]
	s_waitcnt vmcnt(0) lgkmcnt(0)
	ds_store_2addr_b64 v15, v[16:17], v[18:19] offset1:1
.LBB195_81:
	s_or_b32 exec_lo, exec_lo, s6
	v_add_nc_u32_e32 v7, 8, v9
	s_delay_alu instid0(VALU_DEP_1) | instskip(NEXT) | instid1(VALU_DEP_1)
	v_cmp_le_i32_e64 s6, s12, v7
	s_and_saveexec_b32 s7, s6
	s_delay_alu instid0(SALU_CYCLE_1)
	s_xor_b32 s6, exec_lo, s7
	s_cbranch_execz .LBB195_83
; %bb.82:
	v_mul_u32_u24_e32 v10, 33, v7
	v_mov_b32_e32 v16, 0
	s_delay_alu instid0(VALU_DEP_2) | instskip(NEXT) | instid1(VALU_DEP_2)
	v_add_lshl_u32 v10, v10, v4, 4
	v_mov_b32_e32 v17, v16
	v_mov_b32_e32 v18, v16
	;; [unrolled: 1-line block ×3, first 2 shown]
	ds_store_b128 v10, v[16:19]
.LBB195_83:
	s_and_not1_saveexec_b32 s7, s6
	s_cbranch_execz .LBB195_85
; %bb.84:
	s_lshl_b32 s22, s16, 3
	s_delay_alu instid0(SALU_CYCLE_1) | instskip(NEXT) | instid1(SALU_CYCLE_1)
	s_ashr_i32 s23, s22, 31
	s_lshl_b64 s[22:23], s[22:23], 4
	s_delay_alu instid0(SALU_CYCLE_1) | instskip(NEXT) | instid1(VALU_DEP_1)
	v_add_co_u32 v10, s6, v5, s22
	v_add_co_ci_u32_e64 v11, s6, s23, v6, s6
	flat_load_b128 v[16:19], v[10:11]
	v_add_nc_u32_e32 v10, 0x1080, v15
	s_waitcnt vmcnt(0) lgkmcnt(0)
	ds_store_2addr_b64 v10, v[16:17], v[18:19] offset1:1
.LBB195_85:
	s_or_b32 exec_lo, exec_lo, s7
	v_add_nc_u32_e32 v10, 16, v9
	s_delay_alu instid0(VALU_DEP_1) | instskip(NEXT) | instid1(VALU_DEP_1)
	v_cmp_le_i32_e64 s6, s12, v10
	s_and_saveexec_b32 s7, s6
	s_delay_alu instid0(SALU_CYCLE_1)
	s_xor_b32 s6, exec_lo, s7
	s_cbranch_execz .LBB195_87
; %bb.86:
	v_mul_u32_u24_e32 v11, 33, v10
	v_mov_b32_e32 v16, 0
	s_delay_alu instid0(VALU_DEP_2) | instskip(NEXT) | instid1(VALU_DEP_2)
	v_add_lshl_u32 v11, v11, v4, 4
	v_mov_b32_e32 v17, v16
	v_mov_b32_e32 v18, v16
	;; [unrolled: 1-line block ×3, first 2 shown]
	ds_store_b128 v11, v[16:19]
.LBB195_87:
	s_and_not1_saveexec_b32 s7, s6
	s_cbranch_execz .LBB195_89
; %bb.88:
	s_lshl_b32 s22, s16, 4
	v_add_nc_u32_e32 v11, 0x2100, v15
	s_ashr_i32 s23, s22, 31
	s_delay_alu instid0(SALU_CYCLE_1) | instskip(NEXT) | instid1(SALU_CYCLE_1)
	s_lshl_b64 s[22:23], s[22:23], 4
	v_add_co_u32 v16, s6, v5, s22
	s_delay_alu instid0(VALU_DEP_1)
	v_add_co_ci_u32_e64 v17, s6, s23, v6, s6
	flat_load_b128 v[16:19], v[16:17]
	s_waitcnt vmcnt(0) lgkmcnt(0)
	ds_store_2addr_b64 v11, v[16:17], v[18:19] offset1:1
.LBB195_89:
	s_or_b32 exec_lo, exec_lo, s7
	v_add_nc_u32_e32 v11, 24, v9
                                        ; implicit-def: $vgpr14
	s_delay_alu instid0(VALU_DEP_1) | instskip(NEXT) | instid1(VALU_DEP_1)
	v_cmp_le_i32_e64 s6, s12, v11
	s_and_saveexec_b32 s7, s6
	s_delay_alu instid0(SALU_CYCLE_1)
	s_xor_b32 s6, exec_lo, s7
	s_cbranch_execz .LBB195_91
; %bb.90:
	v_mad_u32_u24 v14, v11, 33, v4
	v_mov_b32_e32 v15, 0
	s_delay_alu instid0(VALU_DEP_1)
	v_dual_mov_b32 v16, v15 :: v_dual_lshlrev_b32 v19, 4, v14
	v_mov_b32_e32 v17, v15
	v_mov_b32_e32 v18, v15
	ds_store_b128 v19, v[15:18]
                                        ; implicit-def: $vgpr15
.LBB195_91:
	s_and_not1_saveexec_b32 s7, s6
	s_cbranch_execz .LBB195_93
; %bb.92:
	s_mul_i32 s22, s16, 24
	v_add_nc_u32_e32 v15, 0x3180, v15
	s_ashr_i32 s23, s22, 31
	v_add_nc_u32_e32 v14, 0x318, v8
	s_lshl_b64 s[22:23], s[22:23], 4
	s_delay_alu instid0(SALU_CYCLE_1) | instskip(NEXT) | instid1(VALU_DEP_1)
	v_add_co_u32 v16, s6, v5, s22
	v_add_co_ci_u32_e64 v17, s6, s23, v6, s6
	flat_load_b128 v[16:19], v[16:17]
	s_waitcnt vmcnt(0) lgkmcnt(0)
	ds_store_2addr_b64 v15, v[16:17], v[18:19] offset1:1
.LBB195_93:
	s_or_b32 exec_lo, exec_lo, s7
	v_lshlrev_b32_e32 v4, 4, v4
	s_delay_alu instid0(VALU_DEP_1) | instskip(NEXT) | instid1(VALU_DEP_1)
	v_add_co_u32 v4, s6, v5, v4
	v_add_co_ci_u32_e64 v5, s6, 0, v6, s6
	v_add_nc_u32_e32 v6, 0x108, v8
	s_delay_alu instid0(VALU_DEP_3) | instskip(NEXT) | instid1(VALU_DEP_1)
	v_sub_co_u32 v4, s6, v4, s8
	v_subrev_co_ci_u32_e64 v5, s6, s9, v5, s6
	s_delay_alu instid0(VALU_DEP_2) | instskip(NEXT) | instid1(VALU_DEP_1)
	v_add_co_u32 v4, s6, 0x210, v4
	v_add_co_ci_u32_e64 v5, s6, 0, v5, s6
	s_delay_alu instid0(VALU_DEP_1)
	v_dual_cndmask_b32 v40, v4, v40 :: v_dual_cndmask_b32 v41, v5, v41
	v_add_nc_u32_e32 v5, 0x210, v8
.LBB195_94:
	v_lshlrev_b32_e32 v4, 4, v9
	v_lshlrev_b32_e32 v8, 4, v8
	s_waitcnt lgkmcnt(0)
	s_barrier
	buffer_gl0_inv
	ds_load_b128 v[15:18], v4 offset:18176
	ds_load_b128 v[19:22], v8
	v_lshlrev_b32_e32 v4, 4, v7
	v_lshlrev_b32_e32 v5, 4, v5
	s_waitcnt lgkmcnt(0)
	v_mul_f64 v[25:26], v[17:18], v[21:22]
	v_mul_f64 v[27:28], v[15:16], v[21:22]
	v_lshlrev_b32_e32 v21, 4, v6
	ds_load_b128 v[6:9], v4 offset:18176
	ds_load_b128 v[21:24], v21
	v_lshlrev_b32_e32 v4, 4, v10
	s_waitcnt lgkmcnt(0)
	v_mul_f64 v[29:30], v[8:9], v[23:24]
	v_mul_f64 v[31:32], v[6:7], v[23:24]
	v_fma_f64 v[33:34], v[15:16], v[19:20], -v[25:26]
	v_fma_f64 v[19:20], v[17:18], v[19:20], v[27:28]
	ds_load_b128 v[15:18], v4 offset:18176
	ds_load_b128 v[23:26], v5
	v_lshlrev_b32_e32 v4, 4, v11
	s_waitcnt lgkmcnt(0)
	v_mul_f64 v[27:28], v[17:18], v[25:26]
	v_mul_f64 v[25:26], v[15:16], v[25:26]
	v_fma_f64 v[29:30], v[6:7], v[21:22], -v[29:30]
	v_fma_f64 v[21:22], v[8:9], v[21:22], v[31:32]
	v_lshlrev_b32_e32 v8, 4, v14
	ds_load_b128 v[4:7], v4 offset:18176
	ds_load_b128 v[8:11], v8
	v_add_f64 v[31:32], v[33:34], 0
	v_add_f64 v[19:20], v[19:20], 0
	s_waitcnt lgkmcnt(0)
	v_mul_f64 v[33:34], v[6:7], v[10:11]
	v_mul_f64 v[10:11], v[4:5], v[10:11]
	v_fma_f64 v[14:15], v[15:16], v[23:24], -v[27:28]
	v_fma_f64 v[16:17], v[17:18], v[23:24], v[25:26]
	v_add_f64 v[23:24], v[31:32], v[29:30]
	v_add_f64 v[18:19], v[19:20], v[21:22]
	v_fma_f64 v[4:5], v[4:5], v[8:9], -v[33:34]
	v_fma_f64 v[6:7], v[6:7], v[8:9], v[10:11]
	s_delay_alu instid0(VALU_DEP_4) | instskip(NEXT) | instid1(VALU_DEP_4)
	v_add_f64 v[8:9], v[23:24], v[14:15]
	v_add_f64 v[10:11], v[18:19], v[16:17]
	s_delay_alu instid0(VALU_DEP_2) | instskip(NEXT) | instid1(VALU_DEP_2)
	v_add_f64 v[46:47], v[8:9], v[4:5]
	v_add_f64 v[48:49], v[10:11], v[6:7]
	ds_load_b128 v[28:31], v12
	ds_load_b128 v[20:23], v12 offset:16
	ds_load_b128 v[8:11], v12 offset:32
	;; [unrolled: 1-line block ×7, first 2 shown]
	s_waitcnt lgkmcnt(0)
	s_barrier
	buffer_gl0_inv
	ds_store_b128 v45, v[46:49]
	s_waitcnt lgkmcnt(0)
	s_barrier
	buffer_gl0_inv
	s_and_saveexec_b32 s6, s5
	s_cbranch_execz .LBB195_96
; %bb.95:
	v_lshlrev_b32_e32 v54, 4, v44
	ds_load_b128 v[46:49], v54
	ds_load_b128 v[50:53], v54 offset:16
	s_waitcnt lgkmcnt(1)
	v_add_f64 v[0:1], v[0:1], v[46:47]
	v_add_f64 v[2:3], v[2:3], v[48:49]
	s_waitcnt lgkmcnt(0)
	s_delay_alu instid0(VALU_DEP_2) | instskip(NEXT) | instid1(VALU_DEP_2)
	v_add_f64 v[50:51], v[0:1], v[50:51]
	v_add_f64 v[52:53], v[2:3], v[52:53]
	ds_load_b128 v[0:3], v54 offset:32
	ds_load_b128 v[46:49], v54 offset:48
	s_waitcnt lgkmcnt(1)
	v_add_f64 v[0:1], v[50:51], v[0:1]
	v_add_f64 v[2:3], v[52:53], v[2:3]
	s_waitcnt lgkmcnt(0)
	s_delay_alu instid0(VALU_DEP_2) | instskip(NEXT) | instid1(VALU_DEP_2)
	v_add_f64 v[50:51], v[0:1], v[46:47]
	v_add_f64 v[52:53], v[2:3], v[48:49]
	ds_load_b128 v[0:3], v54 offset:64
	;; [unrolled: 9-line block ×3, first 2 shown]
	ds_load_b128 v[46:49], v54 offset:112
	s_waitcnt lgkmcnt(1)
	v_add_f64 v[0:1], v[50:51], v[0:1]
	v_add_f64 v[2:3], v[52:53], v[2:3]
	s_waitcnt lgkmcnt(0)
	s_delay_alu instid0(VALU_DEP_2) | instskip(NEXT) | instid1(VALU_DEP_2)
	v_add_f64 v[0:1], v[0:1], v[46:47]
	v_add_f64 v[2:3], v[2:3], v[48:49]
.LBB195_96:
	s_or_b32 exec_lo, exec_lo, s6
	v_mul_f64 v[46:47], v[30:31], v[34:35]
	v_mul_f64 v[34:35], v[28:29], v[34:35]
	;; [unrolled: 1-line block ×4, first 2 shown]
	s_barrier
	buffer_gl0_inv
	v_fma_f64 v[28:29], v[28:29], v[32:33], -v[46:47]
	v_fma_f64 v[30:31], v[30:31], v[32:33], v[34:35]
	v_mul_f64 v[32:33], v[10:11], v[18:19]
	v_mul_f64 v[18:19], v[8:9], v[18:19]
	v_fma_f64 v[20:21], v[20:21], v[24:25], -v[48:49]
	v_fma_f64 v[22:23], v[22:23], v[24:25], v[26:27]
	v_add_f64 v[24:25], v[28:29], 0
	v_add_f64 v[26:27], v[30:31], 0
	v_mul_f64 v[28:29], v[6:7], v[14:15]
	v_mul_f64 v[14:15], v[4:5], v[14:15]
	v_fma_f64 v[8:9], v[8:9], v[16:17], -v[32:33]
	v_fma_f64 v[10:11], v[10:11], v[16:17], v[18:19]
	v_add_f64 v[16:17], v[24:25], v[20:21]
	v_add_f64 v[18:19], v[26:27], v[22:23]
	v_fma_f64 v[4:5], v[4:5], v[12:13], -v[28:29]
	v_fma_f64 v[6:7], v[6:7], v[12:13], v[14:15]
	s_delay_alu instid0(VALU_DEP_4) | instskip(NEXT) | instid1(VALU_DEP_4)
	v_add_f64 v[8:9], v[16:17], v[8:9]
	v_add_f64 v[10:11], v[18:19], v[10:11]
	s_delay_alu instid0(VALU_DEP_2) | instskip(NEXT) | instid1(VALU_DEP_2)
	v_add_f64 v[4:5], v[8:9], v[4:5]
	v_add_f64 v[6:7], v[10:11], v[6:7]
	ds_store_b128 v45, v[4:7]
	s_waitcnt lgkmcnt(0)
	s_barrier
	buffer_gl0_inv
	s_and_saveexec_b32 s5, s4
	s_cbranch_execz .LBB195_98
; %bb.97:
	v_lshlrev_b32_e32 v12, 4, v44
	ds_load_b128 v[4:7], v12
	ds_load_b128 v[8:11], v12 offset:16
	s_waitcnt lgkmcnt(1)
	v_add_f64 v[0:1], v[0:1], v[4:5]
	v_add_f64 v[2:3], v[2:3], v[6:7]
	s_waitcnt lgkmcnt(0)
	s_delay_alu instid0(VALU_DEP_2) | instskip(NEXT) | instid1(VALU_DEP_2)
	v_add_f64 v[8:9], v[0:1], v[8:9]
	v_add_f64 v[10:11], v[2:3], v[10:11]
	ds_load_b128 v[0:3], v12 offset:32
	ds_load_b128 v[4:7], v12 offset:48
	s_waitcnt lgkmcnt(1)
	v_add_f64 v[0:1], v[8:9], v[0:1]
	v_add_f64 v[2:3], v[10:11], v[2:3]
	s_waitcnt lgkmcnt(0)
	s_delay_alu instid0(VALU_DEP_2) | instskip(NEXT) | instid1(VALU_DEP_2)
	v_add_f64 v[8:9], v[0:1], v[4:5]
	v_add_f64 v[10:11], v[2:3], v[6:7]
	ds_load_b128 v[0:3], v12 offset:64
	;; [unrolled: 9-line block ×3, first 2 shown]
	ds_load_b128 v[4:7], v12 offset:112
	s_waitcnt lgkmcnt(1)
	v_add_f64 v[0:1], v[8:9], v[0:1]
	v_add_f64 v[2:3], v[10:11], v[2:3]
	s_waitcnt lgkmcnt(0)
	s_delay_alu instid0(VALU_DEP_2) | instskip(NEXT) | instid1(VALU_DEP_2)
	v_add_f64 v[0:1], v[0:1], v[4:5]
	v_add_f64 v[2:3], v[2:3], v[6:7]
.LBB195_98:
	s_or_b32 exec_lo, exec_lo, s5
	s_load_b64 s[0:1], s[0:1], 0x78
	s_mul_hi_u32 s4, s15, s10
	s_mul_i32 s27, s27, s10
	s_mul_i32 s5, s15, s10
	s_add_i32 s4, s4, s27
	s_mul_hi_u32 s6, s5, s26
	s_mul_i32 s7, s4, s26
	s_mul_i32 s4, s5, s26
	s_add_i32 s5, s6, s7
	s_mul_i32 s6, s14, s15
	s_lshl_b64 s[4:5], s[4:5], 4
	v_cmp_le_i32_e32 vcc_lo, s12, v42
	v_lshlrev_b32_e32 v150, 4, v42
	s_waitcnt lgkmcnt(0)
	s_barrier
	buffer_gl0_inv
	s_add_u32 s4, s0, s4
	s_addc_u32 s5, s1, s5
	s_ashr_i32 s7, s6, 31
	s_delay_alu instid0(SALU_CYCLE_1) | instskip(NEXT) | instid1(SALU_CYCLE_1)
	s_lshl_b64 s[0:1], s[6:7], 4
	s_add_u32 s8, s4, s0
	s_addc_u32 s9, s5, s1
	s_and_b32 vcc_lo, s19, vcc_lo
	s_cmp_lt_i32 s14, 1
	s_cbranch_scc1 .LBB195_105
; %bb.99:
	v_mul_lo_u32 v4, v149, s16
	v_sub_co_u32 v7, s0, v40, s20
	s_delay_alu instid0(VALU_DEP_1) | instskip(SKIP_1) | instid1(VALU_DEP_2)
	v_subrev_co_ci_u32_e64 v8, s0, s21, v41, s0
	s_ashr_i32 s13, s12, 31
	v_sub_co_u32 v7, s0, v7, v38
	s_delay_alu instid0(VALU_DEP_4) | instskip(NEXT) | instid1(VALU_DEP_3)
	v_lshl_add_u32 v4, v4, 2, v42
	v_sub_co_ci_u32_e64 v8, s0, v8, v39, s0
	s_lshl_b64 s[6:7], s[12:13], 4
	v_lshlrev_b32_e32 v10, 2, v43
	s_delay_alu instid0(VALU_DEP_3) | instskip(SKIP_3) | instid1(VALU_DEP_2)
	v_ashrrev_i32_e32 v5, 31, v4
	s_mul_i32 s4, s18, s11
	v_dual_mov_b32 v146, 0 :: v_dual_add_nc_u32 v151, 0x4300, v150
	s_ashr_i32 s5, s4, 31
	v_lshlrev_b64 v[4:5], 4, v[4:5]
	s_lshl_b64 s[4:5], s[4:5], 4
	v_add_nc_u32_e32 v154, 0x4700, v150
	v_lshl_add_u32 v158, v149, 6, 0x4300
	v_mad_u32_u24 v159, 0x10c0, v149, v150
	s_ashr_i32 s17, s16, 31
	v_add_co_u32 v4, s0, v7, v4
	s_delay_alu instid0(VALU_DEP_1) | instskip(SKIP_1) | instid1(VALU_DEP_2)
	v_add_co_ci_u32_e64 v5, s0, v8, v5, s0
	s_lshl_b32 s10, s11, 6
	v_add_co_u32 v4, s0, 0xfffffe00, v4
	s_delay_alu instid0(VALU_DEP_1) | instskip(SKIP_1) | instid1(VALU_DEP_2)
	v_add_co_ci_u32_e64 v5, s0, -1, v5, s0
	s_mul_hi_i32 s11, s16, 0xd0
	v_sub_co_u32 v7, s0, v4, v150
	s_delay_alu instid0(VALU_DEP_1) | instskip(SKIP_1) | instid1(VALU_DEP_2)
	v_subrev_co_ci_u32_e64 v8, s0, 0, v5, s0
	s_mul_i32 s12, s16, 0xd0
	v_add_co_u32 v7, s0, v7, s6
	s_delay_alu instid0(VALU_DEP_1) | instskip(SKIP_1) | instid1(VALU_DEP_2)
	v_add_co_ci_u32_e64 v8, s0, s7, v8, s0
	s_mov_b32 s6, 0
	v_add_co_u32 v7, s0, v7, -16
	v_and_b32_e32 v9, 48, v42
	s_delay_alu instid0(VALU_DEP_3) | instskip(NEXT) | instid1(VALU_DEP_3)
	v_add_co_ci_u32_e64 v8, s0, -1, v8, s0
	v_cndmask_b32_e32 v4, v4, v7, vcc_lo
	v_and_b32_e32 v6, 15, v42
	v_or_b32_e32 v7, 0xf0, v150
	s_delay_alu instid0(VALU_DEP_4)
	v_cndmask_b32_e32 v5, v5, v8, vcc_lo
	v_lshlrev_b32_e32 v11, 4, v9
	v_and_b32_e32 v8, 0x7ffc0, v10
	v_sub_co_u32 v152, s0, v36, s4
	v_mad_u32_u24 v156, 0x430, v6, v7
	v_and_b32_e32 v7, 0x1fff0, v43
	v_subrev_co_ci_u32_e64 v153, s0, s5, v37, s0
	v_cmp_gt_u32_e64 s0, 64, v43
	v_mad_u32_u24 v155, 0x430, v6, v11
	v_mad_u32_u24 v157, 0x430, v6, v8
	;; [unrolled: 1-line block ×3, first 2 shown]
	v_or_b32_e32 v145, v9, v6
	s_lshl_b64 s[4:5], s[16:17], 4
	s_branch .LBB195_101
.LBB195_100:                            ;   in Loop: Header=BB195_101 Depth=1
	s_or_b32 exec_lo, exec_lo, s7
	v_mul_f64 v[108:109], v[10:11], v[38:39]
	v_mul_f64 v[38:39], v[8:9], v[38:39]
	;; [unrolled: 1-line block ×4, first 2 shown]
	v_add_nc_u32_e32 v145, 64, v145
	s_add_i32 s14, s14, -1
	s_add_i32 s6, s6, s10
	s_cmp_eq_u32 s14, 0
	s_waitcnt_vscnt null, 0x0
	s_barrier
	buffer_gl0_inv
	v_fma_f64 v[8:9], v[8:9], v[36:37], -v[108:109]
	v_fma_f64 v[10:11], v[10:11], v[36:37], v[38:39]
	v_mul_f64 v[36:37], v[14:15], v[46:47]
	v_mul_f64 v[38:39], v[12:13], v[46:47]
	v_fma_f64 v[16:17], v[16:17], v[48:49], -v[110:111]
	v_fma_f64 v[18:19], v[18:19], v[48:49], v[50:51]
	v_add_f64 v[0:1], v[0:1], v[8:9]
	v_add_f64 v[2:3], v[2:3], v[10:11]
	v_mul_f64 v[8:9], v[6:7], v[42:43]
	v_mul_f64 v[10:11], v[4:5], v[42:43]
	v_fma_f64 v[12:13], v[12:13], v[44:45], -v[36:37]
	v_fma_f64 v[14:15], v[14:15], v[44:45], v[38:39]
	v_add_f64 v[0:1], v[0:1], v[16:17]
	v_add_f64 v[2:3], v[2:3], v[18:19]
	v_mul_f64 v[16:17], v[34:35], v[74:75]
	v_mul_f64 v[18:19], v[32:33], v[74:75]
	v_fma_f64 v[4:5], v[4:5], v[40:41], -v[8:9]
	v_fma_f64 v[6:7], v[6:7], v[40:41], v[10:11]
	v_mul_f64 v[8:9], v[30:31], v[82:83]
	v_mul_f64 v[10:11], v[28:29], v[82:83]
	v_add_f64 v[0:1], v[0:1], v[12:13]
	v_add_f64 v[2:3], v[2:3], v[14:15]
	v_fma_f64 v[12:13], v[32:33], v[72:73], -v[16:17]
	v_fma_f64 v[14:15], v[34:35], v[72:73], v[18:19]
	v_fma_f64 v[8:9], v[28:29], v[80:81], -v[8:9]
	v_fma_f64 v[10:11], v[30:31], v[80:81], v[10:11]
	v_add_f64 v[0:1], v[0:1], v[4:5]
	v_add_f64 v[2:3], v[2:3], v[6:7]
	v_mul_f64 v[4:5], v[26:27], v[78:79]
	v_mul_f64 v[6:7], v[24:25], v[78:79]
	s_delay_alu instid0(VALU_DEP_4) | instskip(NEXT) | instid1(VALU_DEP_4)
	v_add_f64 v[0:1], v[0:1], v[12:13]
	v_add_f64 v[2:3], v[2:3], v[14:15]
	v_mul_f64 v[12:13], v[22:23], v[70:71]
	v_mul_f64 v[14:15], v[20:21], v[70:71]
	v_fma_f64 v[4:5], v[24:25], v[76:77], -v[4:5]
	v_fma_f64 v[6:7], v[26:27], v[76:77], v[6:7]
	v_add_f64 v[0:1], v[0:1], v[8:9]
	v_add_f64 v[2:3], v[2:3], v[10:11]
	v_mul_f64 v[8:9], v[66:67], v[102:103]
	v_mul_f64 v[10:11], v[64:65], v[102:103]
	v_fma_f64 v[12:13], v[20:21], v[68:69], -v[12:13]
	v_fma_f64 v[14:15], v[22:23], v[68:69], v[14:15]
	;; [unrolled: 6-line block ×9, first 2 shown]
	v_add_f64 v[0:1], v[0:1], v[12:13]
	v_add_f64 v[2:3], v[2:3], v[14:15]
	v_fma_f64 v[4:5], v[120:121], v[128:129], -v[4:5]
	v_fma_f64 v[6:7], v[122:123], v[128:129], v[6:7]
	s_delay_alu instid0(VALU_DEP_4) | instskip(NEXT) | instid1(VALU_DEP_4)
	v_add_f64 v[0:1], v[0:1], v[8:9]
	v_add_f64 v[2:3], v[2:3], v[10:11]
	s_delay_alu instid0(VALU_DEP_2) | instskip(NEXT) | instid1(VALU_DEP_2)
	v_add_f64 v[0:1], v[0:1], v[4:5]
	v_add_f64 v[2:3], v[2:3], v[6:7]
	v_add_co_u32 v4, s1, v147, s12
	s_delay_alu instid0(VALU_DEP_1)
	v_add_co_ci_u32_e64 v5, s1, s11, v148, s1
	s_cbranch_scc1 .LBB195_105
.LBB195_101:                            ; =>This Inner Loop Header: Depth=1
	s_and_saveexec_b32 s13, s3
	s_cbranch_execz .LBB195_103
; %bb.102:                              ;   in Loop: Header=BB195_101 Depth=1
	s_ashr_i32 s7, s6, 31
	s_delay_alu instid0(SALU_CYCLE_1) | instskip(NEXT) | instid1(SALU_CYCLE_1)
	s_lshl_b64 s[16:17], s[6:7], 4
	v_add_co_u32 v6, s1, v152, s16
	s_delay_alu instid0(VALU_DEP_1)
	v_add_co_ci_u32_e64 v7, s1, s17, v153, s1
	flat_load_b128 v[6:9], v[6:7]
	s_waitcnt vmcnt(0) lgkmcnt(0)
	ds_store_2addr_b64 v151, v[6:7], v[8:9] offset1:1
.LBB195_103:                            ;   in Loop: Header=BB195_101 Depth=1
	s_or_b32 exec_lo, exec_lo, s13
	v_add_co_u32 v6, s1, v4, s4
	s_delay_alu instid0(VALU_DEP_1) | instskip(SKIP_1) | instid1(VALU_DEP_2)
	v_add_co_ci_u32_e64 v7, s1, s5, v5, s1
	s_waitcnt lgkmcnt(0)
	v_add_co_u32 v12, s1, v6, s4
	s_delay_alu instid0(VALU_DEP_1) | instskip(SKIP_1) | instid1(VALU_DEP_2)
	v_add_co_ci_u32_e64 v13, s1, s5, v7, s1
	s_barrier
	v_add_co_u32 v34, s1, v12, s4
	buffer_gl0_inv
	flat_load_b128 v[8:11], v[4:5]
	v_add_co_ci_u32_e64 v35, s1, s5, v13, s1
	s_clause 0x2
	flat_load_b128 v[16:19], v[6:7]
	flat_load_b128 v[12:15], v[12:13]
	;; [unrolled: 1-line block ×3, first 2 shown]
	ds_load_b128 v[20:23], v154
	ds_load_b128 v[36:39], v158
	s_waitcnt vmcnt(3) lgkmcnt(1)
	v_mul_f64 v[24:25], v[10:11], v[22:23]
	v_mul_f64 v[26:27], v[8:9], v[22:23]
	s_waitcnt vmcnt(2)
	v_mul_f64 v[28:29], v[18:19], v[22:23]
	v_mul_f64 v[30:31], v[16:17], v[22:23]
	s_waitcnt vmcnt(1)
	v_mul_f64 v[32:33], v[14:15], v[22:23]
	v_mul_f64 v[40:41], v[12:13], v[22:23]
	s_waitcnt vmcnt(0)
	v_mul_f64 v[42:43], v[6:7], v[22:23]
	v_mul_f64 v[44:45], v[4:5], v[22:23]
	v_fma_f64 v[22:23], v[8:9], v[20:21], -v[24:25]
	v_fma_f64 v[24:25], v[10:11], v[20:21], v[26:27]
	v_fma_f64 v[26:27], v[16:17], v[20:21], -v[28:29]
	v_fma_f64 v[28:29], v[18:19], v[20:21], v[30:31]
	;; [unrolled: 2-line block ×4, first 2 shown]
	v_add_co_u32 v20, s1, v34, s12
	s_delay_alu instid0(VALU_DEP_1) | instskip(NEXT) | instid1(VALU_DEP_2)
	v_add_co_ci_u32_e64 v21, s1, s11, v35, s1
	v_add_co_u32 v56, s1, v20, s4
	s_delay_alu instid0(VALU_DEP_1) | instskip(NEXT) | instid1(VALU_DEP_2)
	v_add_co_ci_u32_e64 v57, s1, s5, v21, s1
	;; [unrolled: 3-line block ×3, first 2 shown]
	v_add_co_u32 v66, s1, v58, s4
	s_delay_alu instid0(VALU_DEP_1)
	v_add_co_ci_u32_e64 v67, s1, s5, v59, s1
	ds_store_b128 v159, v[22:25]
	ds_load_b128 v[48:51], v158 offset:16
	ds_store_b128 v159, v[26:29] offset:1072
	ds_load_b128 v[44:47], v158 offset:32
	ds_store_b128 v159, v[30:33] offset:2144
	;; [unrolled: 2-line block ×3, first 2 shown]
	s_waitcnt lgkmcnt(0)
	s_barrier
	buffer_gl0_inv
	ds_load_b128 v[128:131], v157
	ds_load_b128 v[140:143], v157 offset:16
	ds_load_b128 v[116:119], v157 offset:32
	;; [unrolled: 1-line block ×3, first 2 shown]
	s_waitcnt lgkmcnt(0)
	s_barrier
	buffer_gl0_inv
	s_clause 0x2
	flat_load_b128 v[32:35], v[20:21]
	flat_load_b128 v[28:31], v[56:57]
	;; [unrolled: 1-line block ×4, first 2 shown]
	ds_load_b128 v[52:55], v154
	ds_load_b128 v[72:75], v158 offset:256
	v_add_f64 v[205:206], v[128:129], 0
	v_add_f64 v[207:208], v[130:131], 0
	s_waitcnt vmcnt(2) lgkmcnt(1)
	v_mul_f64 v[60:61], v[30:31], v[54:55]
	v_mul_f64 v[56:57], v[34:35], v[54:55]
	v_mul_f64 v[58:59], v[32:33], v[54:55]
	v_mul_f64 v[62:63], v[28:29], v[54:55]
	s_waitcnt vmcnt(1)
	v_mul_f64 v[64:65], v[26:27], v[54:55]
	v_mul_f64 v[68:69], v[24:25], v[54:55]
	s_waitcnt vmcnt(0)
	v_mul_f64 v[70:71], v[22:23], v[54:55]
	v_mul_f64 v[76:77], v[20:21], v[54:55]
	v_fma_f64 v[54:55], v[32:33], v[52:53], -v[56:57]
	v_fma_f64 v[56:57], v[34:35], v[52:53], v[58:59]
	v_fma_f64 v[58:59], v[28:29], v[52:53], -v[60:61]
	v_fma_f64 v[60:61], v[30:31], v[52:53], v[62:63]
	;; [unrolled: 2-line block ×4, first 2 shown]
	v_add_co_u32 v52, s1, v66, s12
	s_delay_alu instid0(VALU_DEP_1) | instskip(NEXT) | instid1(VALU_DEP_2)
	v_add_co_ci_u32_e64 v53, s1, s11, v67, s1
	v_add_co_u32 v88, s1, v52, s4
	s_delay_alu instid0(VALU_DEP_1) | instskip(NEXT) | instid1(VALU_DEP_2)
	v_add_co_ci_u32_e64 v89, s1, s5, v53, s1
	;; [unrolled: 3-line block ×3, first 2 shown]
	v_add_co_u32 v98, s1, v90, s4
	s_delay_alu instid0(VALU_DEP_1)
	v_add_co_ci_u32_e64 v99, s1, s5, v91, s1
	ds_store_b128 v159, v[54:57]
	ds_load_b128 v[80:83], v158 offset:272
	ds_store_b128 v159, v[58:61] offset:1072
	ds_load_b128 v[76:79], v158 offset:288
	ds_store_b128 v159, v[62:65] offset:2144
	;; [unrolled: 2-line block ×3, first 2 shown]
	s_waitcnt lgkmcnt(0)
	s_barrier
	buffer_gl0_inv
	ds_load_b128 v[161:164], v157
	ds_load_b128 v[165:168], v157 offset:16
	ds_load_b128 v[169:172], v157 offset:32
	;; [unrolled: 1-line block ×3, first 2 shown]
	s_waitcnt lgkmcnt(0)
	s_barrier
	buffer_gl0_inv
	flat_load_b128 v[64:67], v[52:53]
	flat_load_b128 v[60:63], v[88:89]
	;; [unrolled: 1-line block ×4, first 2 shown]
	ds_load_b128 v[84:87], v154
	ds_load_b128 v[100:103], v158 offset:512
	v_add_f64 v[161:162], v[161:162], 0
	v_add_f64 v[163:164], v[163:164], 0
	s_delay_alu instid0(VALU_DEP_2) | instskip(NEXT) | instid1(VALU_DEP_2)
	v_add_f64 v[161:162], v[161:162], v[165:166]
	v_add_f64 v[163:164], v[163:164], v[167:168]
	s_delay_alu instid0(VALU_DEP_2) | instskip(NEXT) | instid1(VALU_DEP_2)
	v_add_f64 v[161:162], v[161:162], v[169:170]
	v_add_f64 v[163:164], v[163:164], v[171:172]
	s_waitcnt vmcnt(2) lgkmcnt(1)
	v_mul_f64 v[92:93], v[62:63], v[86:87]
	v_mul_f64 v[88:89], v[66:67], v[86:87]
	;; [unrolled: 1-line block ×4, first 2 shown]
	s_waitcnt vmcnt(1)
	v_mul_f64 v[96:97], v[58:59], v[86:87]
	v_mul_f64 v[104:105], v[56:57], v[86:87]
	s_waitcnt vmcnt(0)
	v_mul_f64 v[106:107], v[54:55], v[86:87]
	v_mul_f64 v[112:113], v[52:53], v[86:87]
	v_fma_f64 v[86:87], v[64:65], v[84:85], -v[88:89]
	v_fma_f64 v[88:89], v[66:67], v[84:85], v[90:91]
	v_fma_f64 v[90:91], v[60:61], v[84:85], -v[92:93]
	v_fma_f64 v[92:93], v[62:63], v[84:85], v[94:95]
	;; [unrolled: 2-line block ×4, first 2 shown]
	v_add_co_u32 v84, s1, v98, s12
	s_delay_alu instid0(VALU_DEP_1) | instskip(NEXT) | instid1(VALU_DEP_2)
	v_add_co_ci_u32_e64 v85, s1, s11, v99, s1
	v_add_co_u32 v124, s1, v84, s4
	s_delay_alu instid0(VALU_DEP_1) | instskip(NEXT) | instid1(VALU_DEP_2)
	v_add_co_ci_u32_e64 v125, s1, s5, v85, s1
	;; [unrolled: 3-line block ×3, first 2 shown]
	v_add_co_u32 v147, s1, v136, s4
	s_delay_alu instid0(VALU_DEP_1)
	v_add_co_ci_u32_e64 v148, s1, s5, v137, s1
	ds_store_b128 v159, v[86:89]
	ds_load_b128 v[112:115], v158 offset:528
	ds_store_b128 v159, v[90:93] offset:1072
	ds_load_b128 v[104:107], v158 offset:544
	ds_store_b128 v159, v[94:97] offset:2144
	;; [unrolled: 2-line block ×3, first 2 shown]
	s_waitcnt lgkmcnt(0)
	s_barrier
	buffer_gl0_inv
	ds_load_b128 v[177:180], v157
	ds_load_b128 v[181:184], v157 offset:16
	ds_load_b128 v[185:188], v157 offset:32
	;; [unrolled: 1-line block ×3, first 2 shown]
	s_waitcnt lgkmcnt(0)
	s_barrier
	buffer_gl0_inv
	flat_load_b128 v[88:91], v[84:85]
	flat_load_b128 v[84:87], v[124:125]
	;; [unrolled: 1-line block ×3, first 2 shown]
	ds_load_b128 v[132:135], v154
	ds_load_b128 v[124:127], v158 offset:768
	v_add_f64 v[177:178], v[177:178], 0
	v_add_f64 v[179:180], v[179:180], 0
	s_delay_alu instid0(VALU_DEP_2) | instskip(NEXT) | instid1(VALU_DEP_2)
	v_add_f64 v[165:166], v[177:178], v[181:182]
	v_add_f64 v[167:168], v[179:180], v[183:184]
	s_delay_alu instid0(VALU_DEP_2) | instskip(NEXT) | instid1(VALU_DEP_2)
	v_add_f64 v[165:166], v[165:166], v[185:186]
	v_add_f64 v[167:168], v[167:168], v[187:188]
	s_waitcnt vmcnt(2) lgkmcnt(1)
	v_mul_f64 v[120:121], v[90:91], v[134:135]
	v_mul_f64 v[122:123], v[88:89], v[134:135]
	s_waitcnt vmcnt(1)
	v_mul_f64 v[193:194], v[86:87], v[134:135]
	v_mul_f64 v[195:196], v[84:85], v[134:135]
	s_waitcnt vmcnt(0)
	v_mul_f64 v[197:198], v[94:95], v[134:135]
	v_mul_f64 v[199:200], v[92:93], v[134:135]
	v_fma_f64 v[136:137], v[88:89], v[132:133], -v[120:121]
	v_fma_f64 v[138:139], v[90:91], v[132:133], v[122:123]
	flat_load_b128 v[120:123], v[147:148]
	v_fma_f64 v[193:194], v[84:85], v[132:133], -v[193:194]
	v_fma_f64 v[195:196], v[86:87], v[132:133], v[195:196]
	v_fma_f64 v[197:198], v[92:93], v[132:133], -v[197:198]
	v_fma_f64 v[199:200], v[94:95], v[132:133], v[199:200]
	ds_store_b128 v159, v[136:139]
	ds_load_b128 v[136:139], v158 offset:784
	ds_store_b128 v159, v[193:196] offset:1072
	s_waitcnt vmcnt(0) lgkmcnt(3)
	v_mul_f64 v[201:202], v[122:123], v[134:135]
	v_mul_f64 v[134:135], v[120:121], v[134:135]
	s_delay_alu instid0(VALU_DEP_2) | instskip(NEXT) | instid1(VALU_DEP_2)
	v_fma_f64 v[201:202], v[120:121], v[132:133], -v[201:202]
	v_fma_f64 v[203:204], v[122:123], v[132:133], v[134:135]
	ds_load_b128 v[132:135], v158 offset:800
	ds_store_b128 v159, v[197:200] offset:2144
	ds_load_b128 v[128:131], v158 offset:816
	v_add_f64 v[197:198], v[205:206], v[140:141]
	v_add_f64 v[199:200], v[207:208], v[142:143]
	ds_store_b128 v159, v[201:204] offset:3216
	s_waitcnt lgkmcnt(0)
	s_barrier
	buffer_gl0_inv
	ds_load_b128 v[193:196], v157
	ds_load_b128 v[140:143], v157 offset:16
	v_add_f64 v[181:182], v[197:198], v[116:117]
	v_add_f64 v[183:184], v[199:200], v[118:119]
	ds_load_b128 v[116:119], v157 offset:48
	s_waitcnt lgkmcnt(2)
	v_add_f64 v[193:194], v[193:194], 0
	v_add_f64 v[195:196], v[195:196], 0
	;; [unrolled: 1-line block ×4, first 2 shown]
	s_waitcnt lgkmcnt(1)
	s_delay_alu instid0(VALU_DEP_4) | instskip(NEXT) | instid1(VALU_DEP_4)
	v_add_f64 v[177:178], v[193:194], v[140:141]
	v_add_f64 v[179:180], v[195:196], v[142:143]
	ds_load_b128 v[140:143], v157 offset:32
	s_waitcnt lgkmcnt(0)
	s_barrier
	buffer_gl0_inv
	v_add_f64 v[169:170], v[177:178], v[140:141]
	v_add_f64 v[171:172], v[179:180], v[142:143]
	v_add_f64 v[140:141], v[161:162], v[173:174]
	v_add_f64 v[142:143], v[163:164], v[175:176]
	v_add_f64 v[161:162], v[165:166], v[189:190]
	v_add_f64 v[163:164], v[167:168], v[191:192]
	v_add_f64 v[116:117], v[169:170], v[116:117]
	v_add_f64 v[118:119], v[171:172], v[118:119]
	ds_store_b128 v160, v[108:111]
	ds_store_b128 v160, v[140:143] offset:256
	ds_store_b128 v160, v[161:164] offset:512
	;; [unrolled: 1-line block ×3, first 2 shown]
	s_waitcnt lgkmcnt(0)
	s_barrier
	buffer_gl0_inv
	s_and_saveexec_b32 s7, s0
	s_cbranch_execz .LBB195_100
; %bb.104:                              ;   in Loop: Header=BB195_101 Depth=1
	ds_load_b128 v[108:111], v155
	ds_load_b128 v[116:119], v155 offset:16
	s_waitcnt lgkmcnt(0)
	v_add_f64 v[140:141], v[116:117], v[108:109]
	v_add_f64 v[142:143], v[118:119], v[110:111]
	ds_load_b128 v[108:111], v155 offset:32
	ds_load_b128 v[116:119], v155 offset:48
	s_waitcnt lgkmcnt(1)
	v_add_f64 v[108:109], v[140:141], v[108:109]
	v_add_f64 v[110:111], v[142:143], v[110:111]
	s_waitcnt lgkmcnt(0)
	s_delay_alu instid0(VALU_DEP_2) | instskip(NEXT) | instid1(VALU_DEP_2)
	v_add_f64 v[140:141], v[108:109], v[116:117]
	v_add_f64 v[142:143], v[110:111], v[118:119]
	ds_load_b128 v[108:111], v155 offset:64
	ds_load_b128 v[116:119], v155 offset:80
	s_waitcnt lgkmcnt(1)
	v_add_f64 v[108:109], v[140:141], v[108:109]
	v_add_f64 v[110:111], v[142:143], v[110:111]
	s_waitcnt lgkmcnt(0)
	s_delay_alu instid0(VALU_DEP_2) | instskip(NEXT) | instid1(VALU_DEP_2)
	;; [unrolled: 9-line block ×6, first 2 shown]
	v_add_f64 v[140:141], v[108:109], v[116:117]
	v_add_f64 v[142:143], v[110:111], v[118:119]
	ds_load_b128 v[108:111], v155 offset:224
	ds_load_b128 v[116:119], v156
	s_waitcnt lgkmcnt(1)
	v_add_f64 v[108:109], v[140:141], v[108:109]
	v_add_f64 v[110:111], v[142:143], v[110:111]
	s_waitcnt lgkmcnt(0)
	s_delay_alu instid0(VALU_DEP_2) | instskip(NEXT) | instid1(VALU_DEP_2)
	v_add_f64 v[108:109], v[108:109], v[116:117]
	v_add_f64 v[110:111], v[110:111], v[118:119]
	v_lshlrev_b64 v[116:117], 4, v[145:146]
	s_delay_alu instid0(VALU_DEP_1) | instskip(NEXT) | instid1(VALU_DEP_1)
	v_add_co_u32 v116, s1, s8, v116
	v_add_co_ci_u32_e64 v117, s1, s9, v117, s1
	global_store_b128 v[116:117], v[108:111], off
	s_branch .LBB195_100
.LBB195_105:
	v_mad_u32_u24 v4, 0x430, v149, v150
	s_or_b32 s0, s2, vcc_lo
	s_delay_alu instid0(SALU_CYCLE_1)
	s_xor_b32 s0, s0, -1
	ds_store_b128 v4, v[0:3]
	s_waitcnt lgkmcnt(0)
	s_barrier
	buffer_gl0_inv
	s_and_saveexec_b32 s1, s0
	s_cbranch_execz .LBB195_107
; %bb.106:
	ds_load_b128 v[0:3], v150 offset:1072
	ds_load_b128 v[4:7], v150
	v_ashrrev_i32_e32 v145, 31, v144
	s_waitcnt lgkmcnt(0)
	v_add_f64 v[8:9], v[0:1], v[4:5]
	v_add_f64 v[10:11], v[2:3], v[6:7]
	ds_load_b128 v[0:3], v150 offset:2144
	ds_load_b128 v[4:7], v150 offset:3216
	s_waitcnt lgkmcnt(1)
	v_add_f64 v[0:1], v[8:9], v[0:1]
	v_add_f64 v[2:3], v[10:11], v[2:3]
	s_waitcnt lgkmcnt(0)
	s_delay_alu instid0(VALU_DEP_2) | instskip(NEXT) | instid1(VALU_DEP_2)
	v_add_f64 v[0:1], v[0:1], v[4:5]
	v_add_f64 v[2:3], v[2:3], v[6:7]
	v_lshlrev_b64 v[4:5], 4, v[144:145]
	s_delay_alu instid0(VALU_DEP_1) | instskip(NEXT) | instid1(VALU_DEP_2)
	v_add_co_u32 v4, vcc_lo, s8, v4
	v_add_co_ci_u32_e32 v5, vcc_lo, s9, v5, vcc_lo
	global_store_b128 v[4:5], v[0:3], off
.LBB195_107:
	s_nop 0
	s_sendmsg sendmsg(MSG_DEALLOC_VGPRS)
	s_endpgm
	.section	.rodata,"a",@progbits
	.p2align	6, 0x0
	.amdhsa_kernel _ZL26rocblas_hemvn_kernel_lowerILb0ELi64ELi4ELi33ELi32ELi16Ei19rocblas_complex_numIdEPKPKS1_PS1_EviT6_lT7_lT5_lS8_lS9_lS7_lT8_i
		.amdhsa_group_segment_fixed_size 19200
		.amdhsa_private_segment_fixed_size 0
		.amdhsa_kernarg_size 392
		.amdhsa_user_sgpr_count 14
		.amdhsa_user_sgpr_dispatch_ptr 0
		.amdhsa_user_sgpr_queue_ptr 0
		.amdhsa_user_sgpr_kernarg_segment_ptr 1
		.amdhsa_user_sgpr_dispatch_id 0
		.amdhsa_user_sgpr_private_segment_size 0
		.amdhsa_wavefront_size32 1
		.amdhsa_uses_dynamic_stack 0
		.amdhsa_enable_private_segment 0
		.amdhsa_system_sgpr_workgroup_id_x 1
		.amdhsa_system_sgpr_workgroup_id_y 0
		.amdhsa_system_sgpr_workgroup_id_z 1
		.amdhsa_system_sgpr_workgroup_info 0
		.amdhsa_system_vgpr_workitem_id 1
		.amdhsa_next_free_vgpr 209
		.amdhsa_next_free_sgpr 30
		.amdhsa_reserve_vcc 1
		.amdhsa_float_round_mode_32 0
		.amdhsa_float_round_mode_16_64 0
		.amdhsa_float_denorm_mode_32 3
		.amdhsa_float_denorm_mode_16_64 3
		.amdhsa_dx10_clamp 1
		.amdhsa_ieee_mode 1
		.amdhsa_fp16_overflow 0
		.amdhsa_workgroup_processor_mode 1
		.amdhsa_memory_ordered 1
		.amdhsa_forward_progress 0
		.amdhsa_shared_vgpr_count 0
		.amdhsa_exception_fp_ieee_invalid_op 0
		.amdhsa_exception_fp_denorm_src 0
		.amdhsa_exception_fp_ieee_div_zero 0
		.amdhsa_exception_fp_ieee_overflow 0
		.amdhsa_exception_fp_ieee_underflow 0
		.amdhsa_exception_fp_ieee_inexact 0
		.amdhsa_exception_int_div_zero 0
	.end_amdhsa_kernel
	.section	.text._ZL26rocblas_hemvn_kernel_lowerILb0ELi64ELi4ELi33ELi32ELi16Ei19rocblas_complex_numIdEPKPKS1_PS1_EviT6_lT7_lT5_lS8_lS9_lS7_lT8_i,"axG",@progbits,_ZL26rocblas_hemvn_kernel_lowerILb0ELi64ELi4ELi33ELi32ELi16Ei19rocblas_complex_numIdEPKPKS1_PS1_EviT6_lT7_lT5_lS8_lS9_lS7_lT8_i,comdat
.Lfunc_end195:
	.size	_ZL26rocblas_hemvn_kernel_lowerILb0ELi64ELi4ELi33ELi32ELi16Ei19rocblas_complex_numIdEPKPKS1_PS1_EviT6_lT7_lT5_lS8_lS9_lS7_lT8_i, .Lfunc_end195-_ZL26rocblas_hemvn_kernel_lowerILb0ELi64ELi4ELi33ELi32ELi16Ei19rocblas_complex_numIdEPKPKS1_PS1_EviT6_lT7_lT5_lS8_lS9_lS7_lT8_i
                                        ; -- End function
	.section	.AMDGPU.csdata,"",@progbits
; Kernel info:
; codeLenInByte = 10380
; NumSgprs: 32
; NumVgprs: 209
; ScratchSize: 0
; MemoryBound: 0
; FloatMode: 240
; IeeeMode: 1
; LDSByteSize: 19200 bytes/workgroup (compile time only)
; SGPRBlocks: 3
; VGPRBlocks: 26
; NumSGPRsForWavesPerEU: 32
; NumVGPRsForWavesPerEU: 209
; Occupancy: 7
; WaveLimiterHint : 1
; COMPUTE_PGM_RSRC2:SCRATCH_EN: 0
; COMPUTE_PGM_RSRC2:USER_SGPR: 14
; COMPUTE_PGM_RSRC2:TRAP_HANDLER: 0
; COMPUTE_PGM_RSRC2:TGID_X_EN: 1
; COMPUTE_PGM_RSRC2:TGID_Y_EN: 0
; COMPUTE_PGM_RSRC2:TGID_Z_EN: 1
; COMPUTE_PGM_RSRC2:TIDIG_COMP_CNT: 1
	.text
	.p2alignl 7, 3214868480
	.fill 96, 4, 3214868480
	.type	__hip_cuid_e818a6888d725dc1,@object ; @__hip_cuid_e818a6888d725dc1
	.section	.bss,"aw",@nobits
	.globl	__hip_cuid_e818a6888d725dc1
__hip_cuid_e818a6888d725dc1:
	.byte	0                               ; 0x0
	.size	__hip_cuid_e818a6888d725dc1, 1

	.ident	"AMD clang version 19.0.0git (https://github.com/RadeonOpenCompute/llvm-project roc-6.4.0 25133 c7fe45cf4b819c5991fe208aaa96edf142730f1d)"
	.section	".note.GNU-stack","",@progbits
	.addrsig
	.addrsig_sym __hip_cuid_e818a6888d725dc1
	.amdgpu_metadata
---
amdhsa.kernels:
  - .args:
      - .offset:         0
        .size:           4
        .value_kind:     by_value
      - .address_space:  global
        .offset:         8
        .size:           8
        .value_kind:     global_buffer
      - .offset:         16
        .size:           8
        .value_kind:     by_value
      - .address_space:  global
        .offset:         24
        .size:           8
        .value_kind:     global_buffer
      - .offset:         32
        .size:           8
        .value_kind:     by_value
      - .offset:         40
        .size:           8
        .value_kind:     by_value
      - .offset:         48
        .size:           8
        .value_kind:     by_value
      - .address_space:  global
        .offset:         56
        .size:           8
        .value_kind:     global_buffer
      - .offset:         64
        .size:           8
        .value_kind:     by_value
      - .offset:         72
        .size:           8
        .value_kind:     by_value
      - .offset:         80
        .size:           8
        .value_kind:     by_value
      - .address_space:  global
        .offset:         88
        .size:           8
        .value_kind:     global_buffer
      - .offset:         96
        .size:           8
        .value_kind:     by_value
      - .address_space:  global
        .offset:         104
        .size:           8
        .value_kind:     global_buffer
      - .offset:         112
        .size:           4
        .value_kind:     by_value
      - .offset:         120
        .size:           4
        .value_kind:     hidden_block_count_x
      - .offset:         124
        .size:           4
        .value_kind:     hidden_block_count_y
      - .offset:         128
        .size:           4
        .value_kind:     hidden_block_count_z
      - .offset:         132
        .size:           2
        .value_kind:     hidden_group_size_x
      - .offset:         134
        .size:           2
        .value_kind:     hidden_group_size_y
      - .offset:         136
        .size:           2
        .value_kind:     hidden_group_size_z
      - .offset:         138
        .size:           2
        .value_kind:     hidden_remainder_x
      - .offset:         140
        .size:           2
        .value_kind:     hidden_remainder_y
      - .offset:         142
        .size:           2
        .value_kind:     hidden_remainder_z
      - .offset:         160
        .size:           8
        .value_kind:     hidden_global_offset_x
      - .offset:         168
        .size:           8
        .value_kind:     hidden_global_offset_y
      - .offset:         176
        .size:           8
        .value_kind:     hidden_global_offset_z
      - .offset:         184
        .size:           2
        .value_kind:     hidden_grid_dims
    .group_segment_fixed_size: 9600
    .kernarg_segment_align: 8
    .kernarg_segment_size: 376
    .language:       OpenCL C
    .language_version:
      - 2
      - 0
    .max_flat_workgroup_size: 256
    .name:           _ZL26rocblas_hemvn_kernel_upperILb1ELi64ELi4ELi33ELi32ELi16ElPK19rocblas_complex_numIfES3_PS1_EviT6_lT7_lT5_lS6_lS7_lS5_lT8_i
    .private_segment_fixed_size: 0
    .sgpr_count:     46
    .sgpr_spill_count: 0
    .symbol:         _ZL26rocblas_hemvn_kernel_upperILb1ELi64ELi4ELi33ELi32ELi16ElPK19rocblas_complex_numIfES3_PS1_EviT6_lT7_lT5_lS6_lS7_lS5_lT8_i.kd
    .uniform_work_group_size: 1
    .uses_dynamic_stack: false
    .vgpr_count:     161
    .vgpr_spill_count: 0
    .wavefront_size: 32
    .workgroup_processor_mode: 1
  - .args:
      - .offset:         0
        .size:           4
        .value_kind:     by_value
      - .address_space:  global
        .offset:         8
        .size:           8
        .value_kind:     global_buffer
      - .offset:         16
        .size:           8
        .value_kind:     by_value
      - .address_space:  global
        .offset:         24
        .size:           8
        .value_kind:     global_buffer
      - .offset:         32
        .size:           8
        .value_kind:     by_value
      - .address_space:  global
        .offset:         40
        .size:           8
        .value_kind:     global_buffer
      - .offset:         48
        .size:           8
        .value_kind:     by_value
      - .offset:         56
        .size:           8
        .value_kind:     by_value
      - .offset:         64
        .size:           8
        .value_kind:     by_value
      - .address_space:  global
        .offset:         72
        .size:           8
        .value_kind:     global_buffer
      - .offset:         80
        .size:           4
        .value_kind:     by_value
      - .offset:         88
        .size:           4
        .value_kind:     hidden_block_count_x
      - .offset:         92
        .size:           4
        .value_kind:     hidden_block_count_y
      - .offset:         96
        .size:           4
        .value_kind:     hidden_block_count_z
      - .offset:         100
        .size:           2
        .value_kind:     hidden_group_size_x
      - .offset:         102
        .size:           2
        .value_kind:     hidden_group_size_y
      - .offset:         104
        .size:           2
        .value_kind:     hidden_group_size_z
      - .offset:         106
        .size:           2
        .value_kind:     hidden_remainder_x
      - .offset:         108
        .size:           2
        .value_kind:     hidden_remainder_y
      - .offset:         110
        .size:           2
        .value_kind:     hidden_remainder_z
      - .offset:         128
        .size:           8
        .value_kind:     hidden_global_offset_x
      - .offset:         136
        .size:           8
        .value_kind:     hidden_global_offset_y
      - .offset:         144
        .size:           8
        .value_kind:     hidden_global_offset_z
      - .offset:         152
        .size:           2
        .value_kind:     hidden_grid_dims
    .group_segment_fixed_size: 0
    .kernarg_segment_align: 8
    .kernarg_segment_size: 344
    .language:       OpenCL C
    .language_version:
      - 2
      - 0
    .max_flat_workgroup_size: 64
    .name:           _ZL36rocblas_hemvn_kernel_upper_block_sumILi64ElPK19rocblas_complex_numIfEPS1_S1_EviT1_lS5_lT2_lT0_lPT3_i
    .private_segment_fixed_size: 0
    .sgpr_count:     23
    .sgpr_spill_count: 0
    .symbol:         _ZL36rocblas_hemvn_kernel_upper_block_sumILi64ElPK19rocblas_complex_numIfEPS1_S1_EviT1_lS5_lT2_lT0_lPT3_i.kd
    .uniform_work_group_size: 1
    .uses_dynamic_stack: false
    .vgpr_count:     8
    .vgpr_spill_count: 0
    .wavefront_size: 32
    .workgroup_processor_mode: 1
  - .args:
      - .offset:         0
        .size:           4
        .value_kind:     by_value
      - .address_space:  global
        .offset:         8
        .size:           8
        .value_kind:     global_buffer
      - .offset:         16
        .size:           8
        .value_kind:     by_value
      - .address_space:  global
        .offset:         24
        .size:           8
        .value_kind:     global_buffer
      - .offset:         32
        .size:           8
        .value_kind:     by_value
      - .offset:         40
        .size:           4
        .value_kind:     by_value
      - .offset:         48
        .size:           8
        .value_kind:     by_value
      - .address_space:  global
        .offset:         56
        .size:           8
        .value_kind:     global_buffer
      - .offset:         64
        .size:           8
        .value_kind:     by_value
      - .offset:         72
        .size:           4
        .value_kind:     by_value
      - .offset:         80
        .size:           8
        .value_kind:     by_value
      - .address_space:  global
        .offset:         88
        .size:           8
        .value_kind:     global_buffer
      - .offset:         96
        .size:           8
        .value_kind:     by_value
      - .address_space:  global
        .offset:         104
        .size:           8
        .value_kind:     global_buffer
      - .offset:         112
        .size:           4
        .value_kind:     by_value
      - .offset:         120
        .size:           4
        .value_kind:     hidden_block_count_x
      - .offset:         124
        .size:           4
        .value_kind:     hidden_block_count_y
      - .offset:         128
        .size:           4
        .value_kind:     hidden_block_count_z
      - .offset:         132
        .size:           2
        .value_kind:     hidden_group_size_x
      - .offset:         134
        .size:           2
        .value_kind:     hidden_group_size_y
      - .offset:         136
        .size:           2
        .value_kind:     hidden_group_size_z
      - .offset:         138
        .size:           2
        .value_kind:     hidden_remainder_x
      - .offset:         140
        .size:           2
        .value_kind:     hidden_remainder_y
      - .offset:         142
        .size:           2
        .value_kind:     hidden_remainder_z
      - .offset:         160
        .size:           8
        .value_kind:     hidden_global_offset_x
      - .offset:         168
        .size:           8
        .value_kind:     hidden_global_offset_y
      - .offset:         176
        .size:           8
        .value_kind:     hidden_global_offset_z
      - .offset:         184
        .size:           2
        .value_kind:     hidden_grid_dims
    .group_segment_fixed_size: 9600
    .kernarg_segment_align: 8
    .kernarg_segment_size: 376
    .language:       OpenCL C
    .language_version:
      - 2
      - 0
    .max_flat_workgroup_size: 256
    .name:           _ZL26rocblas_hemvn_kernel_upperILb1ELi64ELi4ELi33ELi32ELi16EiPK19rocblas_complex_numIfES3_PS1_EviT6_lT7_lT5_lS6_lS7_lS5_lT8_i
    .private_segment_fixed_size: 0
    .sgpr_count:     37
    .sgpr_spill_count: 0
    .symbol:         _ZL26rocblas_hemvn_kernel_upperILb1ELi64ELi4ELi33ELi32ELi16EiPK19rocblas_complex_numIfES3_PS1_EviT6_lT7_lT5_lS6_lS7_lS5_lT8_i.kd
    .uniform_work_group_size: 1
    .uses_dynamic_stack: false
    .vgpr_count:     171
    .vgpr_spill_count: 0
    .wavefront_size: 32
    .workgroup_processor_mode: 1
  - .args:
      - .offset:         0
        .size:           4
        .value_kind:     by_value
      - .address_space:  global
        .offset:         8
        .size:           8
        .value_kind:     global_buffer
      - .offset:         16
        .size:           8
        .value_kind:     by_value
      - .address_space:  global
        .offset:         24
        .size:           8
        .value_kind:     global_buffer
      - .offset:         32
        .size:           8
        .value_kind:     by_value
      - .address_space:  global
        .offset:         40
        .size:           8
        .value_kind:     global_buffer
      - .offset:         48
        .size:           8
        .value_kind:     by_value
      - .offset:         56
        .size:           4
        .value_kind:     by_value
      - .offset:         64
        .size:           8
        .value_kind:     by_value
      - .address_space:  global
        .offset:         72
        .size:           8
        .value_kind:     global_buffer
      - .offset:         80
        .size:           4
        .value_kind:     by_value
      - .offset:         88
        .size:           4
        .value_kind:     hidden_block_count_x
      - .offset:         92
        .size:           4
        .value_kind:     hidden_block_count_y
      - .offset:         96
        .size:           4
        .value_kind:     hidden_block_count_z
      - .offset:         100
        .size:           2
        .value_kind:     hidden_group_size_x
      - .offset:         102
        .size:           2
        .value_kind:     hidden_group_size_y
      - .offset:         104
        .size:           2
        .value_kind:     hidden_group_size_z
      - .offset:         106
        .size:           2
        .value_kind:     hidden_remainder_x
      - .offset:         108
        .size:           2
        .value_kind:     hidden_remainder_y
      - .offset:         110
        .size:           2
        .value_kind:     hidden_remainder_z
      - .offset:         128
        .size:           8
        .value_kind:     hidden_global_offset_x
      - .offset:         136
        .size:           8
        .value_kind:     hidden_global_offset_y
      - .offset:         144
        .size:           8
        .value_kind:     hidden_global_offset_z
      - .offset:         152
        .size:           2
        .value_kind:     hidden_grid_dims
    .group_segment_fixed_size: 0
    .kernarg_segment_align: 8
    .kernarg_segment_size: 344
    .language:       OpenCL C
    .language_version:
      - 2
      - 0
    .max_flat_workgroup_size: 64
    .name:           _ZL36rocblas_hemvn_kernel_upper_block_sumILi64EiPK19rocblas_complex_numIfEPS1_S1_EviT1_lS5_lT2_lT0_lPT3_i
    .private_segment_fixed_size: 0
    .sgpr_count:     26
    .sgpr_spill_count: 0
    .symbol:         _ZL36rocblas_hemvn_kernel_upper_block_sumILi64EiPK19rocblas_complex_numIfEPS1_S1_EviT1_lS5_lT2_lT0_lPT3_i.kd
    .uniform_work_group_size: 1
    .uses_dynamic_stack: false
    .vgpr_count:     7
    .vgpr_spill_count: 0
    .wavefront_size: 32
    .workgroup_processor_mode: 1
  - .args:
      - .offset:         0
        .size:           4
        .value_kind:     by_value
      - .offset:         4
        .size:           8
        .value_kind:     by_value
      - .offset:         16
        .size:           8
        .value_kind:     by_value
      - .address_space:  global
        .offset:         24
        .size:           8
        .value_kind:     global_buffer
      - .offset:         32
        .size:           8
        .value_kind:     by_value
      - .offset:         40
        .size:           8
        .value_kind:     by_value
      - .offset:         48
        .size:           8
        .value_kind:     by_value
      - .address_space:  global
        .offset:         56
        .size:           8
        .value_kind:     global_buffer
      - .offset:         64
        .size:           8
        .value_kind:     by_value
      - .offset:         72
        .size:           8
        .value_kind:     by_value
      - .offset:         80
        .size:           8
        .value_kind:     by_value
      - .offset:         88
        .size:           8
        .value_kind:     by_value
      - .offset:         96
        .size:           8
        .value_kind:     by_value
      - .address_space:  global
        .offset:         104
        .size:           8
        .value_kind:     global_buffer
      - .offset:         112
        .size:           4
        .value_kind:     by_value
      - .offset:         120
        .size:           4
        .value_kind:     hidden_block_count_x
      - .offset:         124
        .size:           4
        .value_kind:     hidden_block_count_y
      - .offset:         128
        .size:           4
        .value_kind:     hidden_block_count_z
      - .offset:         132
        .size:           2
        .value_kind:     hidden_group_size_x
      - .offset:         134
        .size:           2
        .value_kind:     hidden_group_size_y
      - .offset:         136
        .size:           2
        .value_kind:     hidden_group_size_z
      - .offset:         138
        .size:           2
        .value_kind:     hidden_remainder_x
      - .offset:         140
        .size:           2
        .value_kind:     hidden_remainder_y
      - .offset:         142
        .size:           2
        .value_kind:     hidden_remainder_z
      - .offset:         160
        .size:           8
        .value_kind:     hidden_global_offset_x
      - .offset:         168
        .size:           8
        .value_kind:     hidden_global_offset_y
      - .offset:         176
        .size:           8
        .value_kind:     hidden_global_offset_z
      - .offset:         184
        .size:           2
        .value_kind:     hidden_grid_dims
    .group_segment_fixed_size: 9600
    .kernarg_segment_align: 8
    .kernarg_segment_size: 376
    .language:       OpenCL C
    .language_version:
      - 2
      - 0
    .max_flat_workgroup_size: 256
    .name:           _ZL26rocblas_hemvn_kernel_upperILb1ELi64ELi4ELi33ELi32ELi16El19rocblas_complex_numIfEPKS1_PS1_EviT6_lT7_lT5_lS6_lS7_lS5_lT8_i
    .private_segment_fixed_size: 0
    .sgpr_count:     34
    .sgpr_spill_count: 0
    .symbol:         _ZL26rocblas_hemvn_kernel_upperILb1ELi64ELi4ELi33ELi32ELi16El19rocblas_complex_numIfEPKS1_PS1_EviT6_lT7_lT5_lS6_lS7_lS5_lT8_i.kd
    .uniform_work_group_size: 1
    .uses_dynamic_stack: false
    .vgpr_count:     161
    .vgpr_spill_count: 0
    .wavefront_size: 32
    .workgroup_processor_mode: 1
  - .args:
      - .offset:         0
        .size:           4
        .value_kind:     by_value
      - .offset:         4
        .size:           8
        .value_kind:     by_value
      - .offset:         16
        .size:           8
        .value_kind:     by_value
      - .offset:         24
        .size:           8
        .value_kind:     by_value
      - .offset:         32
        .size:           8
        .value_kind:     by_value
      - .address_space:  global
        .offset:         40
        .size:           8
        .value_kind:     global_buffer
      - .offset:         48
        .size:           8
        .value_kind:     by_value
      - .offset:         56
        .size:           8
        .value_kind:     by_value
      - .offset:         64
        .size:           8
        .value_kind:     by_value
      - .address_space:  global
        .offset:         72
        .size:           8
        .value_kind:     global_buffer
      - .offset:         80
        .size:           4
        .value_kind:     by_value
      - .offset:         88
        .size:           4
        .value_kind:     hidden_block_count_x
      - .offset:         92
        .size:           4
        .value_kind:     hidden_block_count_y
      - .offset:         96
        .size:           4
        .value_kind:     hidden_block_count_z
      - .offset:         100
        .size:           2
        .value_kind:     hidden_group_size_x
      - .offset:         102
        .size:           2
        .value_kind:     hidden_group_size_y
      - .offset:         104
        .size:           2
        .value_kind:     hidden_group_size_z
      - .offset:         106
        .size:           2
        .value_kind:     hidden_remainder_x
      - .offset:         108
        .size:           2
        .value_kind:     hidden_remainder_y
      - .offset:         110
        .size:           2
        .value_kind:     hidden_remainder_z
      - .offset:         128
        .size:           8
        .value_kind:     hidden_global_offset_x
      - .offset:         136
        .size:           8
        .value_kind:     hidden_global_offset_y
      - .offset:         144
        .size:           8
        .value_kind:     hidden_global_offset_z
      - .offset:         152
        .size:           2
        .value_kind:     hidden_grid_dims
    .group_segment_fixed_size: 0
    .kernarg_segment_align: 8
    .kernarg_segment_size: 344
    .language:       OpenCL C
    .language_version:
      - 2
      - 0
    .max_flat_workgroup_size: 64
    .name:           _ZL36rocblas_hemvn_kernel_upper_block_sumILi64El19rocblas_complex_numIfEPS1_S1_EviT1_lS3_lT2_lT0_lPT3_i
    .private_segment_fixed_size: 0
    .sgpr_count:     23
    .sgpr_spill_count: 0
    .symbol:         _ZL36rocblas_hemvn_kernel_upper_block_sumILi64El19rocblas_complex_numIfEPS1_S1_EviT1_lS3_lT2_lT0_lPT3_i.kd
    .uniform_work_group_size: 1
    .uses_dynamic_stack: false
    .vgpr_count:     8
    .vgpr_spill_count: 0
    .wavefront_size: 32
    .workgroup_processor_mode: 1
  - .args:
      - .offset:         0
        .size:           4
        .value_kind:     by_value
      - .offset:         4
        .size:           8
        .value_kind:     by_value
      - .offset:         16
        .size:           8
        .value_kind:     by_value
      - .address_space:  global
        .offset:         24
        .size:           8
        .value_kind:     global_buffer
      - .offset:         32
        .size:           8
        .value_kind:     by_value
      - .offset:         40
        .size:           4
        .value_kind:     by_value
      - .offset:         48
        .size:           8
        .value_kind:     by_value
      - .address_space:  global
        .offset:         56
        .size:           8
        .value_kind:     global_buffer
      - .offset:         64
        .size:           8
        .value_kind:     by_value
      - .offset:         72
        .size:           4
        .value_kind:     by_value
      - .offset:         80
        .size:           8
        .value_kind:     by_value
      - .offset:         88
        .size:           8
        .value_kind:     by_value
      - .offset:         96
        .size:           8
        .value_kind:     by_value
      - .address_space:  global
        .offset:         104
        .size:           8
        .value_kind:     global_buffer
      - .offset:         112
        .size:           4
        .value_kind:     by_value
      - .offset:         120
        .size:           4
        .value_kind:     hidden_block_count_x
      - .offset:         124
        .size:           4
        .value_kind:     hidden_block_count_y
      - .offset:         128
        .size:           4
        .value_kind:     hidden_block_count_z
      - .offset:         132
        .size:           2
        .value_kind:     hidden_group_size_x
      - .offset:         134
        .size:           2
        .value_kind:     hidden_group_size_y
      - .offset:         136
        .size:           2
        .value_kind:     hidden_group_size_z
      - .offset:         138
        .size:           2
        .value_kind:     hidden_remainder_x
      - .offset:         140
        .size:           2
        .value_kind:     hidden_remainder_y
      - .offset:         142
        .size:           2
        .value_kind:     hidden_remainder_z
      - .offset:         160
        .size:           8
        .value_kind:     hidden_global_offset_x
      - .offset:         168
        .size:           8
        .value_kind:     hidden_global_offset_y
      - .offset:         176
        .size:           8
        .value_kind:     hidden_global_offset_z
      - .offset:         184
        .size:           2
        .value_kind:     hidden_grid_dims
    .group_segment_fixed_size: 9600
    .kernarg_segment_align: 8
    .kernarg_segment_size: 376
    .language:       OpenCL C
    .language_version:
      - 2
      - 0
    .max_flat_workgroup_size: 256
    .name:           _ZL26rocblas_hemvn_kernel_upperILb1ELi64ELi4ELi33ELi32ELi16Ei19rocblas_complex_numIfEPKS1_PS1_EviT6_lT7_lT5_lS6_lS7_lS5_lT8_i
    .private_segment_fixed_size: 0
    .sgpr_count:     37
    .sgpr_spill_count: 0
    .symbol:         _ZL26rocblas_hemvn_kernel_upperILb1ELi64ELi4ELi33ELi32ELi16Ei19rocblas_complex_numIfEPKS1_PS1_EviT6_lT7_lT5_lS6_lS7_lS5_lT8_i.kd
    .uniform_work_group_size: 1
    .uses_dynamic_stack: false
    .vgpr_count:     171
    .vgpr_spill_count: 0
    .wavefront_size: 32
    .workgroup_processor_mode: 1
  - .args:
      - .offset:         0
        .size:           4
        .value_kind:     by_value
      - .offset:         4
        .size:           8
        .value_kind:     by_value
      - .offset:         16
        .size:           8
        .value_kind:     by_value
      - .offset:         24
        .size:           8
        .value_kind:     by_value
      - .offset:         32
        .size:           8
        .value_kind:     by_value
      - .address_space:  global
        .offset:         40
        .size:           8
        .value_kind:     global_buffer
      - .offset:         48
        .size:           8
        .value_kind:     by_value
      - .offset:         56
        .size:           4
        .value_kind:     by_value
      - .offset:         64
        .size:           8
        .value_kind:     by_value
      - .address_space:  global
        .offset:         72
        .size:           8
        .value_kind:     global_buffer
      - .offset:         80
        .size:           4
        .value_kind:     by_value
      - .offset:         88
        .size:           4
        .value_kind:     hidden_block_count_x
      - .offset:         92
        .size:           4
        .value_kind:     hidden_block_count_y
      - .offset:         96
        .size:           4
        .value_kind:     hidden_block_count_z
      - .offset:         100
        .size:           2
        .value_kind:     hidden_group_size_x
      - .offset:         102
        .size:           2
        .value_kind:     hidden_group_size_y
      - .offset:         104
        .size:           2
        .value_kind:     hidden_group_size_z
      - .offset:         106
        .size:           2
        .value_kind:     hidden_remainder_x
      - .offset:         108
        .size:           2
        .value_kind:     hidden_remainder_y
      - .offset:         110
        .size:           2
        .value_kind:     hidden_remainder_z
      - .offset:         128
        .size:           8
        .value_kind:     hidden_global_offset_x
      - .offset:         136
        .size:           8
        .value_kind:     hidden_global_offset_y
      - .offset:         144
        .size:           8
        .value_kind:     hidden_global_offset_z
      - .offset:         152
        .size:           2
        .value_kind:     hidden_grid_dims
    .group_segment_fixed_size: 0
    .kernarg_segment_align: 8
    .kernarg_segment_size: 344
    .language:       OpenCL C
    .language_version:
      - 2
      - 0
    .max_flat_workgroup_size: 64
    .name:           _ZL36rocblas_hemvn_kernel_upper_block_sumILi64Ei19rocblas_complex_numIfEPS1_S1_EviT1_lS3_lT2_lT0_lPT3_i
    .private_segment_fixed_size: 0
    .sgpr_count:     26
    .sgpr_spill_count: 0
    .symbol:         _ZL36rocblas_hemvn_kernel_upper_block_sumILi64Ei19rocblas_complex_numIfEPS1_S1_EviT1_lS3_lT2_lT0_lPT3_i.kd
    .uniform_work_group_size: 1
    .uses_dynamic_stack: false
    .vgpr_count:     7
    .vgpr_spill_count: 0
    .wavefront_size: 32
    .workgroup_processor_mode: 1
  - .args:
      - .offset:         0
        .size:           4
        .value_kind:     by_value
      - .address_space:  global
        .offset:         8
        .size:           8
        .value_kind:     global_buffer
      - .offset:         16
        .size:           8
        .value_kind:     by_value
      - .address_space:  global
        .offset:         24
        .size:           8
        .value_kind:     global_buffer
      - .offset:         32
        .size:           8
        .value_kind:     by_value
      - .offset:         40
        .size:           8
        .value_kind:     by_value
      - .offset:         48
        .size:           8
        .value_kind:     by_value
      - .address_space:  global
        .offset:         56
        .size:           8
        .value_kind:     global_buffer
      - .offset:         64
        .size:           8
        .value_kind:     by_value
      - .offset:         72
        .size:           8
        .value_kind:     by_value
      - .offset:         80
        .size:           8
        .value_kind:     by_value
      - .address_space:  global
        .offset:         88
        .size:           8
        .value_kind:     global_buffer
      - .offset:         96
        .size:           8
        .value_kind:     by_value
      - .address_space:  global
        .offset:         104
        .size:           8
        .value_kind:     global_buffer
      - .offset:         112
        .size:           4
        .value_kind:     by_value
      - .offset:         120
        .size:           4
        .value_kind:     hidden_block_count_x
      - .offset:         124
        .size:           4
        .value_kind:     hidden_block_count_y
      - .offset:         128
        .size:           4
        .value_kind:     hidden_block_count_z
      - .offset:         132
        .size:           2
        .value_kind:     hidden_group_size_x
      - .offset:         134
        .size:           2
        .value_kind:     hidden_group_size_y
      - .offset:         136
        .size:           2
        .value_kind:     hidden_group_size_z
      - .offset:         138
        .size:           2
        .value_kind:     hidden_remainder_x
      - .offset:         140
        .size:           2
        .value_kind:     hidden_remainder_y
      - .offset:         142
        .size:           2
        .value_kind:     hidden_remainder_z
      - .offset:         160
        .size:           8
        .value_kind:     hidden_global_offset_x
      - .offset:         168
        .size:           8
        .value_kind:     hidden_global_offset_y
      - .offset:         176
        .size:           8
        .value_kind:     hidden_global_offset_z
      - .offset:         184
        .size:           2
        .value_kind:     hidden_grid_dims
    .group_segment_fixed_size: 9600
    .kernarg_segment_align: 8
    .kernarg_segment_size: 376
    .language:       OpenCL C
    .language_version:
      - 2
      - 0
    .max_flat_workgroup_size: 256
    .name:           _ZL26rocblas_hemvn_kernel_lowerILb1ELi64ELi4ELi33ELi32ELi16ElPK19rocblas_complex_numIfES3_PS1_EviT6_lT7_lT5_lS6_lS7_lS5_lT8_i
    .private_segment_fixed_size: 0
    .sgpr_count:     46
    .sgpr_spill_count: 0
    .symbol:         _ZL26rocblas_hemvn_kernel_lowerILb1ELi64ELi4ELi33ELi32ELi16ElPK19rocblas_complex_numIfES3_PS1_EviT6_lT7_lT5_lS6_lS7_lS5_lT8_i.kd
    .uniform_work_group_size: 1
    .uses_dynamic_stack: false
    .vgpr_count:     114
    .vgpr_spill_count: 0
    .wavefront_size: 32
    .workgroup_processor_mode: 1
  - .args:
      - .offset:         0
        .size:           4
        .value_kind:     by_value
      - .address_space:  global
        .offset:         8
        .size:           8
        .value_kind:     global_buffer
      - .offset:         16
        .size:           8
        .value_kind:     by_value
      - .address_space:  global
        .offset:         24
        .size:           8
        .value_kind:     global_buffer
      - .offset:         32
        .size:           8
        .value_kind:     by_value
      - .address_space:  global
        .offset:         40
        .size:           8
        .value_kind:     global_buffer
      - .offset:         48
        .size:           8
        .value_kind:     by_value
      - .offset:         56
        .size:           8
        .value_kind:     by_value
      - .offset:         64
        .size:           8
        .value_kind:     by_value
      - .actual_access:  read_only
        .address_space:  global
        .offset:         72
        .size:           8
        .value_kind:     global_buffer
      - .offset:         80
        .size:           4
        .value_kind:     by_value
      - .offset:         88
        .size:           4
        .value_kind:     hidden_block_count_x
      - .offset:         92
        .size:           4
        .value_kind:     hidden_block_count_y
      - .offset:         96
        .size:           4
        .value_kind:     hidden_block_count_z
      - .offset:         100
        .size:           2
        .value_kind:     hidden_group_size_x
      - .offset:         102
        .size:           2
        .value_kind:     hidden_group_size_y
      - .offset:         104
        .size:           2
        .value_kind:     hidden_group_size_z
      - .offset:         106
        .size:           2
        .value_kind:     hidden_remainder_x
      - .offset:         108
        .size:           2
        .value_kind:     hidden_remainder_y
      - .offset:         110
        .size:           2
        .value_kind:     hidden_remainder_z
      - .offset:         128
        .size:           8
        .value_kind:     hidden_global_offset_x
      - .offset:         136
        .size:           8
        .value_kind:     hidden_global_offset_y
      - .offset:         144
        .size:           8
        .value_kind:     hidden_global_offset_z
      - .offset:         152
        .size:           2
        .value_kind:     hidden_grid_dims
    .group_segment_fixed_size: 0
    .kernarg_segment_align: 8
    .kernarg_segment_size: 344
    .language:       OpenCL C
    .language_version:
      - 2
      - 0
    .max_flat_workgroup_size: 64
    .name:           _ZL36rocblas_hemvn_kernel_lower_block_sumILi64ElPK19rocblas_complex_numIfEPS1_S1_EviT1_lS5_lT2_lT0_lPT3_i
    .private_segment_fixed_size: 0
    .sgpr_count:     26
    .sgpr_spill_count: 0
    .symbol:         _ZL36rocblas_hemvn_kernel_lower_block_sumILi64ElPK19rocblas_complex_numIfEPS1_S1_EviT1_lS5_lT2_lT0_lPT3_i.kd
    .uniform_work_group_size: 1
    .uses_dynamic_stack: false
    .vgpr_count:     8
    .vgpr_spill_count: 0
    .wavefront_size: 32
    .workgroup_processor_mode: 1
  - .args:
      - .offset:         0
        .size:           4
        .value_kind:     by_value
      - .address_space:  global
        .offset:         8
        .size:           8
        .value_kind:     global_buffer
      - .offset:         16
        .size:           8
        .value_kind:     by_value
      - .address_space:  global
        .offset:         24
        .size:           8
        .value_kind:     global_buffer
      - .offset:         32
        .size:           8
        .value_kind:     by_value
      - .offset:         40
        .size:           4
        .value_kind:     by_value
      - .offset:         48
        .size:           8
        .value_kind:     by_value
      - .address_space:  global
        .offset:         56
        .size:           8
        .value_kind:     global_buffer
      - .offset:         64
        .size:           8
        .value_kind:     by_value
      - .offset:         72
        .size:           4
        .value_kind:     by_value
      - .offset:         80
        .size:           8
        .value_kind:     by_value
      - .address_space:  global
        .offset:         88
        .size:           8
        .value_kind:     global_buffer
      - .offset:         96
        .size:           8
        .value_kind:     by_value
      - .address_space:  global
        .offset:         104
        .size:           8
        .value_kind:     global_buffer
      - .offset:         112
        .size:           4
        .value_kind:     by_value
      - .offset:         120
        .size:           4
        .value_kind:     hidden_block_count_x
      - .offset:         124
        .size:           4
        .value_kind:     hidden_block_count_y
      - .offset:         128
        .size:           4
        .value_kind:     hidden_block_count_z
      - .offset:         132
        .size:           2
        .value_kind:     hidden_group_size_x
      - .offset:         134
        .size:           2
        .value_kind:     hidden_group_size_y
      - .offset:         136
        .size:           2
        .value_kind:     hidden_group_size_z
      - .offset:         138
        .size:           2
        .value_kind:     hidden_remainder_x
      - .offset:         140
        .size:           2
        .value_kind:     hidden_remainder_y
      - .offset:         142
        .size:           2
        .value_kind:     hidden_remainder_z
      - .offset:         160
        .size:           8
        .value_kind:     hidden_global_offset_x
      - .offset:         168
        .size:           8
        .value_kind:     hidden_global_offset_y
      - .offset:         176
        .size:           8
        .value_kind:     hidden_global_offset_z
      - .offset:         184
        .size:           2
        .value_kind:     hidden_grid_dims
    .group_segment_fixed_size: 9600
    .kernarg_segment_align: 8
    .kernarg_segment_size: 376
    .language:       OpenCL C
    .language_version:
      - 2
      - 0
    .max_flat_workgroup_size: 256
    .name:           _ZL26rocblas_hemvn_kernel_lowerILb1ELi64ELi4ELi33ELi32ELi16EiPK19rocblas_complex_numIfES3_PS1_EviT6_lT7_lT5_lS6_lS7_lS5_lT8_i
    .private_segment_fixed_size: 0
    .sgpr_count:     32
    .sgpr_spill_count: 0
    .symbol:         _ZL26rocblas_hemvn_kernel_lowerILb1ELi64ELi4ELi33ELi32ELi16EiPK19rocblas_complex_numIfES3_PS1_EviT6_lT7_lT5_lS6_lS7_lS5_lT8_i.kd
    .uniform_work_group_size: 1
    .uses_dynamic_stack: false
    .vgpr_count:     113
    .vgpr_spill_count: 0
    .wavefront_size: 32
    .workgroup_processor_mode: 1
  - .args:
      - .offset:         0
        .size:           4
        .value_kind:     by_value
      - .address_space:  global
        .offset:         8
        .size:           8
        .value_kind:     global_buffer
      - .offset:         16
        .size:           8
        .value_kind:     by_value
      - .address_space:  global
        .offset:         24
        .size:           8
        .value_kind:     global_buffer
      - .offset:         32
        .size:           8
        .value_kind:     by_value
      - .address_space:  global
        .offset:         40
        .size:           8
        .value_kind:     global_buffer
      - .offset:         48
        .size:           8
        .value_kind:     by_value
      - .offset:         56
        .size:           4
        .value_kind:     by_value
      - .offset:         64
        .size:           8
        .value_kind:     by_value
      - .actual_access:  read_only
        .address_space:  global
        .offset:         72
        .size:           8
        .value_kind:     global_buffer
      - .offset:         80
        .size:           4
        .value_kind:     by_value
      - .offset:         88
        .size:           4
        .value_kind:     hidden_block_count_x
      - .offset:         92
        .size:           4
        .value_kind:     hidden_block_count_y
      - .offset:         96
        .size:           4
        .value_kind:     hidden_block_count_z
      - .offset:         100
        .size:           2
        .value_kind:     hidden_group_size_x
      - .offset:         102
        .size:           2
        .value_kind:     hidden_group_size_y
      - .offset:         104
        .size:           2
        .value_kind:     hidden_group_size_z
      - .offset:         106
        .size:           2
        .value_kind:     hidden_remainder_x
      - .offset:         108
        .size:           2
        .value_kind:     hidden_remainder_y
      - .offset:         110
        .size:           2
        .value_kind:     hidden_remainder_z
      - .offset:         128
        .size:           8
        .value_kind:     hidden_global_offset_x
      - .offset:         136
        .size:           8
        .value_kind:     hidden_global_offset_y
      - .offset:         144
        .size:           8
        .value_kind:     hidden_global_offset_z
      - .offset:         152
        .size:           2
        .value_kind:     hidden_grid_dims
    .group_segment_fixed_size: 0
    .kernarg_segment_align: 8
    .kernarg_segment_size: 344
    .language:       OpenCL C
    .language_version:
      - 2
      - 0
    .max_flat_workgroup_size: 64
    .name:           _ZL36rocblas_hemvn_kernel_lower_block_sumILi64EiPK19rocblas_complex_numIfEPS1_S1_EviT1_lS5_lT2_lT0_lPT3_i
    .private_segment_fixed_size: 0
    .sgpr_count:     22
    .sgpr_spill_count: 0
    .symbol:         _ZL36rocblas_hemvn_kernel_lower_block_sumILi64EiPK19rocblas_complex_numIfEPS1_S1_EviT1_lS5_lT2_lT0_lPT3_i.kd
    .uniform_work_group_size: 1
    .uses_dynamic_stack: false
    .vgpr_count:     7
    .vgpr_spill_count: 0
    .wavefront_size: 32
    .workgroup_processor_mode: 1
  - .args:
      - .offset:         0
        .size:           4
        .value_kind:     by_value
      - .offset:         4
        .size:           8
        .value_kind:     by_value
      - .offset:         16
        .size:           8
        .value_kind:     by_value
      - .address_space:  global
        .offset:         24
        .size:           8
        .value_kind:     global_buffer
      - .offset:         32
        .size:           8
        .value_kind:     by_value
      - .offset:         40
        .size:           8
        .value_kind:     by_value
      - .offset:         48
        .size:           8
        .value_kind:     by_value
      - .address_space:  global
        .offset:         56
        .size:           8
        .value_kind:     global_buffer
      - .offset:         64
        .size:           8
        .value_kind:     by_value
      - .offset:         72
        .size:           8
        .value_kind:     by_value
      - .offset:         80
        .size:           8
        .value_kind:     by_value
      - .offset:         88
        .size:           8
        .value_kind:     by_value
      - .offset:         96
        .size:           8
        .value_kind:     by_value
      - .address_space:  global
        .offset:         104
        .size:           8
        .value_kind:     global_buffer
      - .offset:         112
        .size:           4
        .value_kind:     by_value
      - .offset:         120
        .size:           4
        .value_kind:     hidden_block_count_x
      - .offset:         124
        .size:           4
        .value_kind:     hidden_block_count_y
      - .offset:         128
        .size:           4
        .value_kind:     hidden_block_count_z
      - .offset:         132
        .size:           2
        .value_kind:     hidden_group_size_x
      - .offset:         134
        .size:           2
        .value_kind:     hidden_group_size_y
      - .offset:         136
        .size:           2
        .value_kind:     hidden_group_size_z
      - .offset:         138
        .size:           2
        .value_kind:     hidden_remainder_x
      - .offset:         140
        .size:           2
        .value_kind:     hidden_remainder_y
      - .offset:         142
        .size:           2
        .value_kind:     hidden_remainder_z
      - .offset:         160
        .size:           8
        .value_kind:     hidden_global_offset_x
      - .offset:         168
        .size:           8
        .value_kind:     hidden_global_offset_y
      - .offset:         176
        .size:           8
        .value_kind:     hidden_global_offset_z
      - .offset:         184
        .size:           2
        .value_kind:     hidden_grid_dims
    .group_segment_fixed_size: 9600
    .kernarg_segment_align: 8
    .kernarg_segment_size: 376
    .language:       OpenCL C
    .language_version:
      - 2
      - 0
    .max_flat_workgroup_size: 256
    .name:           _ZL26rocblas_hemvn_kernel_lowerILb1ELi64ELi4ELi33ELi32ELi16El19rocblas_complex_numIfEPKS1_PS1_EviT6_lT7_lT5_lS6_lS7_lS5_lT8_i
    .private_segment_fixed_size: 0
    .sgpr_count:     34
    .sgpr_spill_count: 0
    .symbol:         _ZL26rocblas_hemvn_kernel_lowerILb1ELi64ELi4ELi33ELi32ELi16El19rocblas_complex_numIfEPKS1_PS1_EviT6_lT7_lT5_lS6_lS7_lS5_lT8_i.kd
    .uniform_work_group_size: 1
    .uses_dynamic_stack: false
    .vgpr_count:     114
    .vgpr_spill_count: 0
    .wavefront_size: 32
    .workgroup_processor_mode: 1
  - .args:
      - .offset:         0
        .size:           4
        .value_kind:     by_value
      - .offset:         4
        .size:           8
        .value_kind:     by_value
      - .offset:         16
        .size:           8
        .value_kind:     by_value
      - .offset:         24
        .size:           8
        .value_kind:     by_value
      - .offset:         32
        .size:           8
        .value_kind:     by_value
      - .address_space:  global
        .offset:         40
        .size:           8
        .value_kind:     global_buffer
      - .offset:         48
        .size:           8
        .value_kind:     by_value
      - .offset:         56
        .size:           8
        .value_kind:     by_value
      - .offset:         64
        .size:           8
        .value_kind:     by_value
      - .actual_access:  read_only
        .address_space:  global
        .offset:         72
        .size:           8
        .value_kind:     global_buffer
      - .offset:         80
        .size:           4
        .value_kind:     by_value
      - .offset:         88
        .size:           4
        .value_kind:     hidden_block_count_x
      - .offset:         92
        .size:           4
        .value_kind:     hidden_block_count_y
      - .offset:         96
        .size:           4
        .value_kind:     hidden_block_count_z
      - .offset:         100
        .size:           2
        .value_kind:     hidden_group_size_x
      - .offset:         102
        .size:           2
        .value_kind:     hidden_group_size_y
      - .offset:         104
        .size:           2
        .value_kind:     hidden_group_size_z
      - .offset:         106
        .size:           2
        .value_kind:     hidden_remainder_x
      - .offset:         108
        .size:           2
        .value_kind:     hidden_remainder_y
      - .offset:         110
        .size:           2
        .value_kind:     hidden_remainder_z
      - .offset:         128
        .size:           8
        .value_kind:     hidden_global_offset_x
      - .offset:         136
        .size:           8
        .value_kind:     hidden_global_offset_y
      - .offset:         144
        .size:           8
        .value_kind:     hidden_global_offset_z
      - .offset:         152
        .size:           2
        .value_kind:     hidden_grid_dims
    .group_segment_fixed_size: 0
    .kernarg_segment_align: 8
    .kernarg_segment_size: 344
    .language:       OpenCL C
    .language_version:
      - 2
      - 0
    .max_flat_workgroup_size: 64
    .name:           _ZL36rocblas_hemvn_kernel_lower_block_sumILi64El19rocblas_complex_numIfEPS1_S1_EviT1_lS3_lT2_lT0_lPT3_i
    .private_segment_fixed_size: 0
    .sgpr_count:     22
    .sgpr_spill_count: 0
    .symbol:         _ZL36rocblas_hemvn_kernel_lower_block_sumILi64El19rocblas_complex_numIfEPS1_S1_EviT1_lS3_lT2_lT0_lPT3_i.kd
    .uniform_work_group_size: 1
    .uses_dynamic_stack: false
    .vgpr_count:     8
    .vgpr_spill_count: 0
    .wavefront_size: 32
    .workgroup_processor_mode: 1
  - .args:
      - .offset:         0
        .size:           4
        .value_kind:     by_value
      - .offset:         4
        .size:           8
        .value_kind:     by_value
      - .offset:         16
        .size:           8
        .value_kind:     by_value
      - .address_space:  global
        .offset:         24
        .size:           8
        .value_kind:     global_buffer
      - .offset:         32
        .size:           8
        .value_kind:     by_value
      - .offset:         40
        .size:           4
        .value_kind:     by_value
      - .offset:         48
        .size:           8
        .value_kind:     by_value
      - .address_space:  global
        .offset:         56
        .size:           8
        .value_kind:     global_buffer
      - .offset:         64
        .size:           8
        .value_kind:     by_value
      - .offset:         72
        .size:           4
        .value_kind:     by_value
      - .offset:         80
        .size:           8
        .value_kind:     by_value
      - .offset:         88
        .size:           8
        .value_kind:     by_value
      - .offset:         96
        .size:           8
        .value_kind:     by_value
      - .address_space:  global
        .offset:         104
        .size:           8
        .value_kind:     global_buffer
      - .offset:         112
        .size:           4
        .value_kind:     by_value
      - .offset:         120
        .size:           4
        .value_kind:     hidden_block_count_x
      - .offset:         124
        .size:           4
        .value_kind:     hidden_block_count_y
      - .offset:         128
        .size:           4
        .value_kind:     hidden_block_count_z
      - .offset:         132
        .size:           2
        .value_kind:     hidden_group_size_x
      - .offset:         134
        .size:           2
        .value_kind:     hidden_group_size_y
      - .offset:         136
        .size:           2
        .value_kind:     hidden_group_size_z
      - .offset:         138
        .size:           2
        .value_kind:     hidden_remainder_x
      - .offset:         140
        .size:           2
        .value_kind:     hidden_remainder_y
      - .offset:         142
        .size:           2
        .value_kind:     hidden_remainder_z
      - .offset:         160
        .size:           8
        .value_kind:     hidden_global_offset_x
      - .offset:         168
        .size:           8
        .value_kind:     hidden_global_offset_y
      - .offset:         176
        .size:           8
        .value_kind:     hidden_global_offset_z
      - .offset:         184
        .size:           2
        .value_kind:     hidden_grid_dims
    .group_segment_fixed_size: 9600
    .kernarg_segment_align: 8
    .kernarg_segment_size: 376
    .language:       OpenCL C
    .language_version:
      - 2
      - 0
    .max_flat_workgroup_size: 256
    .name:           _ZL26rocblas_hemvn_kernel_lowerILb1ELi64ELi4ELi33ELi32ELi16Ei19rocblas_complex_numIfEPKS1_PS1_EviT6_lT7_lT5_lS6_lS7_lS5_lT8_i
    .private_segment_fixed_size: 0
    .sgpr_count:     32
    .sgpr_spill_count: 0
    .symbol:         _ZL26rocblas_hemvn_kernel_lowerILb1ELi64ELi4ELi33ELi32ELi16Ei19rocblas_complex_numIfEPKS1_PS1_EviT6_lT7_lT5_lS6_lS7_lS5_lT8_i.kd
    .uniform_work_group_size: 1
    .uses_dynamic_stack: false
    .vgpr_count:     113
    .vgpr_spill_count: 0
    .wavefront_size: 32
    .workgroup_processor_mode: 1
  - .args:
      - .offset:         0
        .size:           4
        .value_kind:     by_value
      - .offset:         4
        .size:           8
        .value_kind:     by_value
      - .offset:         16
        .size:           8
        .value_kind:     by_value
      - .offset:         24
        .size:           8
        .value_kind:     by_value
      - .offset:         32
        .size:           8
        .value_kind:     by_value
      - .address_space:  global
        .offset:         40
        .size:           8
        .value_kind:     global_buffer
      - .offset:         48
        .size:           8
        .value_kind:     by_value
      - .offset:         56
        .size:           4
        .value_kind:     by_value
      - .offset:         64
        .size:           8
        .value_kind:     by_value
      - .actual_access:  read_only
        .address_space:  global
        .offset:         72
        .size:           8
        .value_kind:     global_buffer
      - .offset:         80
        .size:           4
        .value_kind:     by_value
      - .offset:         88
        .size:           4
        .value_kind:     hidden_block_count_x
      - .offset:         92
        .size:           4
        .value_kind:     hidden_block_count_y
      - .offset:         96
        .size:           4
        .value_kind:     hidden_block_count_z
      - .offset:         100
        .size:           2
        .value_kind:     hidden_group_size_x
      - .offset:         102
        .size:           2
        .value_kind:     hidden_group_size_y
      - .offset:         104
        .size:           2
        .value_kind:     hidden_group_size_z
      - .offset:         106
        .size:           2
        .value_kind:     hidden_remainder_x
      - .offset:         108
        .size:           2
        .value_kind:     hidden_remainder_y
      - .offset:         110
        .size:           2
        .value_kind:     hidden_remainder_z
      - .offset:         128
        .size:           8
        .value_kind:     hidden_global_offset_x
      - .offset:         136
        .size:           8
        .value_kind:     hidden_global_offset_y
      - .offset:         144
        .size:           8
        .value_kind:     hidden_global_offset_z
      - .offset:         152
        .size:           2
        .value_kind:     hidden_grid_dims
    .group_segment_fixed_size: 0
    .kernarg_segment_align: 8
    .kernarg_segment_size: 344
    .language:       OpenCL C
    .language_version:
      - 2
      - 0
    .max_flat_workgroup_size: 64
    .name:           _ZL36rocblas_hemvn_kernel_lower_block_sumILi64Ei19rocblas_complex_numIfEPS1_S1_EviT1_lS3_lT2_lT0_lPT3_i
    .private_segment_fixed_size: 0
    .sgpr_count:     22
    .sgpr_spill_count: 0
    .symbol:         _ZL36rocblas_hemvn_kernel_lower_block_sumILi64Ei19rocblas_complex_numIfEPS1_S1_EviT1_lS3_lT2_lT0_lPT3_i.kd
    .uniform_work_group_size: 1
    .uses_dynamic_stack: false
    .vgpr_count:     7
    .vgpr_spill_count: 0
    .wavefront_size: 32
    .workgroup_processor_mode: 1
  - .args:
      - .offset:         0
        .size:           4
        .value_kind:     by_value
      - .address_space:  global
        .offset:         8
        .size:           8
        .value_kind:     global_buffer
      - .offset:         16
        .size:           8
        .value_kind:     by_value
      - .address_space:  global
        .offset:         24
        .size:           8
        .value_kind:     global_buffer
      - .offset:         32
        .size:           8
        .value_kind:     by_value
      - .offset:         40
        .size:           8
        .value_kind:     by_value
      - .offset:         48
        .size:           8
        .value_kind:     by_value
      - .address_space:  global
        .offset:         56
        .size:           8
        .value_kind:     global_buffer
      - .offset:         64
        .size:           8
        .value_kind:     by_value
      - .offset:         72
        .size:           8
        .value_kind:     by_value
      - .offset:         80
        .size:           8
        .value_kind:     by_value
      - .address_space:  global
        .offset:         88
        .size:           8
        .value_kind:     global_buffer
      - .offset:         96
        .size:           8
        .value_kind:     by_value
      - .address_space:  global
        .offset:         104
        .size:           8
        .value_kind:     global_buffer
      - .offset:         112
        .size:           4
        .value_kind:     by_value
      - .offset:         120
        .size:           4
        .value_kind:     hidden_block_count_x
      - .offset:         124
        .size:           4
        .value_kind:     hidden_block_count_y
      - .offset:         128
        .size:           4
        .value_kind:     hidden_block_count_z
      - .offset:         132
        .size:           2
        .value_kind:     hidden_group_size_x
      - .offset:         134
        .size:           2
        .value_kind:     hidden_group_size_y
      - .offset:         136
        .size:           2
        .value_kind:     hidden_group_size_z
      - .offset:         138
        .size:           2
        .value_kind:     hidden_remainder_x
      - .offset:         140
        .size:           2
        .value_kind:     hidden_remainder_y
      - .offset:         142
        .size:           2
        .value_kind:     hidden_remainder_z
      - .offset:         160
        .size:           8
        .value_kind:     hidden_global_offset_x
      - .offset:         168
        .size:           8
        .value_kind:     hidden_global_offset_y
      - .offset:         176
        .size:           8
        .value_kind:     hidden_global_offset_z
      - .offset:         184
        .size:           2
        .value_kind:     hidden_grid_dims
    .group_segment_fixed_size: 19200
    .kernarg_segment_align: 8
    .kernarg_segment_size: 376
    .language:       OpenCL C
    .language_version:
      - 2
      - 0
    .max_flat_workgroup_size: 256
    .name:           _ZL26rocblas_hemvn_kernel_upperILb1ELi64ELi4ELi33ELi32ELi16ElPK19rocblas_complex_numIdES3_PS1_EviT6_lT7_lT5_lS6_lS7_lS5_lT8_i
    .private_segment_fixed_size: 20
    .sgpr_count:     46
    .sgpr_spill_count: 0
    .symbol:         _ZL26rocblas_hemvn_kernel_upperILb1ELi64ELi4ELi33ELi32ELi16ElPK19rocblas_complex_numIdES3_PS1_EviT6_lT7_lT5_lS6_lS7_lS5_lT8_i.kd
    .uniform_work_group_size: 1
    .uses_dynamic_stack: false
    .vgpr_count:     256
    .vgpr_spill_count: 4
    .wavefront_size: 32
    .workgroup_processor_mode: 1
  - .args:
      - .offset:         0
        .size:           4
        .value_kind:     by_value
      - .address_space:  global
        .offset:         8
        .size:           8
        .value_kind:     global_buffer
      - .offset:         16
        .size:           8
        .value_kind:     by_value
      - .address_space:  global
        .offset:         24
        .size:           8
        .value_kind:     global_buffer
      - .offset:         32
        .size:           8
        .value_kind:     by_value
      - .address_space:  global
        .offset:         40
        .size:           8
        .value_kind:     global_buffer
      - .offset:         48
        .size:           8
        .value_kind:     by_value
      - .offset:         56
        .size:           8
        .value_kind:     by_value
      - .offset:         64
        .size:           8
        .value_kind:     by_value
      - .address_space:  global
        .offset:         72
        .size:           8
        .value_kind:     global_buffer
      - .offset:         80
        .size:           4
        .value_kind:     by_value
      - .offset:         88
        .size:           4
        .value_kind:     hidden_block_count_x
      - .offset:         92
        .size:           4
        .value_kind:     hidden_block_count_y
      - .offset:         96
        .size:           4
        .value_kind:     hidden_block_count_z
      - .offset:         100
        .size:           2
        .value_kind:     hidden_group_size_x
      - .offset:         102
        .size:           2
        .value_kind:     hidden_group_size_y
      - .offset:         104
        .size:           2
        .value_kind:     hidden_group_size_z
      - .offset:         106
        .size:           2
        .value_kind:     hidden_remainder_x
      - .offset:         108
        .size:           2
        .value_kind:     hidden_remainder_y
      - .offset:         110
        .size:           2
        .value_kind:     hidden_remainder_z
      - .offset:         128
        .size:           8
        .value_kind:     hidden_global_offset_x
      - .offset:         136
        .size:           8
        .value_kind:     hidden_global_offset_y
      - .offset:         144
        .size:           8
        .value_kind:     hidden_global_offset_z
      - .offset:         152
        .size:           2
        .value_kind:     hidden_grid_dims
    .group_segment_fixed_size: 0
    .kernarg_segment_align: 8
    .kernarg_segment_size: 344
    .language:       OpenCL C
    .language_version:
      - 2
      - 0
    .max_flat_workgroup_size: 64
    .name:           _ZL36rocblas_hemvn_kernel_upper_block_sumILi64ElPK19rocblas_complex_numIdEPS1_S1_EviT1_lS5_lT2_lT0_lPT3_i
    .private_segment_fixed_size: 0
    .sgpr_count:     28
    .sgpr_spill_count: 0
    .symbol:         _ZL36rocblas_hemvn_kernel_upper_block_sumILi64ElPK19rocblas_complex_numIdEPS1_S1_EviT1_lS5_lT2_lT0_lPT3_i.kd
    .uniform_work_group_size: 1
    .uses_dynamic_stack: false
    .vgpr_count:     13
    .vgpr_spill_count: 0
    .wavefront_size: 32
    .workgroup_processor_mode: 1
  - .args:
      - .offset:         0
        .size:           4
        .value_kind:     by_value
      - .address_space:  global
        .offset:         8
        .size:           8
        .value_kind:     global_buffer
      - .offset:         16
        .size:           8
        .value_kind:     by_value
      - .address_space:  global
        .offset:         24
        .size:           8
        .value_kind:     global_buffer
      - .offset:         32
        .size:           8
        .value_kind:     by_value
      - .offset:         40
        .size:           4
        .value_kind:     by_value
      - .offset:         48
        .size:           8
        .value_kind:     by_value
      - .address_space:  global
        .offset:         56
        .size:           8
        .value_kind:     global_buffer
      - .offset:         64
        .size:           8
        .value_kind:     by_value
      - .offset:         72
        .size:           4
        .value_kind:     by_value
      - .offset:         80
        .size:           8
        .value_kind:     by_value
      - .address_space:  global
        .offset:         88
        .size:           8
        .value_kind:     global_buffer
      - .offset:         96
        .size:           8
        .value_kind:     by_value
      - .address_space:  global
        .offset:         104
        .size:           8
        .value_kind:     global_buffer
      - .offset:         112
        .size:           4
        .value_kind:     by_value
      - .offset:         120
        .size:           4
        .value_kind:     hidden_block_count_x
      - .offset:         124
        .size:           4
        .value_kind:     hidden_block_count_y
      - .offset:         128
        .size:           4
        .value_kind:     hidden_block_count_z
      - .offset:         132
        .size:           2
        .value_kind:     hidden_group_size_x
      - .offset:         134
        .size:           2
        .value_kind:     hidden_group_size_y
      - .offset:         136
        .size:           2
        .value_kind:     hidden_group_size_z
      - .offset:         138
        .size:           2
        .value_kind:     hidden_remainder_x
      - .offset:         140
        .size:           2
        .value_kind:     hidden_remainder_y
      - .offset:         142
        .size:           2
        .value_kind:     hidden_remainder_z
      - .offset:         160
        .size:           8
        .value_kind:     hidden_global_offset_x
      - .offset:         168
        .size:           8
        .value_kind:     hidden_global_offset_y
      - .offset:         176
        .size:           8
        .value_kind:     hidden_global_offset_z
      - .offset:         184
        .size:           2
        .value_kind:     hidden_grid_dims
    .group_segment_fixed_size: 19200
    .kernarg_segment_align: 8
    .kernarg_segment_size: 376
    .language:       OpenCL C
    .language_version:
      - 2
      - 0
    .max_flat_workgroup_size: 256
    .name:           _ZL26rocblas_hemvn_kernel_upperILb1ELi64ELi4ELi33ELi32ELi16EiPK19rocblas_complex_numIdES3_PS1_EviT6_lT7_lT5_lS6_lS7_lS5_lT8_i
    .private_segment_fixed_size: 24
    .sgpr_count:     37
    .sgpr_spill_count: 0
    .symbol:         _ZL26rocblas_hemvn_kernel_upperILb1ELi64ELi4ELi33ELi32ELi16EiPK19rocblas_complex_numIdES3_PS1_EviT6_lT7_lT5_lS6_lS7_lS5_lT8_i.kd
    .uniform_work_group_size: 1
    .uses_dynamic_stack: false
    .vgpr_count:     256
    .vgpr_spill_count: 5
    .wavefront_size: 32
    .workgroup_processor_mode: 1
  - .args:
      - .offset:         0
        .size:           4
        .value_kind:     by_value
      - .address_space:  global
        .offset:         8
        .size:           8
        .value_kind:     global_buffer
      - .offset:         16
        .size:           8
        .value_kind:     by_value
      - .address_space:  global
        .offset:         24
        .size:           8
        .value_kind:     global_buffer
      - .offset:         32
        .size:           8
        .value_kind:     by_value
      - .address_space:  global
        .offset:         40
        .size:           8
        .value_kind:     global_buffer
      - .offset:         48
        .size:           8
        .value_kind:     by_value
      - .offset:         56
        .size:           4
        .value_kind:     by_value
      - .offset:         64
        .size:           8
        .value_kind:     by_value
      - .address_space:  global
        .offset:         72
        .size:           8
        .value_kind:     global_buffer
      - .offset:         80
        .size:           4
        .value_kind:     by_value
      - .offset:         88
        .size:           4
        .value_kind:     hidden_block_count_x
      - .offset:         92
        .size:           4
        .value_kind:     hidden_block_count_y
      - .offset:         96
        .size:           4
        .value_kind:     hidden_block_count_z
      - .offset:         100
        .size:           2
        .value_kind:     hidden_group_size_x
      - .offset:         102
        .size:           2
        .value_kind:     hidden_group_size_y
      - .offset:         104
        .size:           2
        .value_kind:     hidden_group_size_z
      - .offset:         106
        .size:           2
        .value_kind:     hidden_remainder_x
      - .offset:         108
        .size:           2
        .value_kind:     hidden_remainder_y
      - .offset:         110
        .size:           2
        .value_kind:     hidden_remainder_z
      - .offset:         128
        .size:           8
        .value_kind:     hidden_global_offset_x
      - .offset:         136
        .size:           8
        .value_kind:     hidden_global_offset_y
      - .offset:         144
        .size:           8
        .value_kind:     hidden_global_offset_z
      - .offset:         152
        .size:           2
        .value_kind:     hidden_grid_dims
    .group_segment_fixed_size: 0
    .kernarg_segment_align: 8
    .kernarg_segment_size: 344
    .language:       OpenCL C
    .language_version:
      - 2
      - 0
    .max_flat_workgroup_size: 64
    .name:           _ZL36rocblas_hemvn_kernel_upper_block_sumILi64EiPK19rocblas_complex_numIdEPS1_S1_EviT1_lS5_lT2_lT0_lPT3_i
    .private_segment_fixed_size: 0
    .sgpr_count:     30
    .sgpr_spill_count: 0
    .symbol:         _ZL36rocblas_hemvn_kernel_upper_block_sumILi64EiPK19rocblas_complex_numIdEPS1_S1_EviT1_lS5_lT2_lT0_lPT3_i.kd
    .uniform_work_group_size: 1
    .uses_dynamic_stack: false
    .vgpr_count:     13
    .vgpr_spill_count: 0
    .wavefront_size: 32
    .workgroup_processor_mode: 1
  - .args:
      - .offset:         0
        .size:           4
        .value_kind:     by_value
      - .offset:         8
        .size:           16
        .value_kind:     by_value
      - .offset:         24
        .size:           8
        .value_kind:     by_value
      - .address_space:  global
        .offset:         32
        .size:           8
        .value_kind:     global_buffer
      - .offset:         40
        .size:           8
        .value_kind:     by_value
      - .offset:         48
        .size:           8
        .value_kind:     by_value
      - .offset:         56
        .size:           8
        .value_kind:     by_value
      - .address_space:  global
        .offset:         64
        .size:           8
        .value_kind:     global_buffer
      - .offset:         72
        .size:           8
        .value_kind:     by_value
      - .offset:         80
        .size:           8
        .value_kind:     by_value
      - .offset:         88
        .size:           8
        .value_kind:     by_value
      - .offset:         96
        .size:           16
        .value_kind:     by_value
      - .offset:         112
        .size:           8
        .value_kind:     by_value
      - .address_space:  global
        .offset:         120
        .size:           8
        .value_kind:     global_buffer
      - .offset:         128
        .size:           4
        .value_kind:     by_value
      - .offset:         136
        .size:           4
        .value_kind:     hidden_block_count_x
      - .offset:         140
        .size:           4
        .value_kind:     hidden_block_count_y
      - .offset:         144
        .size:           4
        .value_kind:     hidden_block_count_z
      - .offset:         148
        .size:           2
        .value_kind:     hidden_group_size_x
      - .offset:         150
        .size:           2
        .value_kind:     hidden_group_size_y
      - .offset:         152
        .size:           2
        .value_kind:     hidden_group_size_z
      - .offset:         154
        .size:           2
        .value_kind:     hidden_remainder_x
      - .offset:         156
        .size:           2
        .value_kind:     hidden_remainder_y
      - .offset:         158
        .size:           2
        .value_kind:     hidden_remainder_z
      - .offset:         176
        .size:           8
        .value_kind:     hidden_global_offset_x
      - .offset:         184
        .size:           8
        .value_kind:     hidden_global_offset_y
      - .offset:         192
        .size:           8
        .value_kind:     hidden_global_offset_z
      - .offset:         200
        .size:           2
        .value_kind:     hidden_grid_dims
    .group_segment_fixed_size: 19200
    .kernarg_segment_align: 8
    .kernarg_segment_size: 392
    .language:       OpenCL C
    .language_version:
      - 2
      - 0
    .max_flat_workgroup_size: 256
    .name:           _ZL26rocblas_hemvn_kernel_upperILb1ELi64ELi4ELi33ELi32ELi16El19rocblas_complex_numIdEPKS1_PS1_EviT6_lT7_lT5_lS6_lS7_lS5_lT8_i
    .private_segment_fixed_size: 20
    .sgpr_count:     34
    .sgpr_spill_count: 0
    .symbol:         _ZL26rocblas_hemvn_kernel_upperILb1ELi64ELi4ELi33ELi32ELi16El19rocblas_complex_numIdEPKS1_PS1_EviT6_lT7_lT5_lS6_lS7_lS5_lT8_i.kd
    .uniform_work_group_size: 1
    .uses_dynamic_stack: false
    .vgpr_count:     256
    .vgpr_spill_count: 4
    .wavefront_size: 32
    .workgroup_processor_mode: 1
  - .args:
      - .offset:         0
        .size:           4
        .value_kind:     by_value
      - .offset:         8
        .size:           16
        .value_kind:     by_value
      - .offset:         24
        .size:           8
        .value_kind:     by_value
      - .offset:         32
        .size:           16
        .value_kind:     by_value
      - .offset:         48
        .size:           8
        .value_kind:     by_value
      - .address_space:  global
        .offset:         56
        .size:           8
        .value_kind:     global_buffer
      - .offset:         64
        .size:           8
        .value_kind:     by_value
      - .offset:         72
        .size:           8
        .value_kind:     by_value
      - .offset:         80
        .size:           8
        .value_kind:     by_value
      - .address_space:  global
        .offset:         88
        .size:           8
        .value_kind:     global_buffer
      - .offset:         96
        .size:           4
        .value_kind:     by_value
      - .offset:         104
        .size:           4
        .value_kind:     hidden_block_count_x
      - .offset:         108
        .size:           4
        .value_kind:     hidden_block_count_y
      - .offset:         112
        .size:           4
        .value_kind:     hidden_block_count_z
      - .offset:         116
        .size:           2
        .value_kind:     hidden_group_size_x
      - .offset:         118
        .size:           2
        .value_kind:     hidden_group_size_y
      - .offset:         120
        .size:           2
        .value_kind:     hidden_group_size_z
      - .offset:         122
        .size:           2
        .value_kind:     hidden_remainder_x
      - .offset:         124
        .size:           2
        .value_kind:     hidden_remainder_y
      - .offset:         126
        .size:           2
        .value_kind:     hidden_remainder_z
      - .offset:         144
        .size:           8
        .value_kind:     hidden_global_offset_x
      - .offset:         152
        .size:           8
        .value_kind:     hidden_global_offset_y
      - .offset:         160
        .size:           8
        .value_kind:     hidden_global_offset_z
      - .offset:         168
        .size:           2
        .value_kind:     hidden_grid_dims
    .group_segment_fixed_size: 0
    .kernarg_segment_align: 8
    .kernarg_segment_size: 360
    .language:       OpenCL C
    .language_version:
      - 2
      - 0
    .max_flat_workgroup_size: 64
    .name:           _ZL36rocblas_hemvn_kernel_upper_block_sumILi64El19rocblas_complex_numIdEPS1_S1_EviT1_lS3_lT2_lT0_lPT3_i
    .private_segment_fixed_size: 0
    .sgpr_count:     28
    .sgpr_spill_count: 0
    .symbol:         _ZL36rocblas_hemvn_kernel_upper_block_sumILi64El19rocblas_complex_numIdEPS1_S1_EviT1_lS3_lT2_lT0_lPT3_i.kd
    .uniform_work_group_size: 1
    .uses_dynamic_stack: false
    .vgpr_count:     13
    .vgpr_spill_count: 0
    .wavefront_size: 32
    .workgroup_processor_mode: 1
  - .args:
      - .offset:         0
        .size:           4
        .value_kind:     by_value
      - .offset:         8
        .size:           16
        .value_kind:     by_value
      - .offset:         24
        .size:           8
        .value_kind:     by_value
      - .address_space:  global
        .offset:         32
        .size:           8
        .value_kind:     global_buffer
      - .offset:         40
        .size:           8
        .value_kind:     by_value
      - .offset:         48
        .size:           4
        .value_kind:     by_value
      - .offset:         56
        .size:           8
        .value_kind:     by_value
      - .address_space:  global
        .offset:         64
        .size:           8
        .value_kind:     global_buffer
      - .offset:         72
        .size:           8
        .value_kind:     by_value
      - .offset:         80
        .size:           4
        .value_kind:     by_value
      - .offset:         88
        .size:           8
        .value_kind:     by_value
      - .offset:         96
        .size:           16
        .value_kind:     by_value
      - .offset:         112
        .size:           8
        .value_kind:     by_value
      - .address_space:  global
        .offset:         120
        .size:           8
        .value_kind:     global_buffer
      - .offset:         128
        .size:           4
        .value_kind:     by_value
      - .offset:         136
        .size:           4
        .value_kind:     hidden_block_count_x
      - .offset:         140
        .size:           4
        .value_kind:     hidden_block_count_y
      - .offset:         144
        .size:           4
        .value_kind:     hidden_block_count_z
      - .offset:         148
        .size:           2
        .value_kind:     hidden_group_size_x
      - .offset:         150
        .size:           2
        .value_kind:     hidden_group_size_y
      - .offset:         152
        .size:           2
        .value_kind:     hidden_group_size_z
      - .offset:         154
        .size:           2
        .value_kind:     hidden_remainder_x
      - .offset:         156
        .size:           2
        .value_kind:     hidden_remainder_y
      - .offset:         158
        .size:           2
        .value_kind:     hidden_remainder_z
      - .offset:         176
        .size:           8
        .value_kind:     hidden_global_offset_x
      - .offset:         184
        .size:           8
        .value_kind:     hidden_global_offset_y
      - .offset:         192
        .size:           8
        .value_kind:     hidden_global_offset_z
      - .offset:         200
        .size:           2
        .value_kind:     hidden_grid_dims
    .group_segment_fixed_size: 19200
    .kernarg_segment_align: 8
    .kernarg_segment_size: 392
    .language:       OpenCL C
    .language_version:
      - 2
      - 0
    .max_flat_workgroup_size: 256
    .name:           _ZL26rocblas_hemvn_kernel_upperILb1ELi64ELi4ELi33ELi32ELi16Ei19rocblas_complex_numIdEPKS1_PS1_EviT6_lT7_lT5_lS6_lS7_lS5_lT8_i
    .private_segment_fixed_size: 24
    .sgpr_count:     38
    .sgpr_spill_count: 0
    .symbol:         _ZL26rocblas_hemvn_kernel_upperILb1ELi64ELi4ELi33ELi32ELi16Ei19rocblas_complex_numIdEPKS1_PS1_EviT6_lT7_lT5_lS6_lS7_lS5_lT8_i.kd
    .uniform_work_group_size: 1
    .uses_dynamic_stack: false
    .vgpr_count:     256
    .vgpr_spill_count: 5
    .wavefront_size: 32
    .workgroup_processor_mode: 1
  - .args:
      - .offset:         0
        .size:           4
        .value_kind:     by_value
      - .offset:         8
        .size:           16
        .value_kind:     by_value
      - .offset:         24
        .size:           8
        .value_kind:     by_value
      - .offset:         32
        .size:           16
        .value_kind:     by_value
      - .offset:         48
        .size:           8
        .value_kind:     by_value
      - .address_space:  global
        .offset:         56
        .size:           8
        .value_kind:     global_buffer
      - .offset:         64
        .size:           8
        .value_kind:     by_value
      - .offset:         72
        .size:           4
        .value_kind:     by_value
      - .offset:         80
        .size:           8
        .value_kind:     by_value
      - .address_space:  global
        .offset:         88
        .size:           8
        .value_kind:     global_buffer
      - .offset:         96
        .size:           4
        .value_kind:     by_value
      - .offset:         104
        .size:           4
        .value_kind:     hidden_block_count_x
      - .offset:         108
        .size:           4
        .value_kind:     hidden_block_count_y
      - .offset:         112
        .size:           4
        .value_kind:     hidden_block_count_z
      - .offset:         116
        .size:           2
        .value_kind:     hidden_group_size_x
      - .offset:         118
        .size:           2
        .value_kind:     hidden_group_size_y
      - .offset:         120
        .size:           2
        .value_kind:     hidden_group_size_z
      - .offset:         122
        .size:           2
        .value_kind:     hidden_remainder_x
      - .offset:         124
        .size:           2
        .value_kind:     hidden_remainder_y
      - .offset:         126
        .size:           2
        .value_kind:     hidden_remainder_z
      - .offset:         144
        .size:           8
        .value_kind:     hidden_global_offset_x
      - .offset:         152
        .size:           8
        .value_kind:     hidden_global_offset_y
      - .offset:         160
        .size:           8
        .value_kind:     hidden_global_offset_z
      - .offset:         168
        .size:           2
        .value_kind:     hidden_grid_dims
    .group_segment_fixed_size: 0
    .kernarg_segment_align: 8
    .kernarg_segment_size: 360
    .language:       OpenCL C
    .language_version:
      - 2
      - 0
    .max_flat_workgroup_size: 64
    .name:           _ZL36rocblas_hemvn_kernel_upper_block_sumILi64Ei19rocblas_complex_numIdEPS1_S1_EviT1_lS3_lT2_lT0_lPT3_i
    .private_segment_fixed_size: 0
    .sgpr_count:     30
    .sgpr_spill_count: 0
    .symbol:         _ZL36rocblas_hemvn_kernel_upper_block_sumILi64Ei19rocblas_complex_numIdEPS1_S1_EviT1_lS3_lT2_lT0_lPT3_i.kd
    .uniform_work_group_size: 1
    .uses_dynamic_stack: false
    .vgpr_count:     13
    .vgpr_spill_count: 0
    .wavefront_size: 32
    .workgroup_processor_mode: 1
  - .args:
      - .offset:         0
        .size:           4
        .value_kind:     by_value
      - .address_space:  global
        .offset:         8
        .size:           8
        .value_kind:     global_buffer
      - .offset:         16
        .size:           8
        .value_kind:     by_value
      - .address_space:  global
        .offset:         24
        .size:           8
        .value_kind:     global_buffer
      - .offset:         32
        .size:           8
        .value_kind:     by_value
      - .offset:         40
        .size:           8
        .value_kind:     by_value
      - .offset:         48
        .size:           8
        .value_kind:     by_value
      - .address_space:  global
        .offset:         56
        .size:           8
        .value_kind:     global_buffer
      - .offset:         64
        .size:           8
        .value_kind:     by_value
      - .offset:         72
        .size:           8
        .value_kind:     by_value
      - .offset:         80
        .size:           8
        .value_kind:     by_value
      - .address_space:  global
        .offset:         88
        .size:           8
        .value_kind:     global_buffer
      - .offset:         96
        .size:           8
        .value_kind:     by_value
      - .address_space:  global
        .offset:         104
        .size:           8
        .value_kind:     global_buffer
      - .offset:         112
        .size:           4
        .value_kind:     by_value
      - .offset:         120
        .size:           4
        .value_kind:     hidden_block_count_x
      - .offset:         124
        .size:           4
        .value_kind:     hidden_block_count_y
      - .offset:         128
        .size:           4
        .value_kind:     hidden_block_count_z
      - .offset:         132
        .size:           2
        .value_kind:     hidden_group_size_x
      - .offset:         134
        .size:           2
        .value_kind:     hidden_group_size_y
      - .offset:         136
        .size:           2
        .value_kind:     hidden_group_size_z
      - .offset:         138
        .size:           2
        .value_kind:     hidden_remainder_x
      - .offset:         140
        .size:           2
        .value_kind:     hidden_remainder_y
      - .offset:         142
        .size:           2
        .value_kind:     hidden_remainder_z
      - .offset:         160
        .size:           8
        .value_kind:     hidden_global_offset_x
      - .offset:         168
        .size:           8
        .value_kind:     hidden_global_offset_y
      - .offset:         176
        .size:           8
        .value_kind:     hidden_global_offset_z
      - .offset:         184
        .size:           2
        .value_kind:     hidden_grid_dims
    .group_segment_fixed_size: 19200
    .kernarg_segment_align: 8
    .kernarg_segment_size: 376
    .language:       OpenCL C
    .language_version:
      - 2
      - 0
    .max_flat_workgroup_size: 256
    .name:           _ZL26rocblas_hemvn_kernel_lowerILb1ELi64ELi4ELi33ELi32ELi16ElPK19rocblas_complex_numIdES3_PS1_EviT6_lT7_lT5_lS6_lS7_lS5_lT8_i
    .private_segment_fixed_size: 0
    .sgpr_count:     46
    .sgpr_spill_count: 0
    .symbol:         _ZL26rocblas_hemvn_kernel_lowerILb1ELi64ELi4ELi33ELi32ELi16ElPK19rocblas_complex_numIdES3_PS1_EviT6_lT7_lT5_lS6_lS7_lS5_lT8_i.kd
    .uniform_work_group_size: 1
    .uses_dynamic_stack: false
    .vgpr_count:     183
    .vgpr_spill_count: 0
    .wavefront_size: 32
    .workgroup_processor_mode: 1
  - .args:
      - .offset:         0
        .size:           4
        .value_kind:     by_value
      - .address_space:  global
        .offset:         8
        .size:           8
        .value_kind:     global_buffer
      - .offset:         16
        .size:           8
        .value_kind:     by_value
      - .address_space:  global
        .offset:         24
        .size:           8
        .value_kind:     global_buffer
      - .offset:         32
        .size:           8
        .value_kind:     by_value
      - .address_space:  global
        .offset:         40
        .size:           8
        .value_kind:     global_buffer
      - .offset:         48
        .size:           8
        .value_kind:     by_value
      - .offset:         56
        .size:           8
        .value_kind:     by_value
      - .offset:         64
        .size:           8
        .value_kind:     by_value
      - .actual_access:  read_only
        .address_space:  global
        .offset:         72
        .size:           8
        .value_kind:     global_buffer
      - .offset:         80
        .size:           4
        .value_kind:     by_value
      - .offset:         88
        .size:           4
        .value_kind:     hidden_block_count_x
      - .offset:         92
        .size:           4
        .value_kind:     hidden_block_count_y
      - .offset:         96
        .size:           4
        .value_kind:     hidden_block_count_z
      - .offset:         100
        .size:           2
        .value_kind:     hidden_group_size_x
      - .offset:         102
        .size:           2
        .value_kind:     hidden_group_size_y
      - .offset:         104
        .size:           2
        .value_kind:     hidden_group_size_z
      - .offset:         106
        .size:           2
        .value_kind:     hidden_remainder_x
      - .offset:         108
        .size:           2
        .value_kind:     hidden_remainder_y
      - .offset:         110
        .size:           2
        .value_kind:     hidden_remainder_z
      - .offset:         128
        .size:           8
        .value_kind:     hidden_global_offset_x
      - .offset:         136
        .size:           8
        .value_kind:     hidden_global_offset_y
      - .offset:         144
        .size:           8
        .value_kind:     hidden_global_offset_z
      - .offset:         152
        .size:           2
        .value_kind:     hidden_grid_dims
    .group_segment_fixed_size: 0
    .kernarg_segment_align: 8
    .kernarg_segment_size: 344
    .language:       OpenCL C
    .language_version:
      - 2
      - 0
    .max_flat_workgroup_size: 64
    .name:           _ZL36rocblas_hemvn_kernel_lower_block_sumILi64ElPK19rocblas_complex_numIdEPS1_S1_EviT1_lS5_lT2_lT0_lPT3_i
    .private_segment_fixed_size: 0
    .sgpr_count:     26
    .sgpr_spill_count: 0
    .symbol:         _ZL36rocblas_hemvn_kernel_lower_block_sumILi64ElPK19rocblas_complex_numIdEPS1_S1_EviT1_lS5_lT2_lT0_lPT3_i.kd
    .uniform_work_group_size: 1
    .uses_dynamic_stack: false
    .vgpr_count:     13
    .vgpr_spill_count: 0
    .wavefront_size: 32
    .workgroup_processor_mode: 1
  - .args:
      - .offset:         0
        .size:           4
        .value_kind:     by_value
      - .address_space:  global
        .offset:         8
        .size:           8
        .value_kind:     global_buffer
      - .offset:         16
        .size:           8
        .value_kind:     by_value
      - .address_space:  global
        .offset:         24
        .size:           8
        .value_kind:     global_buffer
      - .offset:         32
        .size:           8
        .value_kind:     by_value
      - .offset:         40
        .size:           4
        .value_kind:     by_value
      - .offset:         48
        .size:           8
        .value_kind:     by_value
      - .address_space:  global
        .offset:         56
        .size:           8
        .value_kind:     global_buffer
      - .offset:         64
        .size:           8
        .value_kind:     by_value
      - .offset:         72
        .size:           4
        .value_kind:     by_value
      - .offset:         80
        .size:           8
        .value_kind:     by_value
      - .address_space:  global
        .offset:         88
        .size:           8
        .value_kind:     global_buffer
      - .offset:         96
        .size:           8
        .value_kind:     by_value
      - .address_space:  global
        .offset:         104
        .size:           8
        .value_kind:     global_buffer
      - .offset:         112
        .size:           4
        .value_kind:     by_value
      - .offset:         120
        .size:           4
        .value_kind:     hidden_block_count_x
      - .offset:         124
        .size:           4
        .value_kind:     hidden_block_count_y
      - .offset:         128
        .size:           4
        .value_kind:     hidden_block_count_z
      - .offset:         132
        .size:           2
        .value_kind:     hidden_group_size_x
      - .offset:         134
        .size:           2
        .value_kind:     hidden_group_size_y
      - .offset:         136
        .size:           2
        .value_kind:     hidden_group_size_z
      - .offset:         138
        .size:           2
        .value_kind:     hidden_remainder_x
      - .offset:         140
        .size:           2
        .value_kind:     hidden_remainder_y
      - .offset:         142
        .size:           2
        .value_kind:     hidden_remainder_z
      - .offset:         160
        .size:           8
        .value_kind:     hidden_global_offset_x
      - .offset:         168
        .size:           8
        .value_kind:     hidden_global_offset_y
      - .offset:         176
        .size:           8
        .value_kind:     hidden_global_offset_z
      - .offset:         184
        .size:           2
        .value_kind:     hidden_grid_dims
    .group_segment_fixed_size: 19200
    .kernarg_segment_align: 8
    .kernarg_segment_size: 376
    .language:       OpenCL C
    .language_version:
      - 2
      - 0
    .max_flat_workgroup_size: 256
    .name:           _ZL26rocblas_hemvn_kernel_lowerILb1ELi64ELi4ELi33ELi32ELi16EiPK19rocblas_complex_numIdES3_PS1_EviT6_lT7_lT5_lS6_lS7_lS5_lT8_i
    .private_segment_fixed_size: 0
    .sgpr_count:     32
    .sgpr_spill_count: 0
    .symbol:         _ZL26rocblas_hemvn_kernel_lowerILb1ELi64ELi4ELi33ELi32ELi16EiPK19rocblas_complex_numIdES3_PS1_EviT6_lT7_lT5_lS6_lS7_lS5_lT8_i.kd
    .uniform_work_group_size: 1
    .uses_dynamic_stack: false
    .vgpr_count:     209
    .vgpr_spill_count: 0
    .wavefront_size: 32
    .workgroup_processor_mode: 1
  - .args:
      - .offset:         0
        .size:           4
        .value_kind:     by_value
      - .address_space:  global
        .offset:         8
        .size:           8
        .value_kind:     global_buffer
      - .offset:         16
        .size:           8
        .value_kind:     by_value
      - .address_space:  global
        .offset:         24
        .size:           8
        .value_kind:     global_buffer
      - .offset:         32
        .size:           8
        .value_kind:     by_value
      - .address_space:  global
        .offset:         40
        .size:           8
        .value_kind:     global_buffer
      - .offset:         48
        .size:           8
        .value_kind:     by_value
      - .offset:         56
        .size:           4
        .value_kind:     by_value
      - .offset:         64
        .size:           8
        .value_kind:     by_value
      - .actual_access:  read_only
        .address_space:  global
        .offset:         72
        .size:           8
        .value_kind:     global_buffer
      - .offset:         80
        .size:           4
        .value_kind:     by_value
      - .offset:         88
        .size:           4
        .value_kind:     hidden_block_count_x
      - .offset:         92
        .size:           4
        .value_kind:     hidden_block_count_y
      - .offset:         96
        .size:           4
        .value_kind:     hidden_block_count_z
      - .offset:         100
        .size:           2
        .value_kind:     hidden_group_size_x
      - .offset:         102
        .size:           2
        .value_kind:     hidden_group_size_y
      - .offset:         104
        .size:           2
        .value_kind:     hidden_group_size_z
      - .offset:         106
        .size:           2
        .value_kind:     hidden_remainder_x
      - .offset:         108
        .size:           2
        .value_kind:     hidden_remainder_y
      - .offset:         110
        .size:           2
        .value_kind:     hidden_remainder_z
      - .offset:         128
        .size:           8
        .value_kind:     hidden_global_offset_x
      - .offset:         136
        .size:           8
        .value_kind:     hidden_global_offset_y
      - .offset:         144
        .size:           8
        .value_kind:     hidden_global_offset_z
      - .offset:         152
        .size:           2
        .value_kind:     hidden_grid_dims
    .group_segment_fixed_size: 0
    .kernarg_segment_align: 8
    .kernarg_segment_size: 344
    .language:       OpenCL C
    .language_version:
      - 2
      - 0
    .max_flat_workgroup_size: 64
    .name:           _ZL36rocblas_hemvn_kernel_lower_block_sumILi64EiPK19rocblas_complex_numIdEPS1_S1_EviT1_lS5_lT2_lT0_lPT3_i
    .private_segment_fixed_size: 0
    .sgpr_count:     26
    .sgpr_spill_count: 0
    .symbol:         _ZL36rocblas_hemvn_kernel_lower_block_sumILi64EiPK19rocblas_complex_numIdEPS1_S1_EviT1_lS5_lT2_lT0_lPT3_i.kd
    .uniform_work_group_size: 1
    .uses_dynamic_stack: false
    .vgpr_count:     13
    .vgpr_spill_count: 0
    .wavefront_size: 32
    .workgroup_processor_mode: 1
  - .args:
      - .offset:         0
        .size:           4
        .value_kind:     by_value
      - .offset:         8
        .size:           16
        .value_kind:     by_value
      - .offset:         24
        .size:           8
        .value_kind:     by_value
      - .address_space:  global
        .offset:         32
        .size:           8
        .value_kind:     global_buffer
      - .offset:         40
        .size:           8
        .value_kind:     by_value
      - .offset:         48
        .size:           8
        .value_kind:     by_value
      - .offset:         56
        .size:           8
        .value_kind:     by_value
      - .address_space:  global
        .offset:         64
        .size:           8
        .value_kind:     global_buffer
      - .offset:         72
        .size:           8
        .value_kind:     by_value
      - .offset:         80
        .size:           8
        .value_kind:     by_value
      - .offset:         88
        .size:           8
        .value_kind:     by_value
      - .offset:         96
        .size:           16
        .value_kind:     by_value
      - .offset:         112
        .size:           8
        .value_kind:     by_value
      - .address_space:  global
        .offset:         120
        .size:           8
        .value_kind:     global_buffer
      - .offset:         128
        .size:           4
        .value_kind:     by_value
      - .offset:         136
        .size:           4
        .value_kind:     hidden_block_count_x
      - .offset:         140
        .size:           4
        .value_kind:     hidden_block_count_y
      - .offset:         144
        .size:           4
        .value_kind:     hidden_block_count_z
      - .offset:         148
        .size:           2
        .value_kind:     hidden_group_size_x
      - .offset:         150
        .size:           2
        .value_kind:     hidden_group_size_y
      - .offset:         152
        .size:           2
        .value_kind:     hidden_group_size_z
      - .offset:         154
        .size:           2
        .value_kind:     hidden_remainder_x
      - .offset:         156
        .size:           2
        .value_kind:     hidden_remainder_y
      - .offset:         158
        .size:           2
        .value_kind:     hidden_remainder_z
      - .offset:         176
        .size:           8
        .value_kind:     hidden_global_offset_x
      - .offset:         184
        .size:           8
        .value_kind:     hidden_global_offset_y
      - .offset:         192
        .size:           8
        .value_kind:     hidden_global_offset_z
      - .offset:         200
        .size:           2
        .value_kind:     hidden_grid_dims
    .group_segment_fixed_size: 19200
    .kernarg_segment_align: 8
    .kernarg_segment_size: 392
    .language:       OpenCL C
    .language_version:
      - 2
      - 0
    .max_flat_workgroup_size: 256
    .name:           _ZL26rocblas_hemvn_kernel_lowerILb1ELi64ELi4ELi33ELi32ELi16El19rocblas_complex_numIdEPKS1_PS1_EviT6_lT7_lT5_lS6_lS7_lS5_lT8_i
    .private_segment_fixed_size: 0
    .sgpr_count:     34
    .sgpr_spill_count: 0
    .symbol:         _ZL26rocblas_hemvn_kernel_lowerILb1ELi64ELi4ELi33ELi32ELi16El19rocblas_complex_numIdEPKS1_PS1_EviT6_lT7_lT5_lS6_lS7_lS5_lT8_i.kd
    .uniform_work_group_size: 1
    .uses_dynamic_stack: false
    .vgpr_count:     183
    .vgpr_spill_count: 0
    .wavefront_size: 32
    .workgroup_processor_mode: 1
  - .args:
      - .offset:         0
        .size:           4
        .value_kind:     by_value
      - .offset:         8
        .size:           16
        .value_kind:     by_value
      - .offset:         24
        .size:           8
        .value_kind:     by_value
      - .offset:         32
        .size:           16
        .value_kind:     by_value
      - .offset:         48
        .size:           8
        .value_kind:     by_value
      - .address_space:  global
        .offset:         56
        .size:           8
        .value_kind:     global_buffer
      - .offset:         64
        .size:           8
        .value_kind:     by_value
      - .offset:         72
        .size:           8
        .value_kind:     by_value
      - .offset:         80
        .size:           8
        .value_kind:     by_value
      - .actual_access:  read_only
        .address_space:  global
        .offset:         88
        .size:           8
        .value_kind:     global_buffer
      - .offset:         96
        .size:           4
        .value_kind:     by_value
      - .offset:         104
        .size:           4
        .value_kind:     hidden_block_count_x
      - .offset:         108
        .size:           4
        .value_kind:     hidden_block_count_y
      - .offset:         112
        .size:           4
        .value_kind:     hidden_block_count_z
      - .offset:         116
        .size:           2
        .value_kind:     hidden_group_size_x
      - .offset:         118
        .size:           2
        .value_kind:     hidden_group_size_y
      - .offset:         120
        .size:           2
        .value_kind:     hidden_group_size_z
      - .offset:         122
        .size:           2
        .value_kind:     hidden_remainder_x
      - .offset:         124
        .size:           2
        .value_kind:     hidden_remainder_y
      - .offset:         126
        .size:           2
        .value_kind:     hidden_remainder_z
      - .offset:         144
        .size:           8
        .value_kind:     hidden_global_offset_x
      - .offset:         152
        .size:           8
        .value_kind:     hidden_global_offset_y
      - .offset:         160
        .size:           8
        .value_kind:     hidden_global_offset_z
      - .offset:         168
        .size:           2
        .value_kind:     hidden_grid_dims
    .group_segment_fixed_size: 0
    .kernarg_segment_align: 8
    .kernarg_segment_size: 360
    .language:       OpenCL C
    .language_version:
      - 2
      - 0
    .max_flat_workgroup_size: 64
    .name:           _ZL36rocblas_hemvn_kernel_lower_block_sumILi64El19rocblas_complex_numIdEPS1_S1_EviT1_lS3_lT2_lT0_lPT3_i
    .private_segment_fixed_size: 0
    .sgpr_count:     26
    .sgpr_spill_count: 0
    .symbol:         _ZL36rocblas_hemvn_kernel_lower_block_sumILi64El19rocblas_complex_numIdEPS1_S1_EviT1_lS3_lT2_lT0_lPT3_i.kd
    .uniform_work_group_size: 1
    .uses_dynamic_stack: false
    .vgpr_count:     13
    .vgpr_spill_count: 0
    .wavefront_size: 32
    .workgroup_processor_mode: 1
  - .args:
      - .offset:         0
        .size:           4
        .value_kind:     by_value
      - .offset:         8
        .size:           16
        .value_kind:     by_value
      - .offset:         24
        .size:           8
        .value_kind:     by_value
      - .address_space:  global
        .offset:         32
        .size:           8
        .value_kind:     global_buffer
      - .offset:         40
        .size:           8
        .value_kind:     by_value
      - .offset:         48
        .size:           4
        .value_kind:     by_value
      - .offset:         56
        .size:           8
        .value_kind:     by_value
      - .address_space:  global
        .offset:         64
        .size:           8
        .value_kind:     global_buffer
      - .offset:         72
        .size:           8
        .value_kind:     by_value
      - .offset:         80
        .size:           4
        .value_kind:     by_value
      - .offset:         88
        .size:           8
        .value_kind:     by_value
      - .offset:         96
        .size:           16
        .value_kind:     by_value
      - .offset:         112
        .size:           8
        .value_kind:     by_value
      - .address_space:  global
        .offset:         120
        .size:           8
        .value_kind:     global_buffer
      - .offset:         128
        .size:           4
        .value_kind:     by_value
      - .offset:         136
        .size:           4
        .value_kind:     hidden_block_count_x
      - .offset:         140
        .size:           4
        .value_kind:     hidden_block_count_y
      - .offset:         144
        .size:           4
        .value_kind:     hidden_block_count_z
      - .offset:         148
        .size:           2
        .value_kind:     hidden_group_size_x
      - .offset:         150
        .size:           2
        .value_kind:     hidden_group_size_y
      - .offset:         152
        .size:           2
        .value_kind:     hidden_group_size_z
      - .offset:         154
        .size:           2
        .value_kind:     hidden_remainder_x
      - .offset:         156
        .size:           2
        .value_kind:     hidden_remainder_y
      - .offset:         158
        .size:           2
        .value_kind:     hidden_remainder_z
      - .offset:         176
        .size:           8
        .value_kind:     hidden_global_offset_x
      - .offset:         184
        .size:           8
        .value_kind:     hidden_global_offset_y
      - .offset:         192
        .size:           8
        .value_kind:     hidden_global_offset_z
      - .offset:         200
        .size:           2
        .value_kind:     hidden_grid_dims
    .group_segment_fixed_size: 19200
    .kernarg_segment_align: 8
    .kernarg_segment_size: 392
    .language:       OpenCL C
    .language_version:
      - 2
      - 0
    .max_flat_workgroup_size: 256
    .name:           _ZL26rocblas_hemvn_kernel_lowerILb1ELi64ELi4ELi33ELi32ELi16Ei19rocblas_complex_numIdEPKS1_PS1_EviT6_lT7_lT5_lS6_lS7_lS5_lT8_i
    .private_segment_fixed_size: 0
    .sgpr_count:     32
    .sgpr_spill_count: 0
    .symbol:         _ZL26rocblas_hemvn_kernel_lowerILb1ELi64ELi4ELi33ELi32ELi16Ei19rocblas_complex_numIdEPKS1_PS1_EviT6_lT7_lT5_lS6_lS7_lS5_lT8_i.kd
    .uniform_work_group_size: 1
    .uses_dynamic_stack: false
    .vgpr_count:     209
    .vgpr_spill_count: 0
    .wavefront_size: 32
    .workgroup_processor_mode: 1
  - .args:
      - .offset:         0
        .size:           4
        .value_kind:     by_value
      - .offset:         8
        .size:           16
        .value_kind:     by_value
      - .offset:         24
        .size:           8
        .value_kind:     by_value
      - .offset:         32
        .size:           16
        .value_kind:     by_value
      - .offset:         48
        .size:           8
        .value_kind:     by_value
      - .address_space:  global
        .offset:         56
        .size:           8
        .value_kind:     global_buffer
      - .offset:         64
        .size:           8
        .value_kind:     by_value
      - .offset:         72
        .size:           4
        .value_kind:     by_value
      - .offset:         80
        .size:           8
        .value_kind:     by_value
      - .actual_access:  read_only
        .address_space:  global
        .offset:         88
        .size:           8
        .value_kind:     global_buffer
      - .offset:         96
        .size:           4
        .value_kind:     by_value
      - .offset:         104
        .size:           4
        .value_kind:     hidden_block_count_x
      - .offset:         108
        .size:           4
        .value_kind:     hidden_block_count_y
      - .offset:         112
        .size:           4
        .value_kind:     hidden_block_count_z
      - .offset:         116
        .size:           2
        .value_kind:     hidden_group_size_x
      - .offset:         118
        .size:           2
        .value_kind:     hidden_group_size_y
      - .offset:         120
        .size:           2
        .value_kind:     hidden_group_size_z
      - .offset:         122
        .size:           2
        .value_kind:     hidden_remainder_x
      - .offset:         124
        .size:           2
        .value_kind:     hidden_remainder_y
      - .offset:         126
        .size:           2
        .value_kind:     hidden_remainder_z
      - .offset:         144
        .size:           8
        .value_kind:     hidden_global_offset_x
      - .offset:         152
        .size:           8
        .value_kind:     hidden_global_offset_y
      - .offset:         160
        .size:           8
        .value_kind:     hidden_global_offset_z
      - .offset:         168
        .size:           2
        .value_kind:     hidden_grid_dims
    .group_segment_fixed_size: 0
    .kernarg_segment_align: 8
    .kernarg_segment_size: 360
    .language:       OpenCL C
    .language_version:
      - 2
      - 0
    .max_flat_workgroup_size: 64
    .name:           _ZL36rocblas_hemvn_kernel_lower_block_sumILi64Ei19rocblas_complex_numIdEPS1_S1_EviT1_lS3_lT2_lT0_lPT3_i
    .private_segment_fixed_size: 0
    .sgpr_count:     26
    .sgpr_spill_count: 0
    .symbol:         _ZL36rocblas_hemvn_kernel_lower_block_sumILi64Ei19rocblas_complex_numIdEPS1_S1_EviT1_lS3_lT2_lT0_lPT3_i.kd
    .uniform_work_group_size: 1
    .uses_dynamic_stack: false
    .vgpr_count:     13
    .vgpr_spill_count: 0
    .wavefront_size: 32
    .workgroup_processor_mode: 1
  - .args:
      - .offset:         0
        .size:           4
        .value_kind:     by_value
      - .address_space:  global
        .offset:         8
        .size:           8
        .value_kind:     global_buffer
      - .offset:         16
        .size:           8
        .value_kind:     by_value
      - .address_space:  global
        .offset:         24
        .size:           8
        .value_kind:     global_buffer
      - .offset:         32
        .size:           8
        .value_kind:     by_value
      - .offset:         40
        .size:           8
        .value_kind:     by_value
      - .offset:         48
        .size:           8
        .value_kind:     by_value
      - .address_space:  global
        .offset:         56
        .size:           8
        .value_kind:     global_buffer
      - .offset:         64
        .size:           8
        .value_kind:     by_value
      - .offset:         72
        .size:           8
        .value_kind:     by_value
      - .offset:         80
        .size:           8
        .value_kind:     by_value
      - .address_space:  global
        .offset:         88
        .size:           8
        .value_kind:     global_buffer
      - .offset:         96
        .size:           8
        .value_kind:     by_value
      - .address_space:  global
        .offset:         104
        .size:           8
        .value_kind:     global_buffer
      - .offset:         112
        .size:           4
        .value_kind:     by_value
      - .offset:         120
        .size:           4
        .value_kind:     hidden_block_count_x
      - .offset:         124
        .size:           4
        .value_kind:     hidden_block_count_y
      - .offset:         128
        .size:           4
        .value_kind:     hidden_block_count_z
      - .offset:         132
        .size:           2
        .value_kind:     hidden_group_size_x
      - .offset:         134
        .size:           2
        .value_kind:     hidden_group_size_y
      - .offset:         136
        .size:           2
        .value_kind:     hidden_group_size_z
      - .offset:         138
        .size:           2
        .value_kind:     hidden_remainder_x
      - .offset:         140
        .size:           2
        .value_kind:     hidden_remainder_y
      - .offset:         142
        .size:           2
        .value_kind:     hidden_remainder_z
      - .offset:         160
        .size:           8
        .value_kind:     hidden_global_offset_x
      - .offset:         168
        .size:           8
        .value_kind:     hidden_global_offset_y
      - .offset:         176
        .size:           8
        .value_kind:     hidden_global_offset_z
      - .offset:         184
        .size:           2
        .value_kind:     hidden_grid_dims
    .group_segment_fixed_size: 9600
    .kernarg_segment_align: 8
    .kernarg_segment_size: 376
    .language:       OpenCL C
    .language_version:
      - 2
      - 0
    .max_flat_workgroup_size: 256
    .name:           _ZL26rocblas_hemvn_kernel_upperILb1ELi64ELi4ELi33ELi32ELi16ElPK19rocblas_complex_numIfEPKS3_PS1_EviT6_lT7_lT5_lS8_lS9_lS7_lT8_i
    .private_segment_fixed_size: 0
    .sgpr_count:     32
    .sgpr_spill_count: 0
    .symbol:         _ZL26rocblas_hemvn_kernel_upperILb1ELi64ELi4ELi33ELi32ELi16ElPK19rocblas_complex_numIfEPKS3_PS1_EviT6_lT7_lT5_lS8_lS9_lS7_lT8_i.kd
    .uniform_work_group_size: 1
    .uses_dynamic_stack: false
    .vgpr_count:     161
    .vgpr_spill_count: 0
    .wavefront_size: 32
    .workgroup_processor_mode: 1
  - .args:
      - .offset:         0
        .size:           4
        .value_kind:     by_value
      - .address_space:  global
        .offset:         8
        .size:           8
        .value_kind:     global_buffer
      - .offset:         16
        .size:           8
        .value_kind:     by_value
      - .address_space:  global
        .offset:         24
        .size:           8
        .value_kind:     global_buffer
      - .offset:         32
        .size:           8
        .value_kind:     by_value
      - .actual_access:  read_only
        .address_space:  global
        .offset:         40
        .size:           8
        .value_kind:     global_buffer
      - .offset:         48
        .size:           8
        .value_kind:     by_value
      - .offset:         56
        .size:           8
        .value_kind:     by_value
      - .offset:         64
        .size:           8
        .value_kind:     by_value
      - .address_space:  global
        .offset:         72
        .size:           8
        .value_kind:     global_buffer
      - .offset:         80
        .size:           4
        .value_kind:     by_value
      - .offset:         88
        .size:           4
        .value_kind:     hidden_block_count_x
      - .offset:         92
        .size:           4
        .value_kind:     hidden_block_count_y
      - .offset:         96
        .size:           4
        .value_kind:     hidden_block_count_z
      - .offset:         100
        .size:           2
        .value_kind:     hidden_group_size_x
      - .offset:         102
        .size:           2
        .value_kind:     hidden_group_size_y
      - .offset:         104
        .size:           2
        .value_kind:     hidden_group_size_z
      - .offset:         106
        .size:           2
        .value_kind:     hidden_remainder_x
      - .offset:         108
        .size:           2
        .value_kind:     hidden_remainder_y
      - .offset:         110
        .size:           2
        .value_kind:     hidden_remainder_z
      - .offset:         128
        .size:           8
        .value_kind:     hidden_global_offset_x
      - .offset:         136
        .size:           8
        .value_kind:     hidden_global_offset_y
      - .offset:         144
        .size:           8
        .value_kind:     hidden_global_offset_z
      - .offset:         152
        .size:           2
        .value_kind:     hidden_grid_dims
    .group_segment_fixed_size: 0
    .kernarg_segment_align: 8
    .kernarg_segment_size: 344
    .language:       OpenCL C
    .language_version:
      - 2
      - 0
    .max_flat_workgroup_size: 64
    .name:           _ZL36rocblas_hemvn_kernel_upper_block_sumILi64ElPK19rocblas_complex_numIfEPKPS1_S1_EviT1_lS7_lT2_lT0_lPT3_i
    .private_segment_fixed_size: 0
    .sgpr_count:     26
    .sgpr_spill_count: 0
    .symbol:         _ZL36rocblas_hemvn_kernel_upper_block_sumILi64ElPK19rocblas_complex_numIfEPKPS1_S1_EviT1_lS7_lT2_lT0_lPT3_i.kd
    .uniform_work_group_size: 1
    .uses_dynamic_stack: false
    .vgpr_count:     8
    .vgpr_spill_count: 0
    .wavefront_size: 32
    .workgroup_processor_mode: 1
  - .args:
      - .offset:         0
        .size:           4
        .value_kind:     by_value
      - .address_space:  global
        .offset:         8
        .size:           8
        .value_kind:     global_buffer
      - .offset:         16
        .size:           8
        .value_kind:     by_value
      - .address_space:  global
        .offset:         24
        .size:           8
        .value_kind:     global_buffer
      - .offset:         32
        .size:           8
        .value_kind:     by_value
      - .offset:         40
        .size:           4
        .value_kind:     by_value
      - .offset:         48
        .size:           8
        .value_kind:     by_value
      - .address_space:  global
        .offset:         56
        .size:           8
        .value_kind:     global_buffer
      - .offset:         64
        .size:           8
        .value_kind:     by_value
      - .offset:         72
        .size:           4
        .value_kind:     by_value
      - .offset:         80
        .size:           8
        .value_kind:     by_value
      - .address_space:  global
        .offset:         88
        .size:           8
        .value_kind:     global_buffer
      - .offset:         96
        .size:           8
        .value_kind:     by_value
      - .address_space:  global
        .offset:         104
        .size:           8
        .value_kind:     global_buffer
      - .offset:         112
        .size:           4
        .value_kind:     by_value
      - .offset:         120
        .size:           4
        .value_kind:     hidden_block_count_x
      - .offset:         124
        .size:           4
        .value_kind:     hidden_block_count_y
      - .offset:         128
        .size:           4
        .value_kind:     hidden_block_count_z
      - .offset:         132
        .size:           2
        .value_kind:     hidden_group_size_x
      - .offset:         134
        .size:           2
        .value_kind:     hidden_group_size_y
      - .offset:         136
        .size:           2
        .value_kind:     hidden_group_size_z
      - .offset:         138
        .size:           2
        .value_kind:     hidden_remainder_x
      - .offset:         140
        .size:           2
        .value_kind:     hidden_remainder_y
      - .offset:         142
        .size:           2
        .value_kind:     hidden_remainder_z
      - .offset:         160
        .size:           8
        .value_kind:     hidden_global_offset_x
      - .offset:         168
        .size:           8
        .value_kind:     hidden_global_offset_y
      - .offset:         176
        .size:           8
        .value_kind:     hidden_global_offset_z
      - .offset:         184
        .size:           2
        .value_kind:     hidden_grid_dims
    .group_segment_fixed_size: 9600
    .kernarg_segment_align: 8
    .kernarg_segment_size: 376
    .language:       OpenCL C
    .language_version:
      - 2
      - 0
    .max_flat_workgroup_size: 256
    .name:           _ZL26rocblas_hemvn_kernel_upperILb1ELi64ELi4ELi33ELi32ELi16EiPK19rocblas_complex_numIfEPKS3_PS1_EviT6_lT7_lT5_lS8_lS9_lS7_lT8_i
    .private_segment_fixed_size: 0
    .sgpr_count:     39
    .sgpr_spill_count: 0
    .symbol:         _ZL26rocblas_hemvn_kernel_upperILb1ELi64ELi4ELi33ELi32ELi16EiPK19rocblas_complex_numIfEPKS3_PS1_EviT6_lT7_lT5_lS8_lS9_lS7_lT8_i.kd
    .uniform_work_group_size: 1
    .uses_dynamic_stack: false
    .vgpr_count:     171
    .vgpr_spill_count: 0
    .wavefront_size: 32
    .workgroup_processor_mode: 1
  - .args:
      - .offset:         0
        .size:           4
        .value_kind:     by_value
      - .address_space:  global
        .offset:         8
        .size:           8
        .value_kind:     global_buffer
      - .offset:         16
        .size:           8
        .value_kind:     by_value
      - .address_space:  global
        .offset:         24
        .size:           8
        .value_kind:     global_buffer
      - .offset:         32
        .size:           8
        .value_kind:     by_value
      - .actual_access:  read_only
        .address_space:  global
        .offset:         40
        .size:           8
        .value_kind:     global_buffer
      - .offset:         48
        .size:           8
        .value_kind:     by_value
      - .offset:         56
        .size:           4
        .value_kind:     by_value
      - .offset:         64
        .size:           8
        .value_kind:     by_value
      - .address_space:  global
        .offset:         72
        .size:           8
        .value_kind:     global_buffer
      - .offset:         80
        .size:           4
        .value_kind:     by_value
      - .offset:         88
        .size:           4
        .value_kind:     hidden_block_count_x
      - .offset:         92
        .size:           4
        .value_kind:     hidden_block_count_y
      - .offset:         96
        .size:           4
        .value_kind:     hidden_block_count_z
      - .offset:         100
        .size:           2
        .value_kind:     hidden_group_size_x
      - .offset:         102
        .size:           2
        .value_kind:     hidden_group_size_y
      - .offset:         104
        .size:           2
        .value_kind:     hidden_group_size_z
      - .offset:         106
        .size:           2
        .value_kind:     hidden_remainder_x
      - .offset:         108
        .size:           2
        .value_kind:     hidden_remainder_y
      - .offset:         110
        .size:           2
        .value_kind:     hidden_remainder_z
      - .offset:         128
        .size:           8
        .value_kind:     hidden_global_offset_x
      - .offset:         136
        .size:           8
        .value_kind:     hidden_global_offset_y
      - .offset:         144
        .size:           8
        .value_kind:     hidden_global_offset_z
      - .offset:         152
        .size:           2
        .value_kind:     hidden_grid_dims
    .group_segment_fixed_size: 0
    .kernarg_segment_align: 8
    .kernarg_segment_size: 344
    .language:       OpenCL C
    .language_version:
      - 2
      - 0
    .max_flat_workgroup_size: 64
    .name:           _ZL36rocblas_hemvn_kernel_upper_block_sumILi64EiPK19rocblas_complex_numIfEPKPS1_S1_EviT1_lS7_lT2_lT0_lPT3_i
    .private_segment_fixed_size: 0
    .sgpr_count:     26
    .sgpr_spill_count: 0
    .symbol:         _ZL36rocblas_hemvn_kernel_upper_block_sumILi64EiPK19rocblas_complex_numIfEPKPS1_S1_EviT1_lS7_lT2_lT0_lPT3_i.kd
    .uniform_work_group_size: 1
    .uses_dynamic_stack: false
    .vgpr_count:     7
    .vgpr_spill_count: 0
    .wavefront_size: 32
    .workgroup_processor_mode: 1
  - .args:
      - .offset:         0
        .size:           4
        .value_kind:     by_value
      - .offset:         4
        .size:           8
        .value_kind:     by_value
      - .offset:         16
        .size:           8
        .value_kind:     by_value
      - .address_space:  global
        .offset:         24
        .size:           8
        .value_kind:     global_buffer
      - .offset:         32
        .size:           8
        .value_kind:     by_value
      - .offset:         40
        .size:           8
        .value_kind:     by_value
      - .offset:         48
        .size:           8
        .value_kind:     by_value
      - .address_space:  global
        .offset:         56
        .size:           8
        .value_kind:     global_buffer
      - .offset:         64
        .size:           8
        .value_kind:     by_value
      - .offset:         72
        .size:           8
        .value_kind:     by_value
      - .offset:         80
        .size:           8
        .value_kind:     by_value
      - .offset:         88
        .size:           8
        .value_kind:     by_value
      - .offset:         96
        .size:           8
        .value_kind:     by_value
      - .address_space:  global
        .offset:         104
        .size:           8
        .value_kind:     global_buffer
      - .offset:         112
        .size:           4
        .value_kind:     by_value
      - .offset:         120
        .size:           4
        .value_kind:     hidden_block_count_x
      - .offset:         124
        .size:           4
        .value_kind:     hidden_block_count_y
      - .offset:         128
        .size:           4
        .value_kind:     hidden_block_count_z
      - .offset:         132
        .size:           2
        .value_kind:     hidden_group_size_x
      - .offset:         134
        .size:           2
        .value_kind:     hidden_group_size_y
      - .offset:         136
        .size:           2
        .value_kind:     hidden_group_size_z
      - .offset:         138
        .size:           2
        .value_kind:     hidden_remainder_x
      - .offset:         140
        .size:           2
        .value_kind:     hidden_remainder_y
      - .offset:         142
        .size:           2
        .value_kind:     hidden_remainder_z
      - .offset:         160
        .size:           8
        .value_kind:     hidden_global_offset_x
      - .offset:         168
        .size:           8
        .value_kind:     hidden_global_offset_y
      - .offset:         176
        .size:           8
        .value_kind:     hidden_global_offset_z
      - .offset:         184
        .size:           2
        .value_kind:     hidden_grid_dims
    .group_segment_fixed_size: 9600
    .kernarg_segment_align: 8
    .kernarg_segment_size: 376
    .language:       OpenCL C
    .language_version:
      - 2
      - 0
    .max_flat_workgroup_size: 256
    .name:           _ZL26rocblas_hemvn_kernel_upperILb1ELi64ELi4ELi33ELi32ELi16El19rocblas_complex_numIfEPKPKS1_PS1_EviT6_lT7_lT5_lS8_lS9_lS7_lT8_i
    .private_segment_fixed_size: 0
    .sgpr_count:     32
    .sgpr_spill_count: 0
    .symbol:         _ZL26rocblas_hemvn_kernel_upperILb1ELi64ELi4ELi33ELi32ELi16El19rocblas_complex_numIfEPKPKS1_PS1_EviT6_lT7_lT5_lS8_lS9_lS7_lT8_i.kd
    .uniform_work_group_size: 1
    .uses_dynamic_stack: false
    .vgpr_count:     161
    .vgpr_spill_count: 0
    .wavefront_size: 32
    .workgroup_processor_mode: 1
  - .args:
      - .offset:         0
        .size:           4
        .value_kind:     by_value
      - .offset:         4
        .size:           8
        .value_kind:     by_value
      - .offset:         16
        .size:           8
        .value_kind:     by_value
      - .offset:         24
        .size:           8
        .value_kind:     by_value
      - .offset:         32
        .size:           8
        .value_kind:     by_value
      - .actual_access:  read_only
        .address_space:  global
        .offset:         40
        .size:           8
        .value_kind:     global_buffer
      - .offset:         48
        .size:           8
        .value_kind:     by_value
      - .offset:         56
        .size:           8
        .value_kind:     by_value
      - .offset:         64
        .size:           8
        .value_kind:     by_value
      - .address_space:  global
        .offset:         72
        .size:           8
        .value_kind:     global_buffer
      - .offset:         80
        .size:           4
        .value_kind:     by_value
      - .offset:         88
        .size:           4
        .value_kind:     hidden_block_count_x
      - .offset:         92
        .size:           4
        .value_kind:     hidden_block_count_y
      - .offset:         96
        .size:           4
        .value_kind:     hidden_block_count_z
      - .offset:         100
        .size:           2
        .value_kind:     hidden_group_size_x
      - .offset:         102
        .size:           2
        .value_kind:     hidden_group_size_y
      - .offset:         104
        .size:           2
        .value_kind:     hidden_group_size_z
      - .offset:         106
        .size:           2
        .value_kind:     hidden_remainder_x
      - .offset:         108
        .size:           2
        .value_kind:     hidden_remainder_y
      - .offset:         110
        .size:           2
        .value_kind:     hidden_remainder_z
      - .offset:         128
        .size:           8
        .value_kind:     hidden_global_offset_x
      - .offset:         136
        .size:           8
        .value_kind:     hidden_global_offset_y
      - .offset:         144
        .size:           8
        .value_kind:     hidden_global_offset_z
      - .offset:         152
        .size:           2
        .value_kind:     hidden_grid_dims
    .group_segment_fixed_size: 0
    .kernarg_segment_align: 8
    .kernarg_segment_size: 344
    .language:       OpenCL C
    .language_version:
      - 2
      - 0
    .max_flat_workgroup_size: 64
    .name:           _ZL36rocblas_hemvn_kernel_upper_block_sumILi64El19rocblas_complex_numIfEPKPS1_S1_EviT1_lS5_lT2_lT0_lPT3_i
    .private_segment_fixed_size: 0
    .sgpr_count:     22
    .sgpr_spill_count: 0
    .symbol:         _ZL36rocblas_hemvn_kernel_upper_block_sumILi64El19rocblas_complex_numIfEPKPS1_S1_EviT1_lS5_lT2_lT0_lPT3_i.kd
    .uniform_work_group_size: 1
    .uses_dynamic_stack: false
    .vgpr_count:     8
    .vgpr_spill_count: 0
    .wavefront_size: 32
    .workgroup_processor_mode: 1
  - .args:
      - .offset:         0
        .size:           4
        .value_kind:     by_value
      - .offset:         4
        .size:           8
        .value_kind:     by_value
      - .offset:         16
        .size:           8
        .value_kind:     by_value
      - .address_space:  global
        .offset:         24
        .size:           8
        .value_kind:     global_buffer
      - .offset:         32
        .size:           8
        .value_kind:     by_value
      - .offset:         40
        .size:           4
        .value_kind:     by_value
      - .offset:         48
        .size:           8
        .value_kind:     by_value
      - .address_space:  global
        .offset:         56
        .size:           8
        .value_kind:     global_buffer
      - .offset:         64
        .size:           8
        .value_kind:     by_value
      - .offset:         72
        .size:           4
        .value_kind:     by_value
      - .offset:         80
        .size:           8
        .value_kind:     by_value
      - .offset:         88
        .size:           8
        .value_kind:     by_value
      - .offset:         96
        .size:           8
        .value_kind:     by_value
      - .address_space:  global
        .offset:         104
        .size:           8
        .value_kind:     global_buffer
      - .offset:         112
        .size:           4
        .value_kind:     by_value
      - .offset:         120
        .size:           4
        .value_kind:     hidden_block_count_x
      - .offset:         124
        .size:           4
        .value_kind:     hidden_block_count_y
      - .offset:         128
        .size:           4
        .value_kind:     hidden_block_count_z
      - .offset:         132
        .size:           2
        .value_kind:     hidden_group_size_x
      - .offset:         134
        .size:           2
        .value_kind:     hidden_group_size_y
      - .offset:         136
        .size:           2
        .value_kind:     hidden_group_size_z
      - .offset:         138
        .size:           2
        .value_kind:     hidden_remainder_x
      - .offset:         140
        .size:           2
        .value_kind:     hidden_remainder_y
      - .offset:         142
        .size:           2
        .value_kind:     hidden_remainder_z
      - .offset:         160
        .size:           8
        .value_kind:     hidden_global_offset_x
      - .offset:         168
        .size:           8
        .value_kind:     hidden_global_offset_y
      - .offset:         176
        .size:           8
        .value_kind:     hidden_global_offset_z
      - .offset:         184
        .size:           2
        .value_kind:     hidden_grid_dims
    .group_segment_fixed_size: 9600
    .kernarg_segment_align: 8
    .kernarg_segment_size: 376
    .language:       OpenCL C
    .language_version:
      - 2
      - 0
    .max_flat_workgroup_size: 256
    .name:           _ZL26rocblas_hemvn_kernel_upperILb1ELi64ELi4ELi33ELi32ELi16Ei19rocblas_complex_numIfEPKPKS1_PS1_EviT6_lT7_lT5_lS8_lS9_lS7_lT8_i
    .private_segment_fixed_size: 0
    .sgpr_count:     39
    .sgpr_spill_count: 0
    .symbol:         _ZL26rocblas_hemvn_kernel_upperILb1ELi64ELi4ELi33ELi32ELi16Ei19rocblas_complex_numIfEPKPKS1_PS1_EviT6_lT7_lT5_lS8_lS9_lS7_lT8_i.kd
    .uniform_work_group_size: 1
    .uses_dynamic_stack: false
    .vgpr_count:     171
    .vgpr_spill_count: 0
    .wavefront_size: 32
    .workgroup_processor_mode: 1
  - .args:
      - .offset:         0
        .size:           4
        .value_kind:     by_value
      - .offset:         4
        .size:           8
        .value_kind:     by_value
      - .offset:         16
        .size:           8
        .value_kind:     by_value
      - .offset:         24
        .size:           8
        .value_kind:     by_value
      - .offset:         32
        .size:           8
        .value_kind:     by_value
      - .actual_access:  read_only
        .address_space:  global
        .offset:         40
        .size:           8
        .value_kind:     global_buffer
      - .offset:         48
        .size:           8
        .value_kind:     by_value
      - .offset:         56
        .size:           4
        .value_kind:     by_value
      - .offset:         64
        .size:           8
        .value_kind:     by_value
      - .address_space:  global
        .offset:         72
        .size:           8
        .value_kind:     global_buffer
      - .offset:         80
        .size:           4
        .value_kind:     by_value
      - .offset:         88
        .size:           4
        .value_kind:     hidden_block_count_x
      - .offset:         92
        .size:           4
        .value_kind:     hidden_block_count_y
      - .offset:         96
        .size:           4
        .value_kind:     hidden_block_count_z
      - .offset:         100
        .size:           2
        .value_kind:     hidden_group_size_x
      - .offset:         102
        .size:           2
        .value_kind:     hidden_group_size_y
      - .offset:         104
        .size:           2
        .value_kind:     hidden_group_size_z
      - .offset:         106
        .size:           2
        .value_kind:     hidden_remainder_x
      - .offset:         108
        .size:           2
        .value_kind:     hidden_remainder_y
      - .offset:         110
        .size:           2
        .value_kind:     hidden_remainder_z
      - .offset:         128
        .size:           8
        .value_kind:     hidden_global_offset_x
      - .offset:         136
        .size:           8
        .value_kind:     hidden_global_offset_y
      - .offset:         144
        .size:           8
        .value_kind:     hidden_global_offset_z
      - .offset:         152
        .size:           2
        .value_kind:     hidden_grid_dims
    .group_segment_fixed_size: 0
    .kernarg_segment_align: 8
    .kernarg_segment_size: 344
    .language:       OpenCL C
    .language_version:
      - 2
      - 0
    .max_flat_workgroup_size: 64
    .name:           _ZL36rocblas_hemvn_kernel_upper_block_sumILi64Ei19rocblas_complex_numIfEPKPS1_S1_EviT1_lS5_lT2_lT0_lPT3_i
    .private_segment_fixed_size: 0
    .sgpr_count:     22
    .sgpr_spill_count: 0
    .symbol:         _ZL36rocblas_hemvn_kernel_upper_block_sumILi64Ei19rocblas_complex_numIfEPKPS1_S1_EviT1_lS5_lT2_lT0_lPT3_i.kd
    .uniform_work_group_size: 1
    .uses_dynamic_stack: false
    .vgpr_count:     7
    .vgpr_spill_count: 0
    .wavefront_size: 32
    .workgroup_processor_mode: 1
  - .args:
      - .offset:         0
        .size:           4
        .value_kind:     by_value
      - .address_space:  global
        .offset:         8
        .size:           8
        .value_kind:     global_buffer
      - .offset:         16
        .size:           8
        .value_kind:     by_value
      - .address_space:  global
        .offset:         24
        .size:           8
        .value_kind:     global_buffer
      - .offset:         32
        .size:           8
        .value_kind:     by_value
      - .offset:         40
        .size:           8
        .value_kind:     by_value
      - .offset:         48
        .size:           8
        .value_kind:     by_value
      - .address_space:  global
        .offset:         56
        .size:           8
        .value_kind:     global_buffer
      - .offset:         64
        .size:           8
        .value_kind:     by_value
      - .offset:         72
        .size:           8
        .value_kind:     by_value
      - .offset:         80
        .size:           8
        .value_kind:     by_value
      - .address_space:  global
        .offset:         88
        .size:           8
        .value_kind:     global_buffer
      - .offset:         96
        .size:           8
        .value_kind:     by_value
      - .address_space:  global
        .offset:         104
        .size:           8
        .value_kind:     global_buffer
      - .offset:         112
        .size:           4
        .value_kind:     by_value
      - .offset:         120
        .size:           4
        .value_kind:     hidden_block_count_x
      - .offset:         124
        .size:           4
        .value_kind:     hidden_block_count_y
      - .offset:         128
        .size:           4
        .value_kind:     hidden_block_count_z
      - .offset:         132
        .size:           2
        .value_kind:     hidden_group_size_x
      - .offset:         134
        .size:           2
        .value_kind:     hidden_group_size_y
      - .offset:         136
        .size:           2
        .value_kind:     hidden_group_size_z
      - .offset:         138
        .size:           2
        .value_kind:     hidden_remainder_x
      - .offset:         140
        .size:           2
        .value_kind:     hidden_remainder_y
      - .offset:         142
        .size:           2
        .value_kind:     hidden_remainder_z
      - .offset:         160
        .size:           8
        .value_kind:     hidden_global_offset_x
      - .offset:         168
        .size:           8
        .value_kind:     hidden_global_offset_y
      - .offset:         176
        .size:           8
        .value_kind:     hidden_global_offset_z
      - .offset:         184
        .size:           2
        .value_kind:     hidden_grid_dims
    .group_segment_fixed_size: 9600
    .kernarg_segment_align: 8
    .kernarg_segment_size: 376
    .language:       OpenCL C
    .language_version:
      - 2
      - 0
    .max_flat_workgroup_size: 256
    .name:           _ZL26rocblas_hemvn_kernel_lowerILb1ELi64ELi4ELi33ELi32ELi16ElPK19rocblas_complex_numIfEPKS3_PS1_EviT6_lT7_lT5_lS8_lS9_lS7_lT8_i
    .private_segment_fixed_size: 0
    .sgpr_count:     34
    .sgpr_spill_count: 0
    .symbol:         _ZL26rocblas_hemvn_kernel_lowerILb1ELi64ELi4ELi33ELi32ELi16ElPK19rocblas_complex_numIfEPKS3_PS1_EviT6_lT7_lT5_lS8_lS9_lS7_lT8_i.kd
    .uniform_work_group_size: 1
    .uses_dynamic_stack: false
    .vgpr_count:     114
    .vgpr_spill_count: 0
    .wavefront_size: 32
    .workgroup_processor_mode: 1
  - .args:
      - .offset:         0
        .size:           4
        .value_kind:     by_value
      - .address_space:  global
        .offset:         8
        .size:           8
        .value_kind:     global_buffer
      - .offset:         16
        .size:           8
        .value_kind:     by_value
      - .address_space:  global
        .offset:         24
        .size:           8
        .value_kind:     global_buffer
      - .offset:         32
        .size:           8
        .value_kind:     by_value
      - .actual_access:  read_only
        .address_space:  global
        .offset:         40
        .size:           8
        .value_kind:     global_buffer
      - .offset:         48
        .size:           8
        .value_kind:     by_value
      - .offset:         56
        .size:           8
        .value_kind:     by_value
      - .offset:         64
        .size:           8
        .value_kind:     by_value
      - .actual_access:  read_only
        .address_space:  global
        .offset:         72
        .size:           8
        .value_kind:     global_buffer
      - .offset:         80
        .size:           4
        .value_kind:     by_value
      - .offset:         88
        .size:           4
        .value_kind:     hidden_block_count_x
      - .offset:         92
        .size:           4
        .value_kind:     hidden_block_count_y
      - .offset:         96
        .size:           4
        .value_kind:     hidden_block_count_z
      - .offset:         100
        .size:           2
        .value_kind:     hidden_group_size_x
      - .offset:         102
        .size:           2
        .value_kind:     hidden_group_size_y
      - .offset:         104
        .size:           2
        .value_kind:     hidden_group_size_z
      - .offset:         106
        .size:           2
        .value_kind:     hidden_remainder_x
      - .offset:         108
        .size:           2
        .value_kind:     hidden_remainder_y
      - .offset:         110
        .size:           2
        .value_kind:     hidden_remainder_z
      - .offset:         128
        .size:           8
        .value_kind:     hidden_global_offset_x
      - .offset:         136
        .size:           8
        .value_kind:     hidden_global_offset_y
      - .offset:         144
        .size:           8
        .value_kind:     hidden_global_offset_z
      - .offset:         152
        .size:           2
        .value_kind:     hidden_grid_dims
    .group_segment_fixed_size: 0
    .kernarg_segment_align: 8
    .kernarg_segment_size: 344
    .language:       OpenCL C
    .language_version:
      - 2
      - 0
    .max_flat_workgroup_size: 64
    .name:           _ZL36rocblas_hemvn_kernel_lower_block_sumILi64ElPK19rocblas_complex_numIfEPKPS1_S1_EviT1_lS7_lT2_lT0_lPT3_i
    .private_segment_fixed_size: 0
    .sgpr_count:     26
    .sgpr_spill_count: 0
    .symbol:         _ZL36rocblas_hemvn_kernel_lower_block_sumILi64ElPK19rocblas_complex_numIfEPKPS1_S1_EviT1_lS7_lT2_lT0_lPT3_i.kd
    .uniform_work_group_size: 1
    .uses_dynamic_stack: false
    .vgpr_count:     8
    .vgpr_spill_count: 0
    .wavefront_size: 32
    .workgroup_processor_mode: 1
  - .args:
      - .offset:         0
        .size:           4
        .value_kind:     by_value
      - .address_space:  global
        .offset:         8
        .size:           8
        .value_kind:     global_buffer
      - .offset:         16
        .size:           8
        .value_kind:     by_value
      - .address_space:  global
        .offset:         24
        .size:           8
        .value_kind:     global_buffer
      - .offset:         32
        .size:           8
        .value_kind:     by_value
      - .offset:         40
        .size:           4
        .value_kind:     by_value
      - .offset:         48
        .size:           8
        .value_kind:     by_value
      - .address_space:  global
        .offset:         56
        .size:           8
        .value_kind:     global_buffer
      - .offset:         64
        .size:           8
        .value_kind:     by_value
      - .offset:         72
        .size:           4
        .value_kind:     by_value
      - .offset:         80
        .size:           8
        .value_kind:     by_value
      - .address_space:  global
        .offset:         88
        .size:           8
        .value_kind:     global_buffer
      - .offset:         96
        .size:           8
        .value_kind:     by_value
      - .address_space:  global
        .offset:         104
        .size:           8
        .value_kind:     global_buffer
      - .offset:         112
        .size:           4
        .value_kind:     by_value
      - .offset:         120
        .size:           4
        .value_kind:     hidden_block_count_x
      - .offset:         124
        .size:           4
        .value_kind:     hidden_block_count_y
      - .offset:         128
        .size:           4
        .value_kind:     hidden_block_count_z
      - .offset:         132
        .size:           2
        .value_kind:     hidden_group_size_x
      - .offset:         134
        .size:           2
        .value_kind:     hidden_group_size_y
      - .offset:         136
        .size:           2
        .value_kind:     hidden_group_size_z
      - .offset:         138
        .size:           2
        .value_kind:     hidden_remainder_x
      - .offset:         140
        .size:           2
        .value_kind:     hidden_remainder_y
      - .offset:         142
        .size:           2
        .value_kind:     hidden_remainder_z
      - .offset:         160
        .size:           8
        .value_kind:     hidden_global_offset_x
      - .offset:         168
        .size:           8
        .value_kind:     hidden_global_offset_y
      - .offset:         176
        .size:           8
        .value_kind:     hidden_global_offset_z
      - .offset:         184
        .size:           2
        .value_kind:     hidden_grid_dims
    .group_segment_fixed_size: 9600
    .kernarg_segment_align: 8
    .kernarg_segment_size: 376
    .language:       OpenCL C
    .language_version:
      - 2
      - 0
    .max_flat_workgroup_size: 256
    .name:           _ZL26rocblas_hemvn_kernel_lowerILb1ELi64ELi4ELi33ELi32ELi16EiPK19rocblas_complex_numIfEPKS3_PS1_EviT6_lT7_lT5_lS8_lS9_lS7_lT8_i
    .private_segment_fixed_size: 0
    .sgpr_count:     32
    .sgpr_spill_count: 0
    .symbol:         _ZL26rocblas_hemvn_kernel_lowerILb1ELi64ELi4ELi33ELi32ELi16EiPK19rocblas_complex_numIfEPKS3_PS1_EviT6_lT7_lT5_lS8_lS9_lS7_lT8_i.kd
    .uniform_work_group_size: 1
    .uses_dynamic_stack: false
    .vgpr_count:     113
    .vgpr_spill_count: 0
    .wavefront_size: 32
    .workgroup_processor_mode: 1
  - .args:
      - .offset:         0
        .size:           4
        .value_kind:     by_value
      - .address_space:  global
        .offset:         8
        .size:           8
        .value_kind:     global_buffer
      - .offset:         16
        .size:           8
        .value_kind:     by_value
      - .address_space:  global
        .offset:         24
        .size:           8
        .value_kind:     global_buffer
      - .offset:         32
        .size:           8
        .value_kind:     by_value
      - .actual_access:  read_only
        .address_space:  global
        .offset:         40
        .size:           8
        .value_kind:     global_buffer
      - .offset:         48
        .size:           8
        .value_kind:     by_value
      - .offset:         56
        .size:           4
        .value_kind:     by_value
      - .offset:         64
        .size:           8
        .value_kind:     by_value
      - .actual_access:  read_only
        .address_space:  global
        .offset:         72
        .size:           8
        .value_kind:     global_buffer
      - .offset:         80
        .size:           4
        .value_kind:     by_value
      - .offset:         88
        .size:           4
        .value_kind:     hidden_block_count_x
      - .offset:         92
        .size:           4
        .value_kind:     hidden_block_count_y
      - .offset:         96
        .size:           4
        .value_kind:     hidden_block_count_z
      - .offset:         100
        .size:           2
        .value_kind:     hidden_group_size_x
      - .offset:         102
        .size:           2
        .value_kind:     hidden_group_size_y
      - .offset:         104
        .size:           2
        .value_kind:     hidden_group_size_z
      - .offset:         106
        .size:           2
        .value_kind:     hidden_remainder_x
      - .offset:         108
        .size:           2
        .value_kind:     hidden_remainder_y
      - .offset:         110
        .size:           2
        .value_kind:     hidden_remainder_z
      - .offset:         128
        .size:           8
        .value_kind:     hidden_global_offset_x
      - .offset:         136
        .size:           8
        .value_kind:     hidden_global_offset_y
      - .offset:         144
        .size:           8
        .value_kind:     hidden_global_offset_z
      - .offset:         152
        .size:           2
        .value_kind:     hidden_grid_dims
    .group_segment_fixed_size: 0
    .kernarg_segment_align: 8
    .kernarg_segment_size: 344
    .language:       OpenCL C
    .language_version:
      - 2
      - 0
    .max_flat_workgroup_size: 64
    .name:           _ZL36rocblas_hemvn_kernel_lower_block_sumILi64EiPK19rocblas_complex_numIfEPKPS1_S1_EviT1_lS7_lT2_lT0_lPT3_i
    .private_segment_fixed_size: 0
    .sgpr_count:     26
    .sgpr_spill_count: 0
    .symbol:         _ZL36rocblas_hemvn_kernel_lower_block_sumILi64EiPK19rocblas_complex_numIfEPKPS1_S1_EviT1_lS7_lT2_lT0_lPT3_i.kd
    .uniform_work_group_size: 1
    .uses_dynamic_stack: false
    .vgpr_count:     7
    .vgpr_spill_count: 0
    .wavefront_size: 32
    .workgroup_processor_mode: 1
  - .args:
      - .offset:         0
        .size:           4
        .value_kind:     by_value
      - .offset:         4
        .size:           8
        .value_kind:     by_value
      - .offset:         16
        .size:           8
        .value_kind:     by_value
      - .address_space:  global
        .offset:         24
        .size:           8
        .value_kind:     global_buffer
      - .offset:         32
        .size:           8
        .value_kind:     by_value
      - .offset:         40
        .size:           8
        .value_kind:     by_value
      - .offset:         48
        .size:           8
        .value_kind:     by_value
      - .address_space:  global
        .offset:         56
        .size:           8
        .value_kind:     global_buffer
      - .offset:         64
        .size:           8
        .value_kind:     by_value
      - .offset:         72
        .size:           8
        .value_kind:     by_value
      - .offset:         80
        .size:           8
        .value_kind:     by_value
      - .offset:         88
        .size:           8
        .value_kind:     by_value
      - .offset:         96
        .size:           8
        .value_kind:     by_value
      - .address_space:  global
        .offset:         104
        .size:           8
        .value_kind:     global_buffer
      - .offset:         112
        .size:           4
        .value_kind:     by_value
      - .offset:         120
        .size:           4
        .value_kind:     hidden_block_count_x
      - .offset:         124
        .size:           4
        .value_kind:     hidden_block_count_y
      - .offset:         128
        .size:           4
        .value_kind:     hidden_block_count_z
      - .offset:         132
        .size:           2
        .value_kind:     hidden_group_size_x
      - .offset:         134
        .size:           2
        .value_kind:     hidden_group_size_y
      - .offset:         136
        .size:           2
        .value_kind:     hidden_group_size_z
      - .offset:         138
        .size:           2
        .value_kind:     hidden_remainder_x
      - .offset:         140
        .size:           2
        .value_kind:     hidden_remainder_y
      - .offset:         142
        .size:           2
        .value_kind:     hidden_remainder_z
      - .offset:         160
        .size:           8
        .value_kind:     hidden_global_offset_x
      - .offset:         168
        .size:           8
        .value_kind:     hidden_global_offset_y
      - .offset:         176
        .size:           8
        .value_kind:     hidden_global_offset_z
      - .offset:         184
        .size:           2
        .value_kind:     hidden_grid_dims
    .group_segment_fixed_size: 9600
    .kernarg_segment_align: 8
    .kernarg_segment_size: 376
    .language:       OpenCL C
    .language_version:
      - 2
      - 0
    .max_flat_workgroup_size: 256
    .name:           _ZL26rocblas_hemvn_kernel_lowerILb1ELi64ELi4ELi33ELi32ELi16El19rocblas_complex_numIfEPKPKS1_PS1_EviT6_lT7_lT5_lS8_lS9_lS7_lT8_i
    .private_segment_fixed_size: 0
    .sgpr_count:     34
    .sgpr_spill_count: 0
    .symbol:         _ZL26rocblas_hemvn_kernel_lowerILb1ELi64ELi4ELi33ELi32ELi16El19rocblas_complex_numIfEPKPKS1_PS1_EviT6_lT7_lT5_lS8_lS9_lS7_lT8_i.kd
    .uniform_work_group_size: 1
    .uses_dynamic_stack: false
    .vgpr_count:     114
    .vgpr_spill_count: 0
    .wavefront_size: 32
    .workgroup_processor_mode: 1
  - .args:
      - .offset:         0
        .size:           4
        .value_kind:     by_value
      - .offset:         4
        .size:           8
        .value_kind:     by_value
      - .offset:         16
        .size:           8
        .value_kind:     by_value
      - .offset:         24
        .size:           8
        .value_kind:     by_value
      - .offset:         32
        .size:           8
        .value_kind:     by_value
      - .actual_access:  read_only
        .address_space:  global
        .offset:         40
        .size:           8
        .value_kind:     global_buffer
      - .offset:         48
        .size:           8
        .value_kind:     by_value
      - .offset:         56
        .size:           8
        .value_kind:     by_value
      - .offset:         64
        .size:           8
        .value_kind:     by_value
      - .actual_access:  read_only
        .address_space:  global
        .offset:         72
        .size:           8
        .value_kind:     global_buffer
      - .offset:         80
        .size:           4
        .value_kind:     by_value
      - .offset:         88
        .size:           4
        .value_kind:     hidden_block_count_x
      - .offset:         92
        .size:           4
        .value_kind:     hidden_block_count_y
      - .offset:         96
        .size:           4
        .value_kind:     hidden_block_count_z
      - .offset:         100
        .size:           2
        .value_kind:     hidden_group_size_x
      - .offset:         102
        .size:           2
        .value_kind:     hidden_group_size_y
      - .offset:         104
        .size:           2
        .value_kind:     hidden_group_size_z
      - .offset:         106
        .size:           2
        .value_kind:     hidden_remainder_x
      - .offset:         108
        .size:           2
        .value_kind:     hidden_remainder_y
      - .offset:         110
        .size:           2
        .value_kind:     hidden_remainder_z
      - .offset:         128
        .size:           8
        .value_kind:     hidden_global_offset_x
      - .offset:         136
        .size:           8
        .value_kind:     hidden_global_offset_y
      - .offset:         144
        .size:           8
        .value_kind:     hidden_global_offset_z
      - .offset:         152
        .size:           2
        .value_kind:     hidden_grid_dims
    .group_segment_fixed_size: 0
    .kernarg_segment_align: 8
    .kernarg_segment_size: 344
    .language:       OpenCL C
    .language_version:
      - 2
      - 0
    .max_flat_workgroup_size: 64
    .name:           _ZL36rocblas_hemvn_kernel_lower_block_sumILi64El19rocblas_complex_numIfEPKPS1_S1_EviT1_lS5_lT2_lT0_lPT3_i
    .private_segment_fixed_size: 0
    .sgpr_count:     22
    .sgpr_spill_count: 0
    .symbol:         _ZL36rocblas_hemvn_kernel_lower_block_sumILi64El19rocblas_complex_numIfEPKPS1_S1_EviT1_lS5_lT2_lT0_lPT3_i.kd
    .uniform_work_group_size: 1
    .uses_dynamic_stack: false
    .vgpr_count:     8
    .vgpr_spill_count: 0
    .wavefront_size: 32
    .workgroup_processor_mode: 1
  - .args:
      - .offset:         0
        .size:           4
        .value_kind:     by_value
      - .offset:         4
        .size:           8
        .value_kind:     by_value
      - .offset:         16
        .size:           8
        .value_kind:     by_value
      - .address_space:  global
        .offset:         24
        .size:           8
        .value_kind:     global_buffer
      - .offset:         32
        .size:           8
        .value_kind:     by_value
      - .offset:         40
        .size:           4
        .value_kind:     by_value
      - .offset:         48
        .size:           8
        .value_kind:     by_value
      - .address_space:  global
        .offset:         56
        .size:           8
        .value_kind:     global_buffer
      - .offset:         64
        .size:           8
        .value_kind:     by_value
      - .offset:         72
        .size:           4
        .value_kind:     by_value
      - .offset:         80
        .size:           8
        .value_kind:     by_value
      - .offset:         88
        .size:           8
        .value_kind:     by_value
      - .offset:         96
        .size:           8
        .value_kind:     by_value
      - .address_space:  global
        .offset:         104
        .size:           8
        .value_kind:     global_buffer
      - .offset:         112
        .size:           4
        .value_kind:     by_value
      - .offset:         120
        .size:           4
        .value_kind:     hidden_block_count_x
      - .offset:         124
        .size:           4
        .value_kind:     hidden_block_count_y
      - .offset:         128
        .size:           4
        .value_kind:     hidden_block_count_z
      - .offset:         132
        .size:           2
        .value_kind:     hidden_group_size_x
      - .offset:         134
        .size:           2
        .value_kind:     hidden_group_size_y
      - .offset:         136
        .size:           2
        .value_kind:     hidden_group_size_z
      - .offset:         138
        .size:           2
        .value_kind:     hidden_remainder_x
      - .offset:         140
        .size:           2
        .value_kind:     hidden_remainder_y
      - .offset:         142
        .size:           2
        .value_kind:     hidden_remainder_z
      - .offset:         160
        .size:           8
        .value_kind:     hidden_global_offset_x
      - .offset:         168
        .size:           8
        .value_kind:     hidden_global_offset_y
      - .offset:         176
        .size:           8
        .value_kind:     hidden_global_offset_z
      - .offset:         184
        .size:           2
        .value_kind:     hidden_grid_dims
    .group_segment_fixed_size: 9600
    .kernarg_segment_align: 8
    .kernarg_segment_size: 376
    .language:       OpenCL C
    .language_version:
      - 2
      - 0
    .max_flat_workgroup_size: 256
    .name:           _ZL26rocblas_hemvn_kernel_lowerILb1ELi64ELi4ELi33ELi32ELi16Ei19rocblas_complex_numIfEPKPKS1_PS1_EviT6_lT7_lT5_lS8_lS9_lS7_lT8_i
    .private_segment_fixed_size: 0
    .sgpr_count:     32
    .sgpr_spill_count: 0
    .symbol:         _ZL26rocblas_hemvn_kernel_lowerILb1ELi64ELi4ELi33ELi32ELi16Ei19rocblas_complex_numIfEPKPKS1_PS1_EviT6_lT7_lT5_lS8_lS9_lS7_lT8_i.kd
    .uniform_work_group_size: 1
    .uses_dynamic_stack: false
    .vgpr_count:     113
    .vgpr_spill_count: 0
    .wavefront_size: 32
    .workgroup_processor_mode: 1
  - .args:
      - .offset:         0
        .size:           4
        .value_kind:     by_value
      - .offset:         4
        .size:           8
        .value_kind:     by_value
      - .offset:         16
        .size:           8
        .value_kind:     by_value
      - .offset:         24
        .size:           8
        .value_kind:     by_value
      - .offset:         32
        .size:           8
        .value_kind:     by_value
      - .actual_access:  read_only
        .address_space:  global
        .offset:         40
        .size:           8
        .value_kind:     global_buffer
      - .offset:         48
        .size:           8
        .value_kind:     by_value
      - .offset:         56
        .size:           4
        .value_kind:     by_value
      - .offset:         64
        .size:           8
        .value_kind:     by_value
      - .actual_access:  read_only
        .address_space:  global
        .offset:         72
        .size:           8
        .value_kind:     global_buffer
      - .offset:         80
        .size:           4
        .value_kind:     by_value
      - .offset:         88
        .size:           4
        .value_kind:     hidden_block_count_x
      - .offset:         92
        .size:           4
        .value_kind:     hidden_block_count_y
      - .offset:         96
        .size:           4
        .value_kind:     hidden_block_count_z
      - .offset:         100
        .size:           2
        .value_kind:     hidden_group_size_x
      - .offset:         102
        .size:           2
        .value_kind:     hidden_group_size_y
      - .offset:         104
        .size:           2
        .value_kind:     hidden_group_size_z
      - .offset:         106
        .size:           2
        .value_kind:     hidden_remainder_x
      - .offset:         108
        .size:           2
        .value_kind:     hidden_remainder_y
      - .offset:         110
        .size:           2
        .value_kind:     hidden_remainder_z
      - .offset:         128
        .size:           8
        .value_kind:     hidden_global_offset_x
      - .offset:         136
        .size:           8
        .value_kind:     hidden_global_offset_y
      - .offset:         144
        .size:           8
        .value_kind:     hidden_global_offset_z
      - .offset:         152
        .size:           2
        .value_kind:     hidden_grid_dims
    .group_segment_fixed_size: 0
    .kernarg_segment_align: 8
    .kernarg_segment_size: 344
    .language:       OpenCL C
    .language_version:
      - 2
      - 0
    .max_flat_workgroup_size: 64
    .name:           _ZL36rocblas_hemvn_kernel_lower_block_sumILi64Ei19rocblas_complex_numIfEPKPS1_S1_EviT1_lS5_lT2_lT0_lPT3_i
    .private_segment_fixed_size: 0
    .sgpr_count:     22
    .sgpr_spill_count: 0
    .symbol:         _ZL36rocblas_hemvn_kernel_lower_block_sumILi64Ei19rocblas_complex_numIfEPKPS1_S1_EviT1_lS5_lT2_lT0_lPT3_i.kd
    .uniform_work_group_size: 1
    .uses_dynamic_stack: false
    .vgpr_count:     7
    .vgpr_spill_count: 0
    .wavefront_size: 32
    .workgroup_processor_mode: 1
  - .args:
      - .offset:         0
        .size:           4
        .value_kind:     by_value
      - .address_space:  global
        .offset:         8
        .size:           8
        .value_kind:     global_buffer
      - .offset:         16
        .size:           8
        .value_kind:     by_value
      - .address_space:  global
        .offset:         24
        .size:           8
        .value_kind:     global_buffer
      - .offset:         32
        .size:           8
        .value_kind:     by_value
      - .offset:         40
        .size:           8
        .value_kind:     by_value
      - .offset:         48
        .size:           8
        .value_kind:     by_value
      - .address_space:  global
        .offset:         56
        .size:           8
        .value_kind:     global_buffer
      - .offset:         64
        .size:           8
        .value_kind:     by_value
      - .offset:         72
        .size:           8
        .value_kind:     by_value
      - .offset:         80
        .size:           8
        .value_kind:     by_value
      - .address_space:  global
        .offset:         88
        .size:           8
        .value_kind:     global_buffer
      - .offset:         96
        .size:           8
        .value_kind:     by_value
      - .address_space:  global
        .offset:         104
        .size:           8
        .value_kind:     global_buffer
      - .offset:         112
        .size:           4
        .value_kind:     by_value
      - .offset:         120
        .size:           4
        .value_kind:     hidden_block_count_x
      - .offset:         124
        .size:           4
        .value_kind:     hidden_block_count_y
      - .offset:         128
        .size:           4
        .value_kind:     hidden_block_count_z
      - .offset:         132
        .size:           2
        .value_kind:     hidden_group_size_x
      - .offset:         134
        .size:           2
        .value_kind:     hidden_group_size_y
      - .offset:         136
        .size:           2
        .value_kind:     hidden_group_size_z
      - .offset:         138
        .size:           2
        .value_kind:     hidden_remainder_x
      - .offset:         140
        .size:           2
        .value_kind:     hidden_remainder_y
      - .offset:         142
        .size:           2
        .value_kind:     hidden_remainder_z
      - .offset:         160
        .size:           8
        .value_kind:     hidden_global_offset_x
      - .offset:         168
        .size:           8
        .value_kind:     hidden_global_offset_y
      - .offset:         176
        .size:           8
        .value_kind:     hidden_global_offset_z
      - .offset:         184
        .size:           2
        .value_kind:     hidden_grid_dims
    .group_segment_fixed_size: 19200
    .kernarg_segment_align: 8
    .kernarg_segment_size: 376
    .language:       OpenCL C
    .language_version:
      - 2
      - 0
    .max_flat_workgroup_size: 256
    .name:           _ZL26rocblas_hemvn_kernel_upperILb1ELi64ELi4ELi33ELi32ELi16ElPK19rocblas_complex_numIdEPKS3_PS1_EviT6_lT7_lT5_lS8_lS9_lS7_lT8_i
    .private_segment_fixed_size: 20
    .sgpr_count:     32
    .sgpr_spill_count: 0
    .symbol:         _ZL26rocblas_hemvn_kernel_upperILb1ELi64ELi4ELi33ELi32ELi16ElPK19rocblas_complex_numIdEPKS3_PS1_EviT6_lT7_lT5_lS8_lS9_lS7_lT8_i.kd
    .uniform_work_group_size: 1
    .uses_dynamic_stack: false
    .vgpr_count:     256
    .vgpr_spill_count: 4
    .wavefront_size: 32
    .workgroup_processor_mode: 1
  - .args:
      - .offset:         0
        .size:           4
        .value_kind:     by_value
      - .address_space:  global
        .offset:         8
        .size:           8
        .value_kind:     global_buffer
      - .offset:         16
        .size:           8
        .value_kind:     by_value
      - .address_space:  global
        .offset:         24
        .size:           8
        .value_kind:     global_buffer
      - .offset:         32
        .size:           8
        .value_kind:     by_value
      - .actual_access:  read_only
        .address_space:  global
        .offset:         40
        .size:           8
        .value_kind:     global_buffer
      - .offset:         48
        .size:           8
        .value_kind:     by_value
      - .offset:         56
        .size:           8
        .value_kind:     by_value
      - .offset:         64
        .size:           8
        .value_kind:     by_value
      - .address_space:  global
        .offset:         72
        .size:           8
        .value_kind:     global_buffer
      - .offset:         80
        .size:           4
        .value_kind:     by_value
      - .offset:         88
        .size:           4
        .value_kind:     hidden_block_count_x
      - .offset:         92
        .size:           4
        .value_kind:     hidden_block_count_y
      - .offset:         96
        .size:           4
        .value_kind:     hidden_block_count_z
      - .offset:         100
        .size:           2
        .value_kind:     hidden_group_size_x
      - .offset:         102
        .size:           2
        .value_kind:     hidden_group_size_y
      - .offset:         104
        .size:           2
        .value_kind:     hidden_group_size_z
      - .offset:         106
        .size:           2
        .value_kind:     hidden_remainder_x
      - .offset:         108
        .size:           2
        .value_kind:     hidden_remainder_y
      - .offset:         110
        .size:           2
        .value_kind:     hidden_remainder_z
      - .offset:         128
        .size:           8
        .value_kind:     hidden_global_offset_x
      - .offset:         136
        .size:           8
        .value_kind:     hidden_global_offset_y
      - .offset:         144
        .size:           8
        .value_kind:     hidden_global_offset_z
      - .offset:         152
        .size:           2
        .value_kind:     hidden_grid_dims
    .group_segment_fixed_size: 0
    .kernarg_segment_align: 8
    .kernarg_segment_size: 344
    .language:       OpenCL C
    .language_version:
      - 2
      - 0
    .max_flat_workgroup_size: 64
    .name:           _ZL36rocblas_hemvn_kernel_upper_block_sumILi64ElPK19rocblas_complex_numIdEPKPS1_S1_EviT1_lS7_lT2_lT0_lPT3_i
    .private_segment_fixed_size: 0
    .sgpr_count:     28
    .sgpr_spill_count: 0
    .symbol:         _ZL36rocblas_hemvn_kernel_upper_block_sumILi64ElPK19rocblas_complex_numIdEPKPS1_S1_EviT1_lS7_lT2_lT0_lPT3_i.kd
    .uniform_work_group_size: 1
    .uses_dynamic_stack: false
    .vgpr_count:     13
    .vgpr_spill_count: 0
    .wavefront_size: 32
    .workgroup_processor_mode: 1
  - .args:
      - .offset:         0
        .size:           4
        .value_kind:     by_value
      - .address_space:  global
        .offset:         8
        .size:           8
        .value_kind:     global_buffer
      - .offset:         16
        .size:           8
        .value_kind:     by_value
      - .address_space:  global
        .offset:         24
        .size:           8
        .value_kind:     global_buffer
      - .offset:         32
        .size:           8
        .value_kind:     by_value
      - .offset:         40
        .size:           4
        .value_kind:     by_value
      - .offset:         48
        .size:           8
        .value_kind:     by_value
      - .address_space:  global
        .offset:         56
        .size:           8
        .value_kind:     global_buffer
      - .offset:         64
        .size:           8
        .value_kind:     by_value
      - .offset:         72
        .size:           4
        .value_kind:     by_value
      - .offset:         80
        .size:           8
        .value_kind:     by_value
      - .address_space:  global
        .offset:         88
        .size:           8
        .value_kind:     global_buffer
      - .offset:         96
        .size:           8
        .value_kind:     by_value
      - .address_space:  global
        .offset:         104
        .size:           8
        .value_kind:     global_buffer
      - .offset:         112
        .size:           4
        .value_kind:     by_value
      - .offset:         120
        .size:           4
        .value_kind:     hidden_block_count_x
      - .offset:         124
        .size:           4
        .value_kind:     hidden_block_count_y
      - .offset:         128
        .size:           4
        .value_kind:     hidden_block_count_z
      - .offset:         132
        .size:           2
        .value_kind:     hidden_group_size_x
      - .offset:         134
        .size:           2
        .value_kind:     hidden_group_size_y
      - .offset:         136
        .size:           2
        .value_kind:     hidden_group_size_z
      - .offset:         138
        .size:           2
        .value_kind:     hidden_remainder_x
      - .offset:         140
        .size:           2
        .value_kind:     hidden_remainder_y
      - .offset:         142
        .size:           2
        .value_kind:     hidden_remainder_z
      - .offset:         160
        .size:           8
        .value_kind:     hidden_global_offset_x
      - .offset:         168
        .size:           8
        .value_kind:     hidden_global_offset_y
      - .offset:         176
        .size:           8
        .value_kind:     hidden_global_offset_z
      - .offset:         184
        .size:           2
        .value_kind:     hidden_grid_dims
    .group_segment_fixed_size: 19200
    .kernarg_segment_align: 8
    .kernarg_segment_size: 376
    .language:       OpenCL C
    .language_version:
      - 2
      - 0
    .max_flat_workgroup_size: 256
    .name:           _ZL26rocblas_hemvn_kernel_upperILb1ELi64ELi4ELi33ELi32ELi16EiPK19rocblas_complex_numIdEPKS3_PS1_EviT6_lT7_lT5_lS8_lS9_lS7_lT8_i
    .private_segment_fixed_size: 24
    .sgpr_count:     39
    .sgpr_spill_count: 0
    .symbol:         _ZL26rocblas_hemvn_kernel_upperILb1ELi64ELi4ELi33ELi32ELi16EiPK19rocblas_complex_numIdEPKS3_PS1_EviT6_lT7_lT5_lS8_lS9_lS7_lT8_i.kd
    .uniform_work_group_size: 1
    .uses_dynamic_stack: false
    .vgpr_count:     256
    .vgpr_spill_count: 5
    .wavefront_size: 32
    .workgroup_processor_mode: 1
  - .args:
      - .offset:         0
        .size:           4
        .value_kind:     by_value
      - .address_space:  global
        .offset:         8
        .size:           8
        .value_kind:     global_buffer
      - .offset:         16
        .size:           8
        .value_kind:     by_value
      - .address_space:  global
        .offset:         24
        .size:           8
        .value_kind:     global_buffer
      - .offset:         32
        .size:           8
        .value_kind:     by_value
      - .actual_access:  read_only
        .address_space:  global
        .offset:         40
        .size:           8
        .value_kind:     global_buffer
      - .offset:         48
        .size:           8
        .value_kind:     by_value
      - .offset:         56
        .size:           4
        .value_kind:     by_value
      - .offset:         64
        .size:           8
        .value_kind:     by_value
      - .address_space:  global
        .offset:         72
        .size:           8
        .value_kind:     global_buffer
      - .offset:         80
        .size:           4
        .value_kind:     by_value
      - .offset:         88
        .size:           4
        .value_kind:     hidden_block_count_x
      - .offset:         92
        .size:           4
        .value_kind:     hidden_block_count_y
      - .offset:         96
        .size:           4
        .value_kind:     hidden_block_count_z
      - .offset:         100
        .size:           2
        .value_kind:     hidden_group_size_x
      - .offset:         102
        .size:           2
        .value_kind:     hidden_group_size_y
      - .offset:         104
        .size:           2
        .value_kind:     hidden_group_size_z
      - .offset:         106
        .size:           2
        .value_kind:     hidden_remainder_x
      - .offset:         108
        .size:           2
        .value_kind:     hidden_remainder_y
      - .offset:         110
        .size:           2
        .value_kind:     hidden_remainder_z
      - .offset:         128
        .size:           8
        .value_kind:     hidden_global_offset_x
      - .offset:         136
        .size:           8
        .value_kind:     hidden_global_offset_y
      - .offset:         144
        .size:           8
        .value_kind:     hidden_global_offset_z
      - .offset:         152
        .size:           2
        .value_kind:     hidden_grid_dims
    .group_segment_fixed_size: 0
    .kernarg_segment_align: 8
    .kernarg_segment_size: 344
    .language:       OpenCL C
    .language_version:
      - 2
      - 0
    .max_flat_workgroup_size: 64
    .name:           _ZL36rocblas_hemvn_kernel_upper_block_sumILi64EiPK19rocblas_complex_numIdEPKPS1_S1_EviT1_lS7_lT2_lT0_lPT3_i
    .private_segment_fixed_size: 0
    .sgpr_count:     28
    .sgpr_spill_count: 0
    .symbol:         _ZL36rocblas_hemvn_kernel_upper_block_sumILi64EiPK19rocblas_complex_numIdEPKPS1_S1_EviT1_lS7_lT2_lT0_lPT3_i.kd
    .uniform_work_group_size: 1
    .uses_dynamic_stack: false
    .vgpr_count:     13
    .vgpr_spill_count: 0
    .wavefront_size: 32
    .workgroup_processor_mode: 1
  - .args:
      - .offset:         0
        .size:           4
        .value_kind:     by_value
      - .offset:         8
        .size:           16
        .value_kind:     by_value
      - .offset:         24
        .size:           8
        .value_kind:     by_value
      - .address_space:  global
        .offset:         32
        .size:           8
        .value_kind:     global_buffer
      - .offset:         40
        .size:           8
        .value_kind:     by_value
      - .offset:         48
        .size:           8
        .value_kind:     by_value
      - .offset:         56
        .size:           8
        .value_kind:     by_value
      - .address_space:  global
        .offset:         64
        .size:           8
        .value_kind:     global_buffer
      - .offset:         72
        .size:           8
        .value_kind:     by_value
      - .offset:         80
        .size:           8
        .value_kind:     by_value
      - .offset:         88
        .size:           8
        .value_kind:     by_value
      - .offset:         96
        .size:           16
        .value_kind:     by_value
      - .offset:         112
        .size:           8
        .value_kind:     by_value
      - .address_space:  global
        .offset:         120
        .size:           8
        .value_kind:     global_buffer
      - .offset:         128
        .size:           4
        .value_kind:     by_value
      - .offset:         136
        .size:           4
        .value_kind:     hidden_block_count_x
      - .offset:         140
        .size:           4
        .value_kind:     hidden_block_count_y
      - .offset:         144
        .size:           4
        .value_kind:     hidden_block_count_z
      - .offset:         148
        .size:           2
        .value_kind:     hidden_group_size_x
      - .offset:         150
        .size:           2
        .value_kind:     hidden_group_size_y
      - .offset:         152
        .size:           2
        .value_kind:     hidden_group_size_z
      - .offset:         154
        .size:           2
        .value_kind:     hidden_remainder_x
      - .offset:         156
        .size:           2
        .value_kind:     hidden_remainder_y
      - .offset:         158
        .size:           2
        .value_kind:     hidden_remainder_z
      - .offset:         176
        .size:           8
        .value_kind:     hidden_global_offset_x
      - .offset:         184
        .size:           8
        .value_kind:     hidden_global_offset_y
      - .offset:         192
        .size:           8
        .value_kind:     hidden_global_offset_z
      - .offset:         200
        .size:           2
        .value_kind:     hidden_grid_dims
    .group_segment_fixed_size: 19200
    .kernarg_segment_align: 8
    .kernarg_segment_size: 392
    .language:       OpenCL C
    .language_version:
      - 2
      - 0
    .max_flat_workgroup_size: 256
    .name:           _ZL26rocblas_hemvn_kernel_upperILb1ELi64ELi4ELi33ELi32ELi16El19rocblas_complex_numIdEPKPKS1_PS1_EviT6_lT7_lT5_lS8_lS9_lS7_lT8_i
    .private_segment_fixed_size: 20
    .sgpr_count:     32
    .sgpr_spill_count: 0
    .symbol:         _ZL26rocblas_hemvn_kernel_upperILb1ELi64ELi4ELi33ELi32ELi16El19rocblas_complex_numIdEPKPKS1_PS1_EviT6_lT7_lT5_lS8_lS9_lS7_lT8_i.kd
    .uniform_work_group_size: 1
    .uses_dynamic_stack: false
    .vgpr_count:     256
    .vgpr_spill_count: 4
    .wavefront_size: 32
    .workgroup_processor_mode: 1
  - .args:
      - .offset:         0
        .size:           4
        .value_kind:     by_value
      - .offset:         8
        .size:           16
        .value_kind:     by_value
      - .offset:         24
        .size:           8
        .value_kind:     by_value
      - .offset:         32
        .size:           16
        .value_kind:     by_value
      - .offset:         48
        .size:           8
        .value_kind:     by_value
      - .actual_access:  read_only
        .address_space:  global
        .offset:         56
        .size:           8
        .value_kind:     global_buffer
      - .offset:         64
        .size:           8
        .value_kind:     by_value
      - .offset:         72
        .size:           8
        .value_kind:     by_value
      - .offset:         80
        .size:           8
        .value_kind:     by_value
      - .address_space:  global
        .offset:         88
        .size:           8
        .value_kind:     global_buffer
      - .offset:         96
        .size:           4
        .value_kind:     by_value
      - .offset:         104
        .size:           4
        .value_kind:     hidden_block_count_x
      - .offset:         108
        .size:           4
        .value_kind:     hidden_block_count_y
      - .offset:         112
        .size:           4
        .value_kind:     hidden_block_count_z
      - .offset:         116
        .size:           2
        .value_kind:     hidden_group_size_x
      - .offset:         118
        .size:           2
        .value_kind:     hidden_group_size_y
      - .offset:         120
        .size:           2
        .value_kind:     hidden_group_size_z
      - .offset:         122
        .size:           2
        .value_kind:     hidden_remainder_x
      - .offset:         124
        .size:           2
        .value_kind:     hidden_remainder_y
      - .offset:         126
        .size:           2
        .value_kind:     hidden_remainder_z
      - .offset:         144
        .size:           8
        .value_kind:     hidden_global_offset_x
      - .offset:         152
        .size:           8
        .value_kind:     hidden_global_offset_y
      - .offset:         160
        .size:           8
        .value_kind:     hidden_global_offset_z
      - .offset:         168
        .size:           2
        .value_kind:     hidden_grid_dims
    .group_segment_fixed_size: 0
    .kernarg_segment_align: 8
    .kernarg_segment_size: 360
    .language:       OpenCL C
    .language_version:
      - 2
      - 0
    .max_flat_workgroup_size: 64
    .name:           _ZL36rocblas_hemvn_kernel_upper_block_sumILi64El19rocblas_complex_numIdEPKPS1_S1_EviT1_lS5_lT2_lT0_lPT3_i
    .private_segment_fixed_size: 0
    .sgpr_count:     28
    .sgpr_spill_count: 0
    .symbol:         _ZL36rocblas_hemvn_kernel_upper_block_sumILi64El19rocblas_complex_numIdEPKPS1_S1_EviT1_lS5_lT2_lT0_lPT3_i.kd
    .uniform_work_group_size: 1
    .uses_dynamic_stack: false
    .vgpr_count:     13
    .vgpr_spill_count: 0
    .wavefront_size: 32
    .workgroup_processor_mode: 1
  - .args:
      - .offset:         0
        .size:           4
        .value_kind:     by_value
      - .offset:         8
        .size:           16
        .value_kind:     by_value
      - .offset:         24
        .size:           8
        .value_kind:     by_value
      - .address_space:  global
        .offset:         32
        .size:           8
        .value_kind:     global_buffer
      - .offset:         40
        .size:           8
        .value_kind:     by_value
      - .offset:         48
        .size:           4
        .value_kind:     by_value
      - .offset:         56
        .size:           8
        .value_kind:     by_value
      - .address_space:  global
        .offset:         64
        .size:           8
        .value_kind:     global_buffer
      - .offset:         72
        .size:           8
        .value_kind:     by_value
      - .offset:         80
        .size:           4
        .value_kind:     by_value
      - .offset:         88
        .size:           8
        .value_kind:     by_value
      - .offset:         96
        .size:           16
        .value_kind:     by_value
      - .offset:         112
        .size:           8
        .value_kind:     by_value
      - .address_space:  global
        .offset:         120
        .size:           8
        .value_kind:     global_buffer
      - .offset:         128
        .size:           4
        .value_kind:     by_value
      - .offset:         136
        .size:           4
        .value_kind:     hidden_block_count_x
      - .offset:         140
        .size:           4
        .value_kind:     hidden_block_count_y
      - .offset:         144
        .size:           4
        .value_kind:     hidden_block_count_z
      - .offset:         148
        .size:           2
        .value_kind:     hidden_group_size_x
      - .offset:         150
        .size:           2
        .value_kind:     hidden_group_size_y
      - .offset:         152
        .size:           2
        .value_kind:     hidden_group_size_z
      - .offset:         154
        .size:           2
        .value_kind:     hidden_remainder_x
      - .offset:         156
        .size:           2
        .value_kind:     hidden_remainder_y
      - .offset:         158
        .size:           2
        .value_kind:     hidden_remainder_z
      - .offset:         176
        .size:           8
        .value_kind:     hidden_global_offset_x
      - .offset:         184
        .size:           8
        .value_kind:     hidden_global_offset_y
      - .offset:         192
        .size:           8
        .value_kind:     hidden_global_offset_z
      - .offset:         200
        .size:           2
        .value_kind:     hidden_grid_dims
    .group_segment_fixed_size: 19200
    .kernarg_segment_align: 8
    .kernarg_segment_size: 392
    .language:       OpenCL C
    .language_version:
      - 2
      - 0
    .max_flat_workgroup_size: 256
    .name:           _ZL26rocblas_hemvn_kernel_upperILb1ELi64ELi4ELi33ELi32ELi16Ei19rocblas_complex_numIdEPKPKS1_PS1_EviT6_lT7_lT5_lS8_lS9_lS7_lT8_i
    .private_segment_fixed_size: 24
    .sgpr_count:     39
    .sgpr_spill_count: 0
    .symbol:         _ZL26rocblas_hemvn_kernel_upperILb1ELi64ELi4ELi33ELi32ELi16Ei19rocblas_complex_numIdEPKPKS1_PS1_EviT6_lT7_lT5_lS8_lS9_lS7_lT8_i.kd
    .uniform_work_group_size: 1
    .uses_dynamic_stack: false
    .vgpr_count:     256
    .vgpr_spill_count: 5
    .wavefront_size: 32
    .workgroup_processor_mode: 1
  - .args:
      - .offset:         0
        .size:           4
        .value_kind:     by_value
      - .offset:         8
        .size:           16
        .value_kind:     by_value
      - .offset:         24
        .size:           8
        .value_kind:     by_value
      - .offset:         32
        .size:           16
        .value_kind:     by_value
      - .offset:         48
        .size:           8
        .value_kind:     by_value
      - .actual_access:  read_only
        .address_space:  global
        .offset:         56
        .size:           8
        .value_kind:     global_buffer
      - .offset:         64
        .size:           8
        .value_kind:     by_value
      - .offset:         72
        .size:           4
        .value_kind:     by_value
      - .offset:         80
        .size:           8
        .value_kind:     by_value
      - .address_space:  global
        .offset:         88
        .size:           8
        .value_kind:     global_buffer
      - .offset:         96
        .size:           4
        .value_kind:     by_value
      - .offset:         104
        .size:           4
        .value_kind:     hidden_block_count_x
      - .offset:         108
        .size:           4
        .value_kind:     hidden_block_count_y
      - .offset:         112
        .size:           4
        .value_kind:     hidden_block_count_z
      - .offset:         116
        .size:           2
        .value_kind:     hidden_group_size_x
      - .offset:         118
        .size:           2
        .value_kind:     hidden_group_size_y
      - .offset:         120
        .size:           2
        .value_kind:     hidden_group_size_z
      - .offset:         122
        .size:           2
        .value_kind:     hidden_remainder_x
      - .offset:         124
        .size:           2
        .value_kind:     hidden_remainder_y
      - .offset:         126
        .size:           2
        .value_kind:     hidden_remainder_z
      - .offset:         144
        .size:           8
        .value_kind:     hidden_global_offset_x
      - .offset:         152
        .size:           8
        .value_kind:     hidden_global_offset_y
      - .offset:         160
        .size:           8
        .value_kind:     hidden_global_offset_z
      - .offset:         168
        .size:           2
        .value_kind:     hidden_grid_dims
    .group_segment_fixed_size: 0
    .kernarg_segment_align: 8
    .kernarg_segment_size: 360
    .language:       OpenCL C
    .language_version:
      - 2
      - 0
    .max_flat_workgroup_size: 64
    .name:           _ZL36rocblas_hemvn_kernel_upper_block_sumILi64Ei19rocblas_complex_numIdEPKPS1_S1_EviT1_lS5_lT2_lT0_lPT3_i
    .private_segment_fixed_size: 0
    .sgpr_count:     28
    .sgpr_spill_count: 0
    .symbol:         _ZL36rocblas_hemvn_kernel_upper_block_sumILi64Ei19rocblas_complex_numIdEPKPS1_S1_EviT1_lS5_lT2_lT0_lPT3_i.kd
    .uniform_work_group_size: 1
    .uses_dynamic_stack: false
    .vgpr_count:     13
    .vgpr_spill_count: 0
    .wavefront_size: 32
    .workgroup_processor_mode: 1
  - .args:
      - .offset:         0
        .size:           4
        .value_kind:     by_value
      - .address_space:  global
        .offset:         8
        .size:           8
        .value_kind:     global_buffer
      - .offset:         16
        .size:           8
        .value_kind:     by_value
      - .address_space:  global
        .offset:         24
        .size:           8
        .value_kind:     global_buffer
      - .offset:         32
        .size:           8
        .value_kind:     by_value
      - .offset:         40
        .size:           8
        .value_kind:     by_value
      - .offset:         48
        .size:           8
        .value_kind:     by_value
      - .address_space:  global
        .offset:         56
        .size:           8
        .value_kind:     global_buffer
      - .offset:         64
        .size:           8
        .value_kind:     by_value
      - .offset:         72
        .size:           8
        .value_kind:     by_value
      - .offset:         80
        .size:           8
        .value_kind:     by_value
      - .address_space:  global
        .offset:         88
        .size:           8
        .value_kind:     global_buffer
      - .offset:         96
        .size:           8
        .value_kind:     by_value
      - .address_space:  global
        .offset:         104
        .size:           8
        .value_kind:     global_buffer
      - .offset:         112
        .size:           4
        .value_kind:     by_value
      - .offset:         120
        .size:           4
        .value_kind:     hidden_block_count_x
      - .offset:         124
        .size:           4
        .value_kind:     hidden_block_count_y
      - .offset:         128
        .size:           4
        .value_kind:     hidden_block_count_z
      - .offset:         132
        .size:           2
        .value_kind:     hidden_group_size_x
      - .offset:         134
        .size:           2
        .value_kind:     hidden_group_size_y
      - .offset:         136
        .size:           2
        .value_kind:     hidden_group_size_z
      - .offset:         138
        .size:           2
        .value_kind:     hidden_remainder_x
      - .offset:         140
        .size:           2
        .value_kind:     hidden_remainder_y
      - .offset:         142
        .size:           2
        .value_kind:     hidden_remainder_z
      - .offset:         160
        .size:           8
        .value_kind:     hidden_global_offset_x
      - .offset:         168
        .size:           8
        .value_kind:     hidden_global_offset_y
      - .offset:         176
        .size:           8
        .value_kind:     hidden_global_offset_z
      - .offset:         184
        .size:           2
        .value_kind:     hidden_grid_dims
    .group_segment_fixed_size: 19200
    .kernarg_segment_align: 8
    .kernarg_segment_size: 376
    .language:       OpenCL C
    .language_version:
      - 2
      - 0
    .max_flat_workgroup_size: 256
    .name:           _ZL26rocblas_hemvn_kernel_lowerILb1ELi64ELi4ELi33ELi32ELi16ElPK19rocblas_complex_numIdEPKS3_PS1_EviT6_lT7_lT5_lS8_lS9_lS7_lT8_i
    .private_segment_fixed_size: 0
    .sgpr_count:     34
    .sgpr_spill_count: 0
    .symbol:         _ZL26rocblas_hemvn_kernel_lowerILb1ELi64ELi4ELi33ELi32ELi16ElPK19rocblas_complex_numIdEPKS3_PS1_EviT6_lT7_lT5_lS8_lS9_lS7_lT8_i.kd
    .uniform_work_group_size: 1
    .uses_dynamic_stack: false
    .vgpr_count:     211
    .vgpr_spill_count: 0
    .wavefront_size: 32
    .workgroup_processor_mode: 1
  - .args:
      - .offset:         0
        .size:           4
        .value_kind:     by_value
      - .address_space:  global
        .offset:         8
        .size:           8
        .value_kind:     global_buffer
      - .offset:         16
        .size:           8
        .value_kind:     by_value
      - .address_space:  global
        .offset:         24
        .size:           8
        .value_kind:     global_buffer
      - .offset:         32
        .size:           8
        .value_kind:     by_value
      - .actual_access:  read_only
        .address_space:  global
        .offset:         40
        .size:           8
        .value_kind:     global_buffer
      - .offset:         48
        .size:           8
        .value_kind:     by_value
      - .offset:         56
        .size:           8
        .value_kind:     by_value
      - .offset:         64
        .size:           8
        .value_kind:     by_value
      - .actual_access:  read_only
        .address_space:  global
        .offset:         72
        .size:           8
        .value_kind:     global_buffer
      - .offset:         80
        .size:           4
        .value_kind:     by_value
      - .offset:         88
        .size:           4
        .value_kind:     hidden_block_count_x
      - .offset:         92
        .size:           4
        .value_kind:     hidden_block_count_y
      - .offset:         96
        .size:           4
        .value_kind:     hidden_block_count_z
      - .offset:         100
        .size:           2
        .value_kind:     hidden_group_size_x
      - .offset:         102
        .size:           2
        .value_kind:     hidden_group_size_y
      - .offset:         104
        .size:           2
        .value_kind:     hidden_group_size_z
      - .offset:         106
        .size:           2
        .value_kind:     hidden_remainder_x
      - .offset:         108
        .size:           2
        .value_kind:     hidden_remainder_y
      - .offset:         110
        .size:           2
        .value_kind:     hidden_remainder_z
      - .offset:         128
        .size:           8
        .value_kind:     hidden_global_offset_x
      - .offset:         136
        .size:           8
        .value_kind:     hidden_global_offset_y
      - .offset:         144
        .size:           8
        .value_kind:     hidden_global_offset_z
      - .offset:         152
        .size:           2
        .value_kind:     hidden_grid_dims
    .group_segment_fixed_size: 0
    .kernarg_segment_align: 8
    .kernarg_segment_size: 344
    .language:       OpenCL C
    .language_version:
      - 2
      - 0
    .max_flat_workgroup_size: 64
    .name:           _ZL36rocblas_hemvn_kernel_lower_block_sumILi64ElPK19rocblas_complex_numIdEPKPS1_S1_EviT1_lS7_lT2_lT0_lPT3_i
    .private_segment_fixed_size: 0
    .sgpr_count:     28
    .sgpr_spill_count: 0
    .symbol:         _ZL36rocblas_hemvn_kernel_lower_block_sumILi64ElPK19rocblas_complex_numIdEPKPS1_S1_EviT1_lS7_lT2_lT0_lPT3_i.kd
    .uniform_work_group_size: 1
    .uses_dynamic_stack: false
    .vgpr_count:     13
    .vgpr_spill_count: 0
    .wavefront_size: 32
    .workgroup_processor_mode: 1
  - .args:
      - .offset:         0
        .size:           4
        .value_kind:     by_value
      - .address_space:  global
        .offset:         8
        .size:           8
        .value_kind:     global_buffer
      - .offset:         16
        .size:           8
        .value_kind:     by_value
      - .address_space:  global
        .offset:         24
        .size:           8
        .value_kind:     global_buffer
      - .offset:         32
        .size:           8
        .value_kind:     by_value
      - .offset:         40
        .size:           4
        .value_kind:     by_value
      - .offset:         48
        .size:           8
        .value_kind:     by_value
      - .address_space:  global
        .offset:         56
        .size:           8
        .value_kind:     global_buffer
      - .offset:         64
        .size:           8
        .value_kind:     by_value
      - .offset:         72
        .size:           4
        .value_kind:     by_value
      - .offset:         80
        .size:           8
        .value_kind:     by_value
      - .address_space:  global
        .offset:         88
        .size:           8
        .value_kind:     global_buffer
      - .offset:         96
        .size:           8
        .value_kind:     by_value
      - .address_space:  global
        .offset:         104
        .size:           8
        .value_kind:     global_buffer
      - .offset:         112
        .size:           4
        .value_kind:     by_value
      - .offset:         120
        .size:           4
        .value_kind:     hidden_block_count_x
      - .offset:         124
        .size:           4
        .value_kind:     hidden_block_count_y
      - .offset:         128
        .size:           4
        .value_kind:     hidden_block_count_z
      - .offset:         132
        .size:           2
        .value_kind:     hidden_group_size_x
      - .offset:         134
        .size:           2
        .value_kind:     hidden_group_size_y
      - .offset:         136
        .size:           2
        .value_kind:     hidden_group_size_z
      - .offset:         138
        .size:           2
        .value_kind:     hidden_remainder_x
      - .offset:         140
        .size:           2
        .value_kind:     hidden_remainder_y
      - .offset:         142
        .size:           2
        .value_kind:     hidden_remainder_z
      - .offset:         160
        .size:           8
        .value_kind:     hidden_global_offset_x
      - .offset:         168
        .size:           8
        .value_kind:     hidden_global_offset_y
      - .offset:         176
        .size:           8
        .value_kind:     hidden_global_offset_z
      - .offset:         184
        .size:           2
        .value_kind:     hidden_grid_dims
    .group_segment_fixed_size: 19200
    .kernarg_segment_align: 8
    .kernarg_segment_size: 376
    .language:       OpenCL C
    .language_version:
      - 2
      - 0
    .max_flat_workgroup_size: 256
    .name:           _ZL26rocblas_hemvn_kernel_lowerILb1ELi64ELi4ELi33ELi32ELi16EiPK19rocblas_complex_numIdEPKS3_PS1_EviT6_lT7_lT5_lS8_lS9_lS7_lT8_i
    .private_segment_fixed_size: 0
    .sgpr_count:     32
    .sgpr_spill_count: 0
    .symbol:         _ZL26rocblas_hemvn_kernel_lowerILb1ELi64ELi4ELi33ELi32ELi16EiPK19rocblas_complex_numIdEPKS3_PS1_EviT6_lT7_lT5_lS8_lS9_lS7_lT8_i.kd
    .uniform_work_group_size: 1
    .uses_dynamic_stack: false
    .vgpr_count:     209
    .vgpr_spill_count: 0
    .wavefront_size: 32
    .workgroup_processor_mode: 1
  - .args:
      - .offset:         0
        .size:           4
        .value_kind:     by_value
      - .address_space:  global
        .offset:         8
        .size:           8
        .value_kind:     global_buffer
      - .offset:         16
        .size:           8
        .value_kind:     by_value
      - .address_space:  global
        .offset:         24
        .size:           8
        .value_kind:     global_buffer
      - .offset:         32
        .size:           8
        .value_kind:     by_value
      - .actual_access:  read_only
        .address_space:  global
        .offset:         40
        .size:           8
        .value_kind:     global_buffer
      - .offset:         48
        .size:           8
        .value_kind:     by_value
      - .offset:         56
        .size:           4
        .value_kind:     by_value
      - .offset:         64
        .size:           8
        .value_kind:     by_value
      - .actual_access:  read_only
        .address_space:  global
        .offset:         72
        .size:           8
        .value_kind:     global_buffer
      - .offset:         80
        .size:           4
        .value_kind:     by_value
      - .offset:         88
        .size:           4
        .value_kind:     hidden_block_count_x
      - .offset:         92
        .size:           4
        .value_kind:     hidden_block_count_y
      - .offset:         96
        .size:           4
        .value_kind:     hidden_block_count_z
      - .offset:         100
        .size:           2
        .value_kind:     hidden_group_size_x
      - .offset:         102
        .size:           2
        .value_kind:     hidden_group_size_y
      - .offset:         104
        .size:           2
        .value_kind:     hidden_group_size_z
      - .offset:         106
        .size:           2
        .value_kind:     hidden_remainder_x
      - .offset:         108
        .size:           2
        .value_kind:     hidden_remainder_y
      - .offset:         110
        .size:           2
        .value_kind:     hidden_remainder_z
      - .offset:         128
        .size:           8
        .value_kind:     hidden_global_offset_x
      - .offset:         136
        .size:           8
        .value_kind:     hidden_global_offset_y
      - .offset:         144
        .size:           8
        .value_kind:     hidden_global_offset_z
      - .offset:         152
        .size:           2
        .value_kind:     hidden_grid_dims
    .group_segment_fixed_size: 0
    .kernarg_segment_align: 8
    .kernarg_segment_size: 344
    .language:       OpenCL C
    .language_version:
      - 2
      - 0
    .max_flat_workgroup_size: 64
    .name:           _ZL36rocblas_hemvn_kernel_lower_block_sumILi64EiPK19rocblas_complex_numIdEPKPS1_S1_EviT1_lS7_lT2_lT0_lPT3_i
    .private_segment_fixed_size: 0
    .sgpr_count:     28
    .sgpr_spill_count: 0
    .symbol:         _ZL36rocblas_hemvn_kernel_lower_block_sumILi64EiPK19rocblas_complex_numIdEPKPS1_S1_EviT1_lS7_lT2_lT0_lPT3_i.kd
    .uniform_work_group_size: 1
    .uses_dynamic_stack: false
    .vgpr_count:     13
    .vgpr_spill_count: 0
    .wavefront_size: 32
    .workgroup_processor_mode: 1
  - .args:
      - .offset:         0
        .size:           4
        .value_kind:     by_value
      - .offset:         8
        .size:           16
        .value_kind:     by_value
      - .offset:         24
        .size:           8
        .value_kind:     by_value
      - .address_space:  global
        .offset:         32
        .size:           8
        .value_kind:     global_buffer
      - .offset:         40
        .size:           8
        .value_kind:     by_value
      - .offset:         48
        .size:           8
        .value_kind:     by_value
      - .offset:         56
        .size:           8
        .value_kind:     by_value
      - .address_space:  global
        .offset:         64
        .size:           8
        .value_kind:     global_buffer
      - .offset:         72
        .size:           8
        .value_kind:     by_value
      - .offset:         80
        .size:           8
        .value_kind:     by_value
      - .offset:         88
        .size:           8
        .value_kind:     by_value
      - .offset:         96
        .size:           16
        .value_kind:     by_value
      - .offset:         112
        .size:           8
        .value_kind:     by_value
      - .address_space:  global
        .offset:         120
        .size:           8
        .value_kind:     global_buffer
      - .offset:         128
        .size:           4
        .value_kind:     by_value
      - .offset:         136
        .size:           4
        .value_kind:     hidden_block_count_x
      - .offset:         140
        .size:           4
        .value_kind:     hidden_block_count_y
      - .offset:         144
        .size:           4
        .value_kind:     hidden_block_count_z
      - .offset:         148
        .size:           2
        .value_kind:     hidden_group_size_x
      - .offset:         150
        .size:           2
        .value_kind:     hidden_group_size_y
      - .offset:         152
        .size:           2
        .value_kind:     hidden_group_size_z
      - .offset:         154
        .size:           2
        .value_kind:     hidden_remainder_x
      - .offset:         156
        .size:           2
        .value_kind:     hidden_remainder_y
      - .offset:         158
        .size:           2
        .value_kind:     hidden_remainder_z
      - .offset:         176
        .size:           8
        .value_kind:     hidden_global_offset_x
      - .offset:         184
        .size:           8
        .value_kind:     hidden_global_offset_y
      - .offset:         192
        .size:           8
        .value_kind:     hidden_global_offset_z
      - .offset:         200
        .size:           2
        .value_kind:     hidden_grid_dims
    .group_segment_fixed_size: 19200
    .kernarg_segment_align: 8
    .kernarg_segment_size: 392
    .language:       OpenCL C
    .language_version:
      - 2
      - 0
    .max_flat_workgroup_size: 256
    .name:           _ZL26rocblas_hemvn_kernel_lowerILb1ELi64ELi4ELi33ELi32ELi16El19rocblas_complex_numIdEPKPKS1_PS1_EviT6_lT7_lT5_lS8_lS9_lS7_lT8_i
    .private_segment_fixed_size: 0
    .sgpr_count:     34
    .sgpr_spill_count: 0
    .symbol:         _ZL26rocblas_hemvn_kernel_lowerILb1ELi64ELi4ELi33ELi32ELi16El19rocblas_complex_numIdEPKPKS1_PS1_EviT6_lT7_lT5_lS8_lS9_lS7_lT8_i.kd
    .uniform_work_group_size: 1
    .uses_dynamic_stack: false
    .vgpr_count:     183
    .vgpr_spill_count: 0
    .wavefront_size: 32
    .workgroup_processor_mode: 1
  - .args:
      - .offset:         0
        .size:           4
        .value_kind:     by_value
      - .offset:         8
        .size:           16
        .value_kind:     by_value
      - .offset:         24
        .size:           8
        .value_kind:     by_value
      - .offset:         32
        .size:           16
        .value_kind:     by_value
      - .offset:         48
        .size:           8
        .value_kind:     by_value
      - .actual_access:  read_only
        .address_space:  global
        .offset:         56
        .size:           8
        .value_kind:     global_buffer
      - .offset:         64
        .size:           8
        .value_kind:     by_value
      - .offset:         72
        .size:           8
        .value_kind:     by_value
      - .offset:         80
        .size:           8
        .value_kind:     by_value
      - .actual_access:  read_only
        .address_space:  global
        .offset:         88
        .size:           8
        .value_kind:     global_buffer
      - .offset:         96
        .size:           4
        .value_kind:     by_value
      - .offset:         104
        .size:           4
        .value_kind:     hidden_block_count_x
      - .offset:         108
        .size:           4
        .value_kind:     hidden_block_count_y
      - .offset:         112
        .size:           4
        .value_kind:     hidden_block_count_z
      - .offset:         116
        .size:           2
        .value_kind:     hidden_group_size_x
      - .offset:         118
        .size:           2
        .value_kind:     hidden_group_size_y
      - .offset:         120
        .size:           2
        .value_kind:     hidden_group_size_z
      - .offset:         122
        .size:           2
        .value_kind:     hidden_remainder_x
      - .offset:         124
        .size:           2
        .value_kind:     hidden_remainder_y
      - .offset:         126
        .size:           2
        .value_kind:     hidden_remainder_z
      - .offset:         144
        .size:           8
        .value_kind:     hidden_global_offset_x
      - .offset:         152
        .size:           8
        .value_kind:     hidden_global_offset_y
      - .offset:         160
        .size:           8
        .value_kind:     hidden_global_offset_z
      - .offset:         168
        .size:           2
        .value_kind:     hidden_grid_dims
    .group_segment_fixed_size: 0
    .kernarg_segment_align: 8
    .kernarg_segment_size: 360
    .language:       OpenCL C
    .language_version:
      - 2
      - 0
    .max_flat_workgroup_size: 64
    .name:           _ZL36rocblas_hemvn_kernel_lower_block_sumILi64El19rocblas_complex_numIdEPKPS1_S1_EviT1_lS5_lT2_lT0_lPT3_i
    .private_segment_fixed_size: 0
    .sgpr_count:     28
    .sgpr_spill_count: 0
    .symbol:         _ZL36rocblas_hemvn_kernel_lower_block_sumILi64El19rocblas_complex_numIdEPKPS1_S1_EviT1_lS5_lT2_lT0_lPT3_i.kd
    .uniform_work_group_size: 1
    .uses_dynamic_stack: false
    .vgpr_count:     13
    .vgpr_spill_count: 0
    .wavefront_size: 32
    .workgroup_processor_mode: 1
  - .args:
      - .offset:         0
        .size:           4
        .value_kind:     by_value
      - .offset:         8
        .size:           16
        .value_kind:     by_value
      - .offset:         24
        .size:           8
        .value_kind:     by_value
      - .address_space:  global
        .offset:         32
        .size:           8
        .value_kind:     global_buffer
      - .offset:         40
        .size:           8
        .value_kind:     by_value
      - .offset:         48
        .size:           4
        .value_kind:     by_value
      - .offset:         56
        .size:           8
        .value_kind:     by_value
      - .address_space:  global
        .offset:         64
        .size:           8
        .value_kind:     global_buffer
      - .offset:         72
        .size:           8
        .value_kind:     by_value
      - .offset:         80
        .size:           4
        .value_kind:     by_value
      - .offset:         88
        .size:           8
        .value_kind:     by_value
      - .offset:         96
        .size:           16
        .value_kind:     by_value
      - .offset:         112
        .size:           8
        .value_kind:     by_value
      - .address_space:  global
        .offset:         120
        .size:           8
        .value_kind:     global_buffer
      - .offset:         128
        .size:           4
        .value_kind:     by_value
      - .offset:         136
        .size:           4
        .value_kind:     hidden_block_count_x
      - .offset:         140
        .size:           4
        .value_kind:     hidden_block_count_y
      - .offset:         144
        .size:           4
        .value_kind:     hidden_block_count_z
      - .offset:         148
        .size:           2
        .value_kind:     hidden_group_size_x
      - .offset:         150
        .size:           2
        .value_kind:     hidden_group_size_y
      - .offset:         152
        .size:           2
        .value_kind:     hidden_group_size_z
      - .offset:         154
        .size:           2
        .value_kind:     hidden_remainder_x
      - .offset:         156
        .size:           2
        .value_kind:     hidden_remainder_y
      - .offset:         158
        .size:           2
        .value_kind:     hidden_remainder_z
      - .offset:         176
        .size:           8
        .value_kind:     hidden_global_offset_x
      - .offset:         184
        .size:           8
        .value_kind:     hidden_global_offset_y
      - .offset:         192
        .size:           8
        .value_kind:     hidden_global_offset_z
      - .offset:         200
        .size:           2
        .value_kind:     hidden_grid_dims
    .group_segment_fixed_size: 19200
    .kernarg_segment_align: 8
    .kernarg_segment_size: 392
    .language:       OpenCL C
    .language_version:
      - 2
      - 0
    .max_flat_workgroup_size: 256
    .name:           _ZL26rocblas_hemvn_kernel_lowerILb1ELi64ELi4ELi33ELi32ELi16Ei19rocblas_complex_numIdEPKPKS1_PS1_EviT6_lT7_lT5_lS8_lS9_lS7_lT8_i
    .private_segment_fixed_size: 0
    .sgpr_count:     32
    .sgpr_spill_count: 0
    .symbol:         _ZL26rocblas_hemvn_kernel_lowerILb1ELi64ELi4ELi33ELi32ELi16Ei19rocblas_complex_numIdEPKPKS1_PS1_EviT6_lT7_lT5_lS8_lS9_lS7_lT8_i.kd
    .uniform_work_group_size: 1
    .uses_dynamic_stack: false
    .vgpr_count:     209
    .vgpr_spill_count: 0
    .wavefront_size: 32
    .workgroup_processor_mode: 1
  - .args:
      - .offset:         0
        .size:           4
        .value_kind:     by_value
      - .offset:         8
        .size:           16
        .value_kind:     by_value
      - .offset:         24
        .size:           8
        .value_kind:     by_value
      - .offset:         32
        .size:           16
        .value_kind:     by_value
      - .offset:         48
        .size:           8
        .value_kind:     by_value
      - .actual_access:  read_only
        .address_space:  global
        .offset:         56
        .size:           8
        .value_kind:     global_buffer
      - .offset:         64
        .size:           8
        .value_kind:     by_value
      - .offset:         72
        .size:           4
        .value_kind:     by_value
      - .offset:         80
        .size:           8
        .value_kind:     by_value
      - .actual_access:  read_only
        .address_space:  global
        .offset:         88
        .size:           8
        .value_kind:     global_buffer
      - .offset:         96
        .size:           4
        .value_kind:     by_value
      - .offset:         104
        .size:           4
        .value_kind:     hidden_block_count_x
      - .offset:         108
        .size:           4
        .value_kind:     hidden_block_count_y
      - .offset:         112
        .size:           4
        .value_kind:     hidden_block_count_z
      - .offset:         116
        .size:           2
        .value_kind:     hidden_group_size_x
      - .offset:         118
        .size:           2
        .value_kind:     hidden_group_size_y
      - .offset:         120
        .size:           2
        .value_kind:     hidden_group_size_z
      - .offset:         122
        .size:           2
        .value_kind:     hidden_remainder_x
      - .offset:         124
        .size:           2
        .value_kind:     hidden_remainder_y
      - .offset:         126
        .size:           2
        .value_kind:     hidden_remainder_z
      - .offset:         144
        .size:           8
        .value_kind:     hidden_global_offset_x
      - .offset:         152
        .size:           8
        .value_kind:     hidden_global_offset_y
      - .offset:         160
        .size:           8
        .value_kind:     hidden_global_offset_z
      - .offset:         168
        .size:           2
        .value_kind:     hidden_grid_dims
    .group_segment_fixed_size: 0
    .kernarg_segment_align: 8
    .kernarg_segment_size: 360
    .language:       OpenCL C
    .language_version:
      - 2
      - 0
    .max_flat_workgroup_size: 64
    .name:           _ZL36rocblas_hemvn_kernel_lower_block_sumILi64Ei19rocblas_complex_numIdEPKPS1_S1_EviT1_lS5_lT2_lT0_lPT3_i
    .private_segment_fixed_size: 0
    .sgpr_count:     28
    .sgpr_spill_count: 0
    .symbol:         _ZL36rocblas_hemvn_kernel_lower_block_sumILi64Ei19rocblas_complex_numIdEPKPS1_S1_EviT1_lS5_lT2_lT0_lPT3_i.kd
    .uniform_work_group_size: 1
    .uses_dynamic_stack: false
    .vgpr_count:     13
    .vgpr_spill_count: 0
    .wavefront_size: 32
    .workgroup_processor_mode: 1
  - .args:
      - .offset:         0
        .size:           1
        .value_kind:     by_value
      - .offset:         4
        .size:           4
        .value_kind:     by_value
      - .offset:         8
        .size:           8
        .value_kind:     by_value
      - .offset:         16
        .size:           8
        .value_kind:     by_value
      - .address_space:  global
        .offset:         24
        .size:           8
        .value_kind:     global_buffer
      - .offset:         32
        .size:           8
        .value_kind:     by_value
      - .offset:         40
        .size:           8
        .value_kind:     by_value
      - .offset:         48
        .size:           8
        .value_kind:     by_value
      - .address_space:  global
        .offset:         56
        .size:           8
        .value_kind:     global_buffer
      - .offset:         64
        .size:           8
        .value_kind:     by_value
      - .offset:         72
        .size:           8
        .value_kind:     by_value
      - .offset:         80
        .size:           8
        .value_kind:     by_value
      - .offset:         88
        .size:           8
        .value_kind:     by_value
      - .offset:         96
        .size:           8
        .value_kind:     by_value
      - .address_space:  global
        .offset:         104
        .size:           8
        .value_kind:     global_buffer
      - .offset:         112
        .size:           8
        .value_kind:     by_value
      - .offset:         120
        .size:           8
        .value_kind:     by_value
      - .offset:         128
        .size:           8
        .value_kind:     by_value
      - .offset:         136
        .size:           4
        .value_kind:     by_value
    .group_segment_fixed_size: 5248
    .kernarg_segment_align: 8
    .kernarg_segment_size: 140
    .language:       OpenCL C
    .language_version:
      - 2
      - 0
    .max_flat_workgroup_size: 128
    .name:           _ZL50rocblas_symv_kernel_upper_double_buffered_diagonalILi32ELi4E24rocblas_internal_val_ptrIfEPKfPfEvbiT1_lT2_lllS6_lllS5_lT3_llli
    .private_segment_fixed_size: 0
    .sgpr_count:     34
    .sgpr_spill_count: 0
    .symbol:         _ZL50rocblas_symv_kernel_upper_double_buffered_diagonalILi32ELi4E24rocblas_internal_val_ptrIfEPKfPfEvbiT1_lT2_lllS6_lllS5_lT3_llli.kd
    .uniform_work_group_size: 1
    .uses_dynamic_stack: false
    .vgpr_count:     20
    .vgpr_spill_count: 0
    .wavefront_size: 32
    .workgroup_processor_mode: 1
  - .args:
      - .offset:         0
        .size:           1
        .value_kind:     by_value
      - .offset:         4
        .size:           4
        .value_kind:     by_value
      - .offset:         8
        .size:           8
        .value_kind:     by_value
      - .offset:         16
        .size:           8
        .value_kind:     by_value
      - .address_space:  global
        .offset:         24
        .size:           8
        .value_kind:     global_buffer
      - .offset:         32
        .size:           8
        .value_kind:     by_value
      - .offset:         40
        .size:           8
        .value_kind:     by_value
      - .offset:         48
        .size:           8
        .value_kind:     by_value
      - .address_space:  global
        .offset:         56
        .size:           8
        .value_kind:     global_buffer
      - .offset:         64
        .size:           8
        .value_kind:     by_value
      - .offset:         72
        .size:           8
        .value_kind:     by_value
      - .offset:         80
        .size:           8
        .value_kind:     by_value
      - .address_space:  global
        .offset:         88
        .size:           8
        .value_kind:     global_buffer
      - .offset:         96
        .size:           8
        .value_kind:     by_value
      - .offset:         104
        .size:           8
        .value_kind:     by_value
      - .offset:         112
        .size:           8
        .value_kind:     by_value
      - .offset:         120
        .size:           4
        .value_kind:     by_value
      - .offset:         128
        .size:           4
        .value_kind:     hidden_block_count_x
      - .offset:         132
        .size:           4
        .value_kind:     hidden_block_count_y
      - .offset:         136
        .size:           4
        .value_kind:     hidden_block_count_z
      - .offset:         140
        .size:           2
        .value_kind:     hidden_group_size_x
      - .offset:         142
        .size:           2
        .value_kind:     hidden_group_size_y
      - .offset:         144
        .size:           2
        .value_kind:     hidden_group_size_z
      - .offset:         146
        .size:           2
        .value_kind:     hidden_remainder_x
      - .offset:         148
        .size:           2
        .value_kind:     hidden_remainder_y
      - .offset:         150
        .size:           2
        .value_kind:     hidden_remainder_z
      - .offset:         168
        .size:           8
        .value_kind:     hidden_global_offset_x
      - .offset:         176
        .size:           8
        .value_kind:     hidden_global_offset_y
      - .offset:         184
        .size:           8
        .value_kind:     hidden_global_offset_z
      - .offset:         192
        .size:           2
        .value_kind:     hidden_grid_dims
    .group_segment_fixed_size: 3200
    .kernarg_segment_align: 8
    .kernarg_segment_size: 384
    .language:       OpenCL C
    .language_version:
      - 2
      - 0
    .max_flat_workgroup_size: 128
    .name:           _ZL54rocblas_symv_kernel_upper_double_buffered_non_diagonalILi32ELi4ELi4E24rocblas_internal_val_ptrIfEPKfPfEvbiT2_lT3_lllS6_lllT4_llli
    .private_segment_fixed_size: 0
    .sgpr_count:     34
    .sgpr_spill_count: 0
    .symbol:         _ZL54rocblas_symv_kernel_upper_double_buffered_non_diagonalILi32ELi4ELi4E24rocblas_internal_val_ptrIfEPKfPfEvbiT2_lT3_lllS6_lllT4_llli.kd
    .uniform_work_group_size: 1
    .uses_dynamic_stack: false
    .vgpr_count:     50
    .vgpr_spill_count: 0
    .wavefront_size: 32
    .workgroup_processor_mode: 1
  - .args:
      - .offset:         0
        .size:           1
        .value_kind:     by_value
      - .offset:         4
        .size:           4
        .value_kind:     by_value
      - .offset:         8
        .size:           8
        .value_kind:     by_value
      - .offset:         16
        .size:           8
        .value_kind:     by_value
      - .address_space:  global
        .offset:         24
        .size:           8
        .value_kind:     global_buffer
      - .offset:         32
        .size:           8
        .value_kind:     by_value
      - .offset:         40
        .size:           8
        .value_kind:     by_value
      - .offset:         48
        .size:           8
        .value_kind:     by_value
      - .address_space:  global
        .offset:         56
        .size:           8
        .value_kind:     global_buffer
      - .offset:         64
        .size:           8
        .value_kind:     by_value
      - .offset:         72
        .size:           8
        .value_kind:     by_value
      - .offset:         80
        .size:           8
        .value_kind:     by_value
      - .offset:         88
        .size:           8
        .value_kind:     by_value
      - .offset:         96
        .size:           8
        .value_kind:     by_value
      - .address_space:  global
        .offset:         104
        .size:           8
        .value_kind:     global_buffer
      - .offset:         112
        .size:           8
        .value_kind:     by_value
      - .offset:         120
        .size:           8
        .value_kind:     by_value
      - .offset:         128
        .size:           8
        .value_kind:     by_value
      - .offset:         136
        .size:           4
        .value_kind:     by_value
      - .offset:         140
        .size:           4
        .value_kind:     by_value
      - .offset:         144
        .size:           4
        .value_kind:     hidden_block_count_x
      - .offset:         148
        .size:           4
        .value_kind:     hidden_block_count_y
      - .offset:         152
        .size:           4
        .value_kind:     hidden_block_count_z
      - .offset:         156
        .size:           2
        .value_kind:     hidden_group_size_x
      - .offset:         158
        .size:           2
        .value_kind:     hidden_group_size_y
      - .offset:         160
        .size:           2
        .value_kind:     hidden_group_size_z
      - .offset:         162
        .size:           2
        .value_kind:     hidden_remainder_x
      - .offset:         164
        .size:           2
        .value_kind:     hidden_remainder_y
      - .offset:         166
        .size:           2
        .value_kind:     hidden_remainder_z
      - .offset:         184
        .size:           8
        .value_kind:     hidden_global_offset_x
      - .offset:         192
        .size:           8
        .value_kind:     hidden_global_offset_y
      - .offset:         200
        .size:           8
        .value_kind:     hidden_global_offset_z
      - .offset:         208
        .size:           2
        .value_kind:     hidden_grid_dims
    .group_segment_fixed_size: 6272
    .kernarg_segment_align: 8
    .kernarg_segment_size: 400
    .language:       OpenCL C
    .language_version:
      - 2
      - 0
    .max_flat_workgroup_size: 256
    .name:           _ZL58rocblas_symv_kernel_upper_double_buffered_diagonal_genericILi32ELi8E24rocblas_internal_val_ptrIfEPKfPfEvbiT1_lT2_lllS6_lllS5_lT3_lllii
    .private_segment_fixed_size: 0
    .sgpr_count:     40
    .sgpr_spill_count: 0
    .symbol:         _ZL58rocblas_symv_kernel_upper_double_buffered_diagonal_genericILi32ELi8E24rocblas_internal_val_ptrIfEPKfPfEvbiT1_lT2_lllS6_lllS5_lT3_lllii.kd
    .uniform_work_group_size: 1
    .uses_dynamic_stack: false
    .vgpr_count:     26
    .vgpr_spill_count: 0
    .wavefront_size: 32
    .workgroup_processor_mode: 1
  - .args:
      - .offset:         0
        .size:           1
        .value_kind:     by_value
      - .offset:         4
        .size:           4
        .value_kind:     by_value
      - .offset:         8
        .size:           8
        .value_kind:     by_value
      - .offset:         16
        .size:           8
        .value_kind:     by_value
      - .address_space:  global
        .offset:         24
        .size:           8
        .value_kind:     global_buffer
      - .offset:         32
        .size:           8
        .value_kind:     by_value
      - .offset:         40
        .size:           8
        .value_kind:     by_value
      - .offset:         48
        .size:           8
        .value_kind:     by_value
      - .address_space:  global
        .offset:         56
        .size:           8
        .value_kind:     global_buffer
      - .offset:         64
        .size:           8
        .value_kind:     by_value
      - .offset:         72
        .size:           8
        .value_kind:     by_value
      - .offset:         80
        .size:           8
        .value_kind:     by_value
      - .address_space:  global
        .offset:         88
        .size:           8
        .value_kind:     global_buffer
      - .offset:         96
        .size:           8
        .value_kind:     by_value
      - .offset:         104
        .size:           8
        .value_kind:     by_value
      - .offset:         112
        .size:           8
        .value_kind:     by_value
      - .offset:         120
        .size:           4
        .value_kind:     by_value
      - .offset:         124
        .size:           4
        .value_kind:     by_value
      - .offset:         128
        .size:           4
        .value_kind:     hidden_block_count_x
      - .offset:         132
        .size:           4
        .value_kind:     hidden_block_count_y
      - .offset:         136
        .size:           4
        .value_kind:     hidden_block_count_z
      - .offset:         140
        .size:           2
        .value_kind:     hidden_group_size_x
      - .offset:         142
        .size:           2
        .value_kind:     hidden_group_size_y
      - .offset:         144
        .size:           2
        .value_kind:     hidden_group_size_z
      - .offset:         146
        .size:           2
        .value_kind:     hidden_remainder_x
      - .offset:         148
        .size:           2
        .value_kind:     hidden_remainder_y
      - .offset:         150
        .size:           2
        .value_kind:     hidden_remainder_z
      - .offset:         168
        .size:           8
        .value_kind:     hidden_global_offset_x
      - .offset:         176
        .size:           8
        .value_kind:     hidden_global_offset_y
      - .offset:         184
        .size:           8
        .value_kind:     hidden_global_offset_z
      - .offset:         192
        .size:           2
        .value_kind:     hidden_grid_dims
    .group_segment_fixed_size: 4224
    .kernarg_segment_align: 8
    .kernarg_segment_size: 384
    .language:       OpenCL C
    .language_version:
      - 2
      - 0
    .max_flat_workgroup_size: 256
    .name:           _ZL62rocblas_symv_kernel_upper_double_buffered_non_diagonal_genericILi32ELi8ELi2ELi0E24rocblas_internal_val_ptrIfEPKfPfEvbiT3_lT4_lllS6_lllT5_lllii
    .private_segment_fixed_size: 0
    .sgpr_count:     36
    .sgpr_spill_count: 0
    .symbol:         _ZL62rocblas_symv_kernel_upper_double_buffered_non_diagonal_genericILi32ELi8ELi2ELi0E24rocblas_internal_val_ptrIfEPKfPfEvbiT3_lT4_lllS6_lllT5_lllii.kd
    .uniform_work_group_size: 1
    .uses_dynamic_stack: false
    .vgpr_count:     41
    .vgpr_spill_count: 0
    .wavefront_size: 32
    .workgroup_processor_mode: 1
  - .args:
      - .offset:         0
        .size:           1
        .value_kind:     by_value
      - .offset:         4
        .size:           4
        .value_kind:     by_value
      - .offset:         8
        .size:           8
        .value_kind:     by_value
      - .offset:         16
        .size:           8
        .value_kind:     by_value
      - .address_space:  global
        .offset:         24
        .size:           8
        .value_kind:     global_buffer
      - .offset:         32
        .size:           8
        .value_kind:     by_value
      - .offset:         40
        .size:           8
        .value_kind:     by_value
      - .offset:         48
        .size:           8
        .value_kind:     by_value
      - .address_space:  global
        .offset:         56
        .size:           8
        .value_kind:     global_buffer
      - .offset:         64
        .size:           8
        .value_kind:     by_value
      - .offset:         72
        .size:           8
        .value_kind:     by_value
      - .offset:         80
        .size:           8
        .value_kind:     by_value
      - .address_space:  global
        .offset:         88
        .size:           8
        .value_kind:     global_buffer
      - .offset:         96
        .size:           8
        .value_kind:     by_value
      - .offset:         104
        .size:           8
        .value_kind:     by_value
      - .offset:         112
        .size:           8
        .value_kind:     by_value
      - .offset:         120
        .size:           4
        .value_kind:     by_value
      - .offset:         124
        .size:           4
        .value_kind:     by_value
      - .offset:         128
        .size:           4
        .value_kind:     hidden_block_count_x
      - .offset:         132
        .size:           4
        .value_kind:     hidden_block_count_y
      - .offset:         136
        .size:           4
        .value_kind:     hidden_block_count_z
      - .offset:         140
        .size:           2
        .value_kind:     hidden_group_size_x
      - .offset:         142
        .size:           2
        .value_kind:     hidden_group_size_y
      - .offset:         144
        .size:           2
        .value_kind:     hidden_group_size_z
      - .offset:         146
        .size:           2
        .value_kind:     hidden_remainder_x
      - .offset:         148
        .size:           2
        .value_kind:     hidden_remainder_y
      - .offset:         150
        .size:           2
        .value_kind:     hidden_remainder_z
      - .offset:         168
        .size:           8
        .value_kind:     hidden_global_offset_x
      - .offset:         176
        .size:           8
        .value_kind:     hidden_global_offset_y
      - .offset:         184
        .size:           8
        .value_kind:     hidden_global_offset_z
      - .offset:         192
        .size:           2
        .value_kind:     hidden_grid_dims
    .group_segment_fixed_size: 4224
    .kernarg_segment_align: 8
    .kernarg_segment_size: 384
    .language:       OpenCL C
    .language_version:
      - 2
      - 0
    .max_flat_workgroup_size: 256
    .name:           _ZL62rocblas_symv_kernel_upper_double_buffered_non_diagonal_genericILi32ELi8ELi2ELi1E24rocblas_internal_val_ptrIfEPKfPfEvbiT3_lT4_lllS6_lllT5_lllii
    .private_segment_fixed_size: 0
    .sgpr_count:     36
    .sgpr_spill_count: 0
    .symbol:         _ZL62rocblas_symv_kernel_upper_double_buffered_non_diagonal_genericILi32ELi8ELi2ELi1E24rocblas_internal_val_ptrIfEPKfPfEvbiT3_lT4_lllS6_lllT5_lllii.kd
    .uniform_work_group_size: 1
    .uses_dynamic_stack: false
    .vgpr_count:     40
    .vgpr_spill_count: 0
    .wavefront_size: 32
    .workgroup_processor_mode: 1
  - .args:
      - .offset:         0
        .size:           4
        .value_kind:     by_value
      - .address_space:  global
        .offset:         8
        .size:           8
        .value_kind:     global_buffer
      - .offset:         16
        .size:           8
        .value_kind:     by_value
      - .address_space:  global
        .offset:         24
        .size:           8
        .value_kind:     global_buffer
      - .offset:         32
        .size:           8
        .value_kind:     by_value
      - .offset:         40
        .size:           8
        .value_kind:     by_value
      - .offset:         48
        .size:           8
        .value_kind:     by_value
      - .address_space:  global
        .offset:         56
        .size:           8
        .value_kind:     global_buffer
      - .offset:         64
        .size:           8
        .value_kind:     by_value
      - .offset:         72
        .size:           8
        .value_kind:     by_value
      - .offset:         80
        .size:           8
        .value_kind:     by_value
      - .address_space:  global
        .offset:         88
        .size:           8
        .value_kind:     global_buffer
      - .offset:         96
        .size:           8
        .value_kind:     by_value
      - .address_space:  global
        .offset:         104
        .size:           8
        .value_kind:     global_buffer
      - .offset:         112
        .size:           4
        .value_kind:     by_value
      - .offset:         120
        .size:           4
        .value_kind:     hidden_block_count_x
      - .offset:         124
        .size:           4
        .value_kind:     hidden_block_count_y
      - .offset:         128
        .size:           4
        .value_kind:     hidden_block_count_z
      - .offset:         132
        .size:           2
        .value_kind:     hidden_group_size_x
      - .offset:         134
        .size:           2
        .value_kind:     hidden_group_size_y
      - .offset:         136
        .size:           2
        .value_kind:     hidden_group_size_z
      - .offset:         138
        .size:           2
        .value_kind:     hidden_remainder_x
      - .offset:         140
        .size:           2
        .value_kind:     hidden_remainder_y
      - .offset:         142
        .size:           2
        .value_kind:     hidden_remainder_z
      - .offset:         160
        .size:           8
        .value_kind:     hidden_global_offset_x
      - .offset:         168
        .size:           8
        .value_kind:     hidden_global_offset_y
      - .offset:         176
        .size:           8
        .value_kind:     hidden_global_offset_z
      - .offset:         184
        .size:           2
        .value_kind:     hidden_grid_dims
    .group_segment_fixed_size: 4800
    .kernarg_segment_align: 8
    .kernarg_segment_size: 376
    .language:       OpenCL C
    .language_version:
      - 2
      - 0
    .max_flat_workgroup_size: 256
    .name:           _ZL26rocblas_hemvn_kernel_upperILb0ELi64ELi4ELi33ELi32ELi16ElPKfS1_PfEviT6_lT7_lT5_lS4_lS5_lS3_lT8_i
    .private_segment_fixed_size: 0
    .sgpr_count:     46
    .sgpr_spill_count: 0
    .symbol:         _ZL26rocblas_hemvn_kernel_upperILb0ELi64ELi4ELi33ELi32ELi16ElPKfS1_PfEviT6_lT7_lT5_lS4_lS5_lS3_lT8_i.kd
    .uniform_work_group_size: 1
    .uses_dynamic_stack: false
    .vgpr_count:     113
    .vgpr_spill_count: 0
    .wavefront_size: 32
    .workgroup_processor_mode: 1
  - .args:
      - .offset:         0
        .size:           4
        .value_kind:     by_value
      - .address_space:  global
        .offset:         8
        .size:           8
        .value_kind:     global_buffer
      - .offset:         16
        .size:           8
        .value_kind:     by_value
      - .address_space:  global
        .offset:         24
        .size:           8
        .value_kind:     global_buffer
      - .offset:         32
        .size:           8
        .value_kind:     by_value
      - .address_space:  global
        .offset:         40
        .size:           8
        .value_kind:     global_buffer
      - .offset:         48
        .size:           8
        .value_kind:     by_value
      - .offset:         56
        .size:           8
        .value_kind:     by_value
      - .offset:         64
        .size:           8
        .value_kind:     by_value
      - .address_space:  global
        .offset:         72
        .size:           8
        .value_kind:     global_buffer
      - .offset:         80
        .size:           4
        .value_kind:     by_value
      - .offset:         88
        .size:           4
        .value_kind:     hidden_block_count_x
      - .offset:         92
        .size:           4
        .value_kind:     hidden_block_count_y
      - .offset:         96
        .size:           4
        .value_kind:     hidden_block_count_z
      - .offset:         100
        .size:           2
        .value_kind:     hidden_group_size_x
      - .offset:         102
        .size:           2
        .value_kind:     hidden_group_size_y
      - .offset:         104
        .size:           2
        .value_kind:     hidden_group_size_z
      - .offset:         106
        .size:           2
        .value_kind:     hidden_remainder_x
      - .offset:         108
        .size:           2
        .value_kind:     hidden_remainder_y
      - .offset:         110
        .size:           2
        .value_kind:     hidden_remainder_z
      - .offset:         128
        .size:           8
        .value_kind:     hidden_global_offset_x
      - .offset:         136
        .size:           8
        .value_kind:     hidden_global_offset_y
      - .offset:         144
        .size:           8
        .value_kind:     hidden_global_offset_z
      - .offset:         152
        .size:           2
        .value_kind:     hidden_grid_dims
    .group_segment_fixed_size: 0
    .kernarg_segment_align: 8
    .kernarg_segment_size: 344
    .language:       OpenCL C
    .language_version:
      - 2
      - 0
    .max_flat_workgroup_size: 64
    .name:           _ZL36rocblas_hemvn_kernel_upper_block_sumILi64ElPKfPffEviT1_lS3_lT2_lT0_lPT3_i
    .private_segment_fixed_size: 0
    .sgpr_count:     22
    .sgpr_spill_count: 0
    .symbol:         _ZL36rocblas_hemvn_kernel_upper_block_sumILi64ElPKfPffEviT1_lS3_lT2_lT0_lPT3_i.kd
    .uniform_work_group_size: 1
    .uses_dynamic_stack: false
    .vgpr_count:     7
    .vgpr_spill_count: 0
    .wavefront_size: 32
    .workgroup_processor_mode: 1
  - .args:
      - .offset:         0
        .size:           4
        .value_kind:     by_value
      - .address_space:  global
        .offset:         8
        .size:           8
        .value_kind:     global_buffer
      - .offset:         16
        .size:           8
        .value_kind:     by_value
      - .address_space:  global
        .offset:         24
        .size:           8
        .value_kind:     global_buffer
      - .offset:         32
        .size:           8
        .value_kind:     by_value
      - .offset:         40
        .size:           4
        .value_kind:     by_value
      - .offset:         48
        .size:           8
        .value_kind:     by_value
      - .address_space:  global
        .offset:         56
        .size:           8
        .value_kind:     global_buffer
      - .offset:         64
        .size:           8
        .value_kind:     by_value
      - .offset:         72
        .size:           4
        .value_kind:     by_value
      - .offset:         80
        .size:           8
        .value_kind:     by_value
      - .address_space:  global
        .offset:         88
        .size:           8
        .value_kind:     global_buffer
      - .offset:         96
        .size:           8
        .value_kind:     by_value
      - .address_space:  global
        .offset:         104
        .size:           8
        .value_kind:     global_buffer
      - .offset:         112
        .size:           4
        .value_kind:     by_value
      - .offset:         120
        .size:           4
        .value_kind:     hidden_block_count_x
      - .offset:         124
        .size:           4
        .value_kind:     hidden_block_count_y
      - .offset:         128
        .size:           4
        .value_kind:     hidden_block_count_z
      - .offset:         132
        .size:           2
        .value_kind:     hidden_group_size_x
      - .offset:         134
        .size:           2
        .value_kind:     hidden_group_size_y
      - .offset:         136
        .size:           2
        .value_kind:     hidden_group_size_z
      - .offset:         138
        .size:           2
        .value_kind:     hidden_remainder_x
      - .offset:         140
        .size:           2
        .value_kind:     hidden_remainder_y
      - .offset:         142
        .size:           2
        .value_kind:     hidden_remainder_z
      - .offset:         160
        .size:           8
        .value_kind:     hidden_global_offset_x
      - .offset:         168
        .size:           8
        .value_kind:     hidden_global_offset_y
      - .offset:         176
        .size:           8
        .value_kind:     hidden_global_offset_z
      - .offset:         184
        .size:           2
        .value_kind:     hidden_grid_dims
    .group_segment_fixed_size: 4800
    .kernarg_segment_align: 8
    .kernarg_segment_size: 376
    .language:       OpenCL C
    .language_version:
      - 2
      - 0
    .max_flat_workgroup_size: 256
    .name:           _ZL26rocblas_hemvn_kernel_upperILb0ELi64ELi4ELi33ELi32ELi16EiPKfS1_PfEviT6_lT7_lT5_lS4_lS5_lS3_lT8_i
    .private_segment_fixed_size: 0
    .sgpr_count:     43
    .sgpr_spill_count: 0
    .symbol:         _ZL26rocblas_hemvn_kernel_upperILb0ELi64ELi4ELi33ELi32ELi16EiPKfS1_PfEviT6_lT7_lT5_lS4_lS5_lS3_lT8_i.kd
    .uniform_work_group_size: 1
    .uses_dynamic_stack: false
    .vgpr_count:     132
    .vgpr_spill_count: 0
    .wavefront_size: 32
    .workgroup_processor_mode: 1
  - .args:
      - .offset:         0
        .size:           4
        .value_kind:     by_value
      - .address_space:  global
        .offset:         8
        .size:           8
        .value_kind:     global_buffer
      - .offset:         16
        .size:           8
        .value_kind:     by_value
      - .address_space:  global
        .offset:         24
        .size:           8
        .value_kind:     global_buffer
      - .offset:         32
        .size:           8
        .value_kind:     by_value
      - .address_space:  global
        .offset:         40
        .size:           8
        .value_kind:     global_buffer
      - .offset:         48
        .size:           8
        .value_kind:     by_value
      - .offset:         56
        .size:           4
        .value_kind:     by_value
      - .offset:         64
        .size:           8
        .value_kind:     by_value
      - .address_space:  global
        .offset:         72
        .size:           8
        .value_kind:     global_buffer
      - .offset:         80
        .size:           4
        .value_kind:     by_value
      - .offset:         88
        .size:           4
        .value_kind:     hidden_block_count_x
      - .offset:         92
        .size:           4
        .value_kind:     hidden_block_count_y
      - .offset:         96
        .size:           4
        .value_kind:     hidden_block_count_z
      - .offset:         100
        .size:           2
        .value_kind:     hidden_group_size_x
      - .offset:         102
        .size:           2
        .value_kind:     hidden_group_size_y
      - .offset:         104
        .size:           2
        .value_kind:     hidden_group_size_z
      - .offset:         106
        .size:           2
        .value_kind:     hidden_remainder_x
      - .offset:         108
        .size:           2
        .value_kind:     hidden_remainder_y
      - .offset:         110
        .size:           2
        .value_kind:     hidden_remainder_z
      - .offset:         128
        .size:           8
        .value_kind:     hidden_global_offset_x
      - .offset:         136
        .size:           8
        .value_kind:     hidden_global_offset_y
      - .offset:         144
        .size:           8
        .value_kind:     hidden_global_offset_z
      - .offset:         152
        .size:           2
        .value_kind:     hidden_grid_dims
    .group_segment_fixed_size: 0
    .kernarg_segment_align: 8
    .kernarg_segment_size: 344
    .language:       OpenCL C
    .language_version:
      - 2
      - 0
    .max_flat_workgroup_size: 64
    .name:           _ZL36rocblas_hemvn_kernel_upper_block_sumILi64EiPKfPffEviT1_lS3_lT2_lT0_lPT3_i
    .private_segment_fixed_size: 0
    .sgpr_count:     22
    .sgpr_spill_count: 0
    .symbol:         _ZL36rocblas_hemvn_kernel_upper_block_sumILi64EiPKfPffEviT1_lS3_lT2_lT0_lPT3_i.kd
    .uniform_work_group_size: 1
    .uses_dynamic_stack: false
    .vgpr_count:     6
    .vgpr_spill_count: 0
    .wavefront_size: 32
    .workgroup_processor_mode: 1
  - .args:
      - .offset:         0
        .size:           4
        .value_kind:     by_value
      - .offset:         4
        .size:           4
        .value_kind:     by_value
      - .offset:         8
        .size:           8
        .value_kind:     by_value
      - .address_space:  global
        .offset:         16
        .size:           8
        .value_kind:     global_buffer
      - .offset:         24
        .size:           8
        .value_kind:     by_value
      - .offset:         32
        .size:           8
        .value_kind:     by_value
      - .offset:         40
        .size:           8
        .value_kind:     by_value
      - .address_space:  global
        .offset:         48
        .size:           8
        .value_kind:     global_buffer
      - .offset:         56
        .size:           8
        .value_kind:     by_value
      - .offset:         64
        .size:           8
        .value_kind:     by_value
      - .offset:         72
        .size:           8
        .value_kind:     by_value
      - .offset:         80
        .size:           4
        .value_kind:     by_value
      - .offset:         88
        .size:           8
        .value_kind:     by_value
      - .address_space:  global
        .offset:         96
        .size:           8
        .value_kind:     global_buffer
      - .offset:         104
        .size:           4
        .value_kind:     by_value
      - .offset:         112
        .size:           4
        .value_kind:     hidden_block_count_x
      - .offset:         116
        .size:           4
        .value_kind:     hidden_block_count_y
      - .offset:         120
        .size:           4
        .value_kind:     hidden_block_count_z
      - .offset:         124
        .size:           2
        .value_kind:     hidden_group_size_x
      - .offset:         126
        .size:           2
        .value_kind:     hidden_group_size_y
      - .offset:         128
        .size:           2
        .value_kind:     hidden_group_size_z
      - .offset:         130
        .size:           2
        .value_kind:     hidden_remainder_x
      - .offset:         132
        .size:           2
        .value_kind:     hidden_remainder_y
      - .offset:         134
        .size:           2
        .value_kind:     hidden_remainder_z
      - .offset:         152
        .size:           8
        .value_kind:     hidden_global_offset_x
      - .offset:         160
        .size:           8
        .value_kind:     hidden_global_offset_y
      - .offset:         168
        .size:           8
        .value_kind:     hidden_global_offset_z
      - .offset:         176
        .size:           2
        .value_kind:     hidden_grid_dims
    .group_segment_fixed_size: 4800
    .kernarg_segment_align: 8
    .kernarg_segment_size: 368
    .language:       OpenCL C
    .language_version:
      - 2
      - 0
    .max_flat_workgroup_size: 256
    .name:           _ZL26rocblas_hemvn_kernel_upperILb0ELi64ELi4ELi33ELi32ELi16ElfPKfPfEviT6_lT7_lT5_lS4_lS5_lS3_lT8_i
    .private_segment_fixed_size: 0
    .sgpr_count:     38
    .sgpr_spill_count: 0
    .symbol:         _ZL26rocblas_hemvn_kernel_upperILb0ELi64ELi4ELi33ELi32ELi16ElfPKfPfEviT6_lT7_lT5_lS4_lS5_lS3_lT8_i.kd
    .uniform_work_group_size: 1
    .uses_dynamic_stack: false
    .vgpr_count:     113
    .vgpr_spill_count: 0
    .wavefront_size: 32
    .workgroup_processor_mode: 1
  - .args:
      - .offset:         0
        .size:           4
        .value_kind:     by_value
      - .offset:         4
        .size:           4
        .value_kind:     by_value
      - .offset:         8
        .size:           8
        .value_kind:     by_value
      - .offset:         16
        .size:           4
        .value_kind:     by_value
      - .offset:         24
        .size:           8
        .value_kind:     by_value
      - .address_space:  global
        .offset:         32
        .size:           8
        .value_kind:     global_buffer
      - .offset:         40
        .size:           8
        .value_kind:     by_value
      - .offset:         48
        .size:           8
        .value_kind:     by_value
      - .offset:         56
        .size:           8
        .value_kind:     by_value
      - .address_space:  global
        .offset:         64
        .size:           8
        .value_kind:     global_buffer
      - .offset:         72
        .size:           4
        .value_kind:     by_value
      - .offset:         80
        .size:           4
        .value_kind:     hidden_block_count_x
      - .offset:         84
        .size:           4
        .value_kind:     hidden_block_count_y
      - .offset:         88
        .size:           4
        .value_kind:     hidden_block_count_z
      - .offset:         92
        .size:           2
        .value_kind:     hidden_group_size_x
      - .offset:         94
        .size:           2
        .value_kind:     hidden_group_size_y
      - .offset:         96
        .size:           2
        .value_kind:     hidden_group_size_z
      - .offset:         98
        .size:           2
        .value_kind:     hidden_remainder_x
      - .offset:         100
        .size:           2
        .value_kind:     hidden_remainder_y
      - .offset:         102
        .size:           2
        .value_kind:     hidden_remainder_z
      - .offset:         120
        .size:           8
        .value_kind:     hidden_global_offset_x
      - .offset:         128
        .size:           8
        .value_kind:     hidden_global_offset_y
      - .offset:         136
        .size:           8
        .value_kind:     hidden_global_offset_z
      - .offset:         144
        .size:           2
        .value_kind:     hidden_grid_dims
    .group_segment_fixed_size: 0
    .kernarg_segment_align: 8
    .kernarg_segment_size: 336
    .language:       OpenCL C
    .language_version:
      - 2
      - 0
    .max_flat_workgroup_size: 64
    .name:           _ZL36rocblas_hemvn_kernel_upper_block_sumILi64ElfPffEviT1_lS1_lT2_lT0_lPT3_i
    .private_segment_fixed_size: 0
    .sgpr_count:     21
    .sgpr_spill_count: 0
    .symbol:         _ZL36rocblas_hemvn_kernel_upper_block_sumILi64ElfPffEviT1_lS1_lT2_lT0_lPT3_i.kd
    .uniform_work_group_size: 1
    .uses_dynamic_stack: false
    .vgpr_count:     7
    .vgpr_spill_count: 0
    .wavefront_size: 32
    .workgroup_processor_mode: 1
  - .args:
      - .offset:         0
        .size:           4
        .value_kind:     by_value
      - .offset:         4
        .size:           4
        .value_kind:     by_value
      - .offset:         8
        .size:           8
        .value_kind:     by_value
      - .address_space:  global
        .offset:         16
        .size:           8
        .value_kind:     global_buffer
      - .offset:         24
        .size:           8
        .value_kind:     by_value
      - .offset:         32
        .size:           4
        .value_kind:     by_value
      - .offset:         40
        .size:           8
        .value_kind:     by_value
      - .address_space:  global
        .offset:         48
        .size:           8
        .value_kind:     global_buffer
      - .offset:         56
        .size:           8
        .value_kind:     by_value
      - .offset:         64
        .size:           4
        .value_kind:     by_value
      - .offset:         72
        .size:           8
        .value_kind:     by_value
      - .offset:         80
        .size:           4
        .value_kind:     by_value
      - .offset:         88
        .size:           8
        .value_kind:     by_value
      - .address_space:  global
        .offset:         96
        .size:           8
        .value_kind:     global_buffer
      - .offset:         104
        .size:           4
        .value_kind:     by_value
      - .offset:         112
        .size:           4
        .value_kind:     hidden_block_count_x
      - .offset:         116
        .size:           4
        .value_kind:     hidden_block_count_y
      - .offset:         120
        .size:           4
        .value_kind:     hidden_block_count_z
      - .offset:         124
        .size:           2
        .value_kind:     hidden_group_size_x
      - .offset:         126
        .size:           2
        .value_kind:     hidden_group_size_y
      - .offset:         128
        .size:           2
        .value_kind:     hidden_group_size_z
      - .offset:         130
        .size:           2
        .value_kind:     hidden_remainder_x
      - .offset:         132
        .size:           2
        .value_kind:     hidden_remainder_y
      - .offset:         134
        .size:           2
        .value_kind:     hidden_remainder_z
      - .offset:         152
        .size:           8
        .value_kind:     hidden_global_offset_x
      - .offset:         160
        .size:           8
        .value_kind:     hidden_global_offset_y
      - .offset:         168
        .size:           8
        .value_kind:     hidden_global_offset_z
      - .offset:         176
        .size:           2
        .value_kind:     hidden_grid_dims
    .group_segment_fixed_size: 4800
    .kernarg_segment_align: 8
    .kernarg_segment_size: 368
    .language:       OpenCL C
    .language_version:
      - 2
      - 0
    .max_flat_workgroup_size: 256
    .name:           _ZL26rocblas_hemvn_kernel_upperILb0ELi64ELi4ELi33ELi32ELi16EifPKfPfEviT6_lT7_lT5_lS4_lS5_lS3_lT8_i
    .private_segment_fixed_size: 0
    .sgpr_count:     43
    .sgpr_spill_count: 0
    .symbol:         _ZL26rocblas_hemvn_kernel_upperILb0ELi64ELi4ELi33ELi32ELi16EifPKfPfEviT6_lT7_lT5_lS4_lS5_lS3_lT8_i.kd
    .uniform_work_group_size: 1
    .uses_dynamic_stack: false
    .vgpr_count:     132
    .vgpr_spill_count: 0
    .wavefront_size: 32
    .workgroup_processor_mode: 1
  - .args:
      - .offset:         0
        .size:           4
        .value_kind:     by_value
      - .offset:         4
        .size:           4
        .value_kind:     by_value
      - .offset:         8
        .size:           8
        .value_kind:     by_value
      - .offset:         16
        .size:           4
        .value_kind:     by_value
      - .offset:         24
        .size:           8
        .value_kind:     by_value
      - .address_space:  global
        .offset:         32
        .size:           8
        .value_kind:     global_buffer
      - .offset:         40
        .size:           8
        .value_kind:     by_value
      - .offset:         48
        .size:           4
        .value_kind:     by_value
      - .offset:         56
        .size:           8
        .value_kind:     by_value
      - .address_space:  global
        .offset:         64
        .size:           8
        .value_kind:     global_buffer
      - .offset:         72
        .size:           4
        .value_kind:     by_value
      - .offset:         80
        .size:           4
        .value_kind:     hidden_block_count_x
      - .offset:         84
        .size:           4
        .value_kind:     hidden_block_count_y
      - .offset:         88
        .size:           4
        .value_kind:     hidden_block_count_z
      - .offset:         92
        .size:           2
        .value_kind:     hidden_group_size_x
      - .offset:         94
        .size:           2
        .value_kind:     hidden_group_size_y
      - .offset:         96
        .size:           2
        .value_kind:     hidden_group_size_z
      - .offset:         98
        .size:           2
        .value_kind:     hidden_remainder_x
      - .offset:         100
        .size:           2
        .value_kind:     hidden_remainder_y
      - .offset:         102
        .size:           2
        .value_kind:     hidden_remainder_z
      - .offset:         120
        .size:           8
        .value_kind:     hidden_global_offset_x
      - .offset:         128
        .size:           8
        .value_kind:     hidden_global_offset_y
      - .offset:         136
        .size:           8
        .value_kind:     hidden_global_offset_z
      - .offset:         144
        .size:           2
        .value_kind:     hidden_grid_dims
    .group_segment_fixed_size: 0
    .kernarg_segment_align: 8
    .kernarg_segment_size: 336
    .language:       OpenCL C
    .language_version:
      - 2
      - 0
    .max_flat_workgroup_size: 64
    .name:           _ZL36rocblas_hemvn_kernel_upper_block_sumILi64EifPffEviT1_lS1_lT2_lT0_lPT3_i
    .private_segment_fixed_size: 0
    .sgpr_count:     22
    .sgpr_spill_count: 0
    .symbol:         _ZL36rocblas_hemvn_kernel_upper_block_sumILi64EifPffEviT1_lS1_lT2_lT0_lPT3_i.kd
    .uniform_work_group_size: 1
    .uses_dynamic_stack: false
    .vgpr_count:     6
    .vgpr_spill_count: 0
    .wavefront_size: 32
    .workgroup_processor_mode: 1
  - .args:
      - .offset:         0
        .size:           1
        .value_kind:     by_value
      - .offset:         4
        .size:           4
        .value_kind:     by_value
      - .offset:         8
        .size:           8
        .value_kind:     by_value
      - .offset:         16
        .size:           8
        .value_kind:     by_value
      - .address_space:  global
        .offset:         24
        .size:           8
        .value_kind:     global_buffer
      - .offset:         32
        .size:           8
        .value_kind:     by_value
      - .offset:         40
        .size:           8
        .value_kind:     by_value
      - .offset:         48
        .size:           8
        .value_kind:     by_value
      - .address_space:  global
        .offset:         56
        .size:           8
        .value_kind:     global_buffer
      - .offset:         64
        .size:           8
        .value_kind:     by_value
      - .offset:         72
        .size:           8
        .value_kind:     by_value
      - .offset:         80
        .size:           8
        .value_kind:     by_value
      - .offset:         88
        .size:           8
        .value_kind:     by_value
      - .offset:         96
        .size:           8
        .value_kind:     by_value
      - .address_space:  global
        .offset:         104
        .size:           8
        .value_kind:     global_buffer
      - .offset:         112
        .size:           8
        .value_kind:     by_value
      - .offset:         120
        .size:           8
        .value_kind:     by_value
      - .offset:         128
        .size:           8
        .value_kind:     by_value
      - .offset:         136
        .size:           4
        .value_kind:     by_value
    .group_segment_fixed_size: 5248
    .kernarg_segment_align: 8
    .kernarg_segment_size: 140
    .language:       OpenCL C
    .language_version:
      - 2
      - 0
    .max_flat_workgroup_size: 128
    .name:           _ZL50rocblas_symv_kernel_lower_double_buffered_diagonalILi32ELi4E24rocblas_internal_val_ptrIfEPKfPfEvbiT1_lT2_lllS6_lllS5_lT3_llli
    .private_segment_fixed_size: 0
    .sgpr_count:     34
    .sgpr_spill_count: 0
    .symbol:         _ZL50rocblas_symv_kernel_lower_double_buffered_diagonalILi32ELi4E24rocblas_internal_val_ptrIfEPKfPfEvbiT1_lT2_lllS6_lllS5_lT3_llli.kd
    .uniform_work_group_size: 1
    .uses_dynamic_stack: false
    .vgpr_count:     22
    .vgpr_spill_count: 0
    .wavefront_size: 32
    .workgroup_processor_mode: 1
  - .args:
      - .offset:         0
        .size:           1
        .value_kind:     by_value
      - .offset:         4
        .size:           4
        .value_kind:     by_value
      - .offset:         8
        .size:           8
        .value_kind:     by_value
      - .offset:         16
        .size:           8
        .value_kind:     by_value
      - .address_space:  global
        .offset:         24
        .size:           8
        .value_kind:     global_buffer
      - .offset:         32
        .size:           8
        .value_kind:     by_value
      - .offset:         40
        .size:           8
        .value_kind:     by_value
      - .offset:         48
        .size:           8
        .value_kind:     by_value
      - .address_space:  global
        .offset:         56
        .size:           8
        .value_kind:     global_buffer
      - .offset:         64
        .size:           8
        .value_kind:     by_value
      - .offset:         72
        .size:           8
        .value_kind:     by_value
      - .offset:         80
        .size:           8
        .value_kind:     by_value
      - .address_space:  global
        .offset:         88
        .size:           8
        .value_kind:     global_buffer
      - .offset:         96
        .size:           8
        .value_kind:     by_value
      - .offset:         104
        .size:           8
        .value_kind:     by_value
      - .offset:         112
        .size:           8
        .value_kind:     by_value
      - .offset:         120
        .size:           4
        .value_kind:     by_value
      - .offset:         128
        .size:           4
        .value_kind:     hidden_block_count_x
      - .offset:         132
        .size:           4
        .value_kind:     hidden_block_count_y
      - .offset:         136
        .size:           4
        .value_kind:     hidden_block_count_z
      - .offset:         140
        .size:           2
        .value_kind:     hidden_group_size_x
      - .offset:         142
        .size:           2
        .value_kind:     hidden_group_size_y
      - .offset:         144
        .size:           2
        .value_kind:     hidden_group_size_z
      - .offset:         146
        .size:           2
        .value_kind:     hidden_remainder_x
      - .offset:         148
        .size:           2
        .value_kind:     hidden_remainder_y
      - .offset:         150
        .size:           2
        .value_kind:     hidden_remainder_z
      - .offset:         168
        .size:           8
        .value_kind:     hidden_global_offset_x
      - .offset:         176
        .size:           8
        .value_kind:     hidden_global_offset_y
      - .offset:         184
        .size:           8
        .value_kind:     hidden_global_offset_z
      - .offset:         192
        .size:           2
        .value_kind:     hidden_grid_dims
    .group_segment_fixed_size: 3200
    .kernarg_segment_align: 8
    .kernarg_segment_size: 384
    .language:       OpenCL C
    .language_version:
      - 2
      - 0
    .max_flat_workgroup_size: 128
    .name:           _ZL54rocblas_symv_kernel_lower_double_buffered_non_diagonalILi32ELi4ELi4E24rocblas_internal_val_ptrIfEPKfPfEvbiT2_lT3_lllS6_lllT4_llli
    .private_segment_fixed_size: 0
    .sgpr_count:     34
    .sgpr_spill_count: 0
    .symbol:         _ZL54rocblas_symv_kernel_lower_double_buffered_non_diagonalILi32ELi4ELi4E24rocblas_internal_val_ptrIfEPKfPfEvbiT2_lT3_lllS6_lllT4_llli.kd
    .uniform_work_group_size: 1
    .uses_dynamic_stack: false
    .vgpr_count:     47
    .vgpr_spill_count: 0
    .wavefront_size: 32
    .workgroup_processor_mode: 1
  - .args:
      - .offset:         0
        .size:           1
        .value_kind:     by_value
      - .offset:         4
        .size:           4
        .value_kind:     by_value
      - .offset:         8
        .size:           8
        .value_kind:     by_value
      - .offset:         16
        .size:           8
        .value_kind:     by_value
      - .address_space:  global
        .offset:         24
        .size:           8
        .value_kind:     global_buffer
      - .offset:         32
        .size:           8
        .value_kind:     by_value
      - .offset:         40
        .size:           8
        .value_kind:     by_value
      - .offset:         48
        .size:           8
        .value_kind:     by_value
      - .address_space:  global
        .offset:         56
        .size:           8
        .value_kind:     global_buffer
      - .offset:         64
        .size:           8
        .value_kind:     by_value
      - .offset:         72
        .size:           8
        .value_kind:     by_value
      - .offset:         80
        .size:           8
        .value_kind:     by_value
      - .offset:         88
        .size:           8
        .value_kind:     by_value
      - .offset:         96
        .size:           8
        .value_kind:     by_value
      - .address_space:  global
        .offset:         104
        .size:           8
        .value_kind:     global_buffer
      - .offset:         112
        .size:           8
        .value_kind:     by_value
      - .offset:         120
        .size:           8
        .value_kind:     by_value
      - .offset:         128
        .size:           8
        .value_kind:     by_value
      - .offset:         136
        .size:           4
        .value_kind:     by_value
      - .offset:         140
        .size:           4
        .value_kind:     by_value
      - .offset:         144
        .size:           4
        .value_kind:     hidden_block_count_x
      - .offset:         148
        .size:           4
        .value_kind:     hidden_block_count_y
      - .offset:         152
        .size:           4
        .value_kind:     hidden_block_count_z
      - .offset:         156
        .size:           2
        .value_kind:     hidden_group_size_x
      - .offset:         158
        .size:           2
        .value_kind:     hidden_group_size_y
      - .offset:         160
        .size:           2
        .value_kind:     hidden_group_size_z
      - .offset:         162
        .size:           2
        .value_kind:     hidden_remainder_x
      - .offset:         164
        .size:           2
        .value_kind:     hidden_remainder_y
      - .offset:         166
        .size:           2
        .value_kind:     hidden_remainder_z
      - .offset:         184
        .size:           8
        .value_kind:     hidden_global_offset_x
      - .offset:         192
        .size:           8
        .value_kind:     hidden_global_offset_y
      - .offset:         200
        .size:           8
        .value_kind:     hidden_global_offset_z
      - .offset:         208
        .size:           2
        .value_kind:     hidden_grid_dims
    .group_segment_fixed_size: 5248
    .kernarg_segment_align: 8
    .kernarg_segment_size: 400
    .language:       OpenCL C
    .language_version:
      - 2
      - 0
    .max_flat_workgroup_size: 128
    .name:           _ZL58rocblas_symv_kernel_lower_double_buffered_diagonal_genericILi32ELi4E24rocblas_internal_val_ptrIfEPKfPfEvbiT1_lT2_lllS6_lllS5_lT3_lllii
    .private_segment_fixed_size: 0
    .sgpr_count:     37
    .sgpr_spill_count: 0
    .symbol:         _ZL58rocblas_symv_kernel_lower_double_buffered_diagonal_genericILi32ELi4E24rocblas_internal_val_ptrIfEPKfPfEvbiT1_lT2_lllS6_lllS5_lT3_lllii.kd
    .uniform_work_group_size: 1
    .uses_dynamic_stack: false
    .vgpr_count:     25
    .vgpr_spill_count: 0
    .wavefront_size: 32
    .workgroup_processor_mode: 1
  - .args:
      - .offset:         0
        .size:           1
        .value_kind:     by_value
      - .offset:         4
        .size:           4
        .value_kind:     by_value
      - .offset:         8
        .size:           8
        .value_kind:     by_value
      - .offset:         16
        .size:           8
        .value_kind:     by_value
      - .address_space:  global
        .offset:         24
        .size:           8
        .value_kind:     global_buffer
      - .offset:         32
        .size:           8
        .value_kind:     by_value
      - .offset:         40
        .size:           8
        .value_kind:     by_value
      - .offset:         48
        .size:           8
        .value_kind:     by_value
      - .address_space:  global
        .offset:         56
        .size:           8
        .value_kind:     global_buffer
      - .offset:         64
        .size:           8
        .value_kind:     by_value
      - .offset:         72
        .size:           8
        .value_kind:     by_value
      - .offset:         80
        .size:           8
        .value_kind:     by_value
      - .address_space:  global
        .offset:         88
        .size:           8
        .value_kind:     global_buffer
      - .offset:         96
        .size:           8
        .value_kind:     by_value
      - .offset:         104
        .size:           8
        .value_kind:     by_value
      - .offset:         112
        .size:           8
        .value_kind:     by_value
      - .offset:         120
        .size:           4
        .value_kind:     by_value
      - .offset:         124
        .size:           4
        .value_kind:     by_value
      - .offset:         128
        .size:           4
        .value_kind:     hidden_block_count_x
      - .offset:         132
        .size:           4
        .value_kind:     hidden_block_count_y
      - .offset:         136
        .size:           4
        .value_kind:     hidden_block_count_z
      - .offset:         140
        .size:           2
        .value_kind:     hidden_group_size_x
      - .offset:         142
        .size:           2
        .value_kind:     hidden_group_size_y
      - .offset:         144
        .size:           2
        .value_kind:     hidden_group_size_z
      - .offset:         146
        .size:           2
        .value_kind:     hidden_remainder_x
      - .offset:         148
        .size:           2
        .value_kind:     hidden_remainder_y
      - .offset:         150
        .size:           2
        .value_kind:     hidden_remainder_z
      - .offset:         168
        .size:           8
        .value_kind:     hidden_global_offset_x
      - .offset:         176
        .size:           8
        .value_kind:     hidden_global_offset_y
      - .offset:         184
        .size:           8
        .value_kind:     hidden_global_offset_z
      - .offset:         192
        .size:           2
        .value_kind:     hidden_grid_dims
    .group_segment_fixed_size: 3200
    .kernarg_segment_align: 8
    .kernarg_segment_size: 384
    .language:       OpenCL C
    .language_version:
      - 2
      - 0
    .max_flat_workgroup_size: 128
    .name:           _ZL62rocblas_symv_kernel_lower_double_buffered_non_diagonal_genericILi32ELi4ELi4E24rocblas_internal_val_ptrIfEPKfPfEvbiT2_lT3_lllS6_lllT4_lllii
    .private_segment_fixed_size: 0
    .sgpr_count:     34
    .sgpr_spill_count: 0
    .symbol:         _ZL62rocblas_symv_kernel_lower_double_buffered_non_diagonal_genericILi32ELi4ELi4E24rocblas_internal_val_ptrIfEPKfPfEvbiT2_lT3_lllS6_lllT4_lllii.kd
    .uniform_work_group_size: 1
    .uses_dynamic_stack: false
    .vgpr_count:     52
    .vgpr_spill_count: 0
    .wavefront_size: 32
    .workgroup_processor_mode: 1
  - .args:
      - .offset:         0
        .size:           4
        .value_kind:     by_value
      - .address_space:  global
        .offset:         8
        .size:           8
        .value_kind:     global_buffer
      - .offset:         16
        .size:           8
        .value_kind:     by_value
      - .address_space:  global
        .offset:         24
        .size:           8
        .value_kind:     global_buffer
      - .offset:         32
        .size:           8
        .value_kind:     by_value
      - .offset:         40
        .size:           8
        .value_kind:     by_value
      - .offset:         48
        .size:           8
        .value_kind:     by_value
      - .address_space:  global
        .offset:         56
        .size:           8
        .value_kind:     global_buffer
      - .offset:         64
        .size:           8
        .value_kind:     by_value
      - .offset:         72
        .size:           8
        .value_kind:     by_value
      - .offset:         80
        .size:           8
        .value_kind:     by_value
      - .address_space:  global
        .offset:         88
        .size:           8
        .value_kind:     global_buffer
      - .offset:         96
        .size:           8
        .value_kind:     by_value
      - .address_space:  global
        .offset:         104
        .size:           8
        .value_kind:     global_buffer
      - .offset:         112
        .size:           4
        .value_kind:     by_value
      - .offset:         120
        .size:           4
        .value_kind:     hidden_block_count_x
      - .offset:         124
        .size:           4
        .value_kind:     hidden_block_count_y
      - .offset:         128
        .size:           4
        .value_kind:     hidden_block_count_z
      - .offset:         132
        .size:           2
        .value_kind:     hidden_group_size_x
      - .offset:         134
        .size:           2
        .value_kind:     hidden_group_size_y
      - .offset:         136
        .size:           2
        .value_kind:     hidden_group_size_z
      - .offset:         138
        .size:           2
        .value_kind:     hidden_remainder_x
      - .offset:         140
        .size:           2
        .value_kind:     hidden_remainder_y
      - .offset:         142
        .size:           2
        .value_kind:     hidden_remainder_z
      - .offset:         160
        .size:           8
        .value_kind:     hidden_global_offset_x
      - .offset:         168
        .size:           8
        .value_kind:     hidden_global_offset_y
      - .offset:         176
        .size:           8
        .value_kind:     hidden_global_offset_z
      - .offset:         184
        .size:           2
        .value_kind:     hidden_grid_dims
    .group_segment_fixed_size: 4800
    .kernarg_segment_align: 8
    .kernarg_segment_size: 376
    .language:       OpenCL C
    .language_version:
      - 2
      - 0
    .max_flat_workgroup_size: 256
    .name:           _ZL26rocblas_hemvn_kernel_lowerILb0ELi64ELi4ELi33ELi32ELi16ElPKfS1_PfEviT6_lT7_lT5_lS4_lS5_lS3_lT8_i
    .private_segment_fixed_size: 0
    .sgpr_count:     48
    .sgpr_spill_count: 0
    .symbol:         _ZL26rocblas_hemvn_kernel_lowerILb0ELi64ELi4ELi33ELi32ELi16ElPKfS1_PfEviT6_lT7_lT5_lS4_lS5_lS3_lT8_i.kd
    .uniform_work_group_size: 1
    .uses_dynamic_stack: false
    .vgpr_count:     68
    .vgpr_spill_count: 0
    .wavefront_size: 32
    .workgroup_processor_mode: 1
  - .args:
      - .offset:         0
        .size:           4
        .value_kind:     by_value
      - .address_space:  global
        .offset:         8
        .size:           8
        .value_kind:     global_buffer
      - .offset:         16
        .size:           8
        .value_kind:     by_value
      - .address_space:  global
        .offset:         24
        .size:           8
        .value_kind:     global_buffer
      - .offset:         32
        .size:           8
        .value_kind:     by_value
      - .address_space:  global
        .offset:         40
        .size:           8
        .value_kind:     global_buffer
      - .offset:         48
        .size:           8
        .value_kind:     by_value
      - .offset:         56
        .size:           8
        .value_kind:     by_value
      - .offset:         64
        .size:           8
        .value_kind:     by_value
      - .actual_access:  read_only
        .address_space:  global
        .offset:         72
        .size:           8
        .value_kind:     global_buffer
      - .offset:         80
        .size:           4
        .value_kind:     by_value
      - .offset:         88
        .size:           4
        .value_kind:     hidden_block_count_x
      - .offset:         92
        .size:           4
        .value_kind:     hidden_block_count_y
      - .offset:         96
        .size:           4
        .value_kind:     hidden_block_count_z
      - .offset:         100
        .size:           2
        .value_kind:     hidden_group_size_x
      - .offset:         102
        .size:           2
        .value_kind:     hidden_group_size_y
      - .offset:         104
        .size:           2
        .value_kind:     hidden_group_size_z
      - .offset:         106
        .size:           2
        .value_kind:     hidden_remainder_x
      - .offset:         108
        .size:           2
        .value_kind:     hidden_remainder_y
      - .offset:         110
        .size:           2
        .value_kind:     hidden_remainder_z
      - .offset:         128
        .size:           8
        .value_kind:     hidden_global_offset_x
      - .offset:         136
        .size:           8
        .value_kind:     hidden_global_offset_y
      - .offset:         144
        .size:           8
        .value_kind:     hidden_global_offset_z
      - .offset:         152
        .size:           2
        .value_kind:     hidden_grid_dims
    .group_segment_fixed_size: 0
    .kernarg_segment_align: 8
    .kernarg_segment_size: 344
    .language:       OpenCL C
    .language_version:
      - 2
      - 0
    .max_flat_workgroup_size: 64
    .name:           _ZL36rocblas_hemvn_kernel_lower_block_sumILi64ElPKfPffEviT1_lS3_lT2_lT0_lPT3_i
    .private_segment_fixed_size: 0
    .sgpr_count:     20
    .sgpr_spill_count: 0
    .symbol:         _ZL36rocblas_hemvn_kernel_lower_block_sumILi64ElPKfPffEviT1_lS3_lT2_lT0_lPT3_i.kd
    .uniform_work_group_size: 1
    .uses_dynamic_stack: false
    .vgpr_count:     7
    .vgpr_spill_count: 0
    .wavefront_size: 32
    .workgroup_processor_mode: 1
  - .args:
      - .offset:         0
        .size:           4
        .value_kind:     by_value
      - .address_space:  global
        .offset:         8
        .size:           8
        .value_kind:     global_buffer
      - .offset:         16
        .size:           8
        .value_kind:     by_value
      - .address_space:  global
        .offset:         24
        .size:           8
        .value_kind:     global_buffer
      - .offset:         32
        .size:           8
        .value_kind:     by_value
      - .offset:         40
        .size:           4
        .value_kind:     by_value
      - .offset:         48
        .size:           8
        .value_kind:     by_value
      - .address_space:  global
        .offset:         56
        .size:           8
        .value_kind:     global_buffer
      - .offset:         64
        .size:           8
        .value_kind:     by_value
      - .offset:         72
        .size:           4
        .value_kind:     by_value
      - .offset:         80
        .size:           8
        .value_kind:     by_value
      - .address_space:  global
        .offset:         88
        .size:           8
        .value_kind:     global_buffer
      - .offset:         96
        .size:           8
        .value_kind:     by_value
      - .address_space:  global
        .offset:         104
        .size:           8
        .value_kind:     global_buffer
      - .offset:         112
        .size:           4
        .value_kind:     by_value
      - .offset:         120
        .size:           4
        .value_kind:     hidden_block_count_x
      - .offset:         124
        .size:           4
        .value_kind:     hidden_block_count_y
      - .offset:         128
        .size:           4
        .value_kind:     hidden_block_count_z
      - .offset:         132
        .size:           2
        .value_kind:     hidden_group_size_x
      - .offset:         134
        .size:           2
        .value_kind:     hidden_group_size_y
      - .offset:         136
        .size:           2
        .value_kind:     hidden_group_size_z
      - .offset:         138
        .size:           2
        .value_kind:     hidden_remainder_x
      - .offset:         140
        .size:           2
        .value_kind:     hidden_remainder_y
      - .offset:         142
        .size:           2
        .value_kind:     hidden_remainder_z
      - .offset:         160
        .size:           8
        .value_kind:     hidden_global_offset_x
      - .offset:         168
        .size:           8
        .value_kind:     hidden_global_offset_y
      - .offset:         176
        .size:           8
        .value_kind:     hidden_global_offset_z
      - .offset:         184
        .size:           2
        .value_kind:     hidden_grid_dims
    .group_segment_fixed_size: 4800
    .kernarg_segment_align: 8
    .kernarg_segment_size: 376
    .language:       OpenCL C
    .language_version:
      - 2
      - 0
    .max_flat_workgroup_size: 256
    .name:           _ZL26rocblas_hemvn_kernel_lowerILb0ELi64ELi4ELi33ELi32ELi16EiPKfS1_PfEviT6_lT7_lT5_lS4_lS5_lS3_lT8_i
    .private_segment_fixed_size: 0
    .sgpr_count:     48
    .sgpr_spill_count: 0
    .symbol:         _ZL26rocblas_hemvn_kernel_lowerILb0ELi64ELi4ELi33ELi32ELi16EiPKfS1_PfEviT6_lT7_lT5_lS4_lS5_lS3_lT8_i.kd
    .uniform_work_group_size: 1
    .uses_dynamic_stack: false
    .vgpr_count:     66
    .vgpr_spill_count: 0
    .wavefront_size: 32
    .workgroup_processor_mode: 1
  - .args:
      - .offset:         0
        .size:           4
        .value_kind:     by_value
      - .address_space:  global
        .offset:         8
        .size:           8
        .value_kind:     global_buffer
      - .offset:         16
        .size:           8
        .value_kind:     by_value
      - .address_space:  global
        .offset:         24
        .size:           8
        .value_kind:     global_buffer
      - .offset:         32
        .size:           8
        .value_kind:     by_value
      - .address_space:  global
        .offset:         40
        .size:           8
        .value_kind:     global_buffer
      - .offset:         48
        .size:           8
        .value_kind:     by_value
      - .offset:         56
        .size:           4
        .value_kind:     by_value
      - .offset:         64
        .size:           8
        .value_kind:     by_value
      - .actual_access:  read_only
        .address_space:  global
        .offset:         72
        .size:           8
        .value_kind:     global_buffer
      - .offset:         80
        .size:           4
        .value_kind:     by_value
      - .offset:         88
        .size:           4
        .value_kind:     hidden_block_count_x
      - .offset:         92
        .size:           4
        .value_kind:     hidden_block_count_y
      - .offset:         96
        .size:           4
        .value_kind:     hidden_block_count_z
      - .offset:         100
        .size:           2
        .value_kind:     hidden_group_size_x
      - .offset:         102
        .size:           2
        .value_kind:     hidden_group_size_y
      - .offset:         104
        .size:           2
        .value_kind:     hidden_group_size_z
      - .offset:         106
        .size:           2
        .value_kind:     hidden_remainder_x
      - .offset:         108
        .size:           2
        .value_kind:     hidden_remainder_y
      - .offset:         110
        .size:           2
        .value_kind:     hidden_remainder_z
      - .offset:         128
        .size:           8
        .value_kind:     hidden_global_offset_x
      - .offset:         136
        .size:           8
        .value_kind:     hidden_global_offset_y
      - .offset:         144
        .size:           8
        .value_kind:     hidden_global_offset_z
      - .offset:         152
        .size:           2
        .value_kind:     hidden_grid_dims
    .group_segment_fixed_size: 0
    .kernarg_segment_align: 8
    .kernarg_segment_size: 344
    .language:       OpenCL C
    .language_version:
      - 2
      - 0
    .max_flat_workgroup_size: 64
    .name:           _ZL36rocblas_hemvn_kernel_lower_block_sumILi64EiPKfPffEviT1_lS3_lT2_lT0_lPT3_i
    .private_segment_fixed_size: 0
    .sgpr_count:     22
    .sgpr_spill_count: 0
    .symbol:         _ZL36rocblas_hemvn_kernel_lower_block_sumILi64EiPKfPffEviT1_lS3_lT2_lT0_lPT3_i.kd
    .uniform_work_group_size: 1
    .uses_dynamic_stack: false
    .vgpr_count:     7
    .vgpr_spill_count: 0
    .wavefront_size: 32
    .workgroup_processor_mode: 1
  - .args:
      - .offset:         0
        .size:           4
        .value_kind:     by_value
      - .offset:         4
        .size:           4
        .value_kind:     by_value
      - .offset:         8
        .size:           8
        .value_kind:     by_value
      - .address_space:  global
        .offset:         16
        .size:           8
        .value_kind:     global_buffer
      - .offset:         24
        .size:           8
        .value_kind:     by_value
      - .offset:         32
        .size:           8
        .value_kind:     by_value
      - .offset:         40
        .size:           8
        .value_kind:     by_value
      - .address_space:  global
        .offset:         48
        .size:           8
        .value_kind:     global_buffer
      - .offset:         56
        .size:           8
        .value_kind:     by_value
      - .offset:         64
        .size:           8
        .value_kind:     by_value
      - .offset:         72
        .size:           8
        .value_kind:     by_value
      - .offset:         80
        .size:           4
        .value_kind:     by_value
      - .offset:         88
        .size:           8
        .value_kind:     by_value
      - .address_space:  global
        .offset:         96
        .size:           8
        .value_kind:     global_buffer
      - .offset:         104
        .size:           4
        .value_kind:     by_value
      - .offset:         112
        .size:           4
        .value_kind:     hidden_block_count_x
      - .offset:         116
        .size:           4
        .value_kind:     hidden_block_count_y
      - .offset:         120
        .size:           4
        .value_kind:     hidden_block_count_z
      - .offset:         124
        .size:           2
        .value_kind:     hidden_group_size_x
      - .offset:         126
        .size:           2
        .value_kind:     hidden_group_size_y
      - .offset:         128
        .size:           2
        .value_kind:     hidden_group_size_z
      - .offset:         130
        .size:           2
        .value_kind:     hidden_remainder_x
      - .offset:         132
        .size:           2
        .value_kind:     hidden_remainder_y
      - .offset:         134
        .size:           2
        .value_kind:     hidden_remainder_z
      - .offset:         152
        .size:           8
        .value_kind:     hidden_global_offset_x
      - .offset:         160
        .size:           8
        .value_kind:     hidden_global_offset_y
      - .offset:         168
        .size:           8
        .value_kind:     hidden_global_offset_z
      - .offset:         176
        .size:           2
        .value_kind:     hidden_grid_dims
    .group_segment_fixed_size: 4800
    .kernarg_segment_align: 8
    .kernarg_segment_size: 368
    .language:       OpenCL C
    .language_version:
      - 2
      - 0
    .max_flat_workgroup_size: 256
    .name:           _ZL26rocblas_hemvn_kernel_lowerILb0ELi64ELi4ELi33ELi32ELi16ElfPKfPfEviT6_lT7_lT5_lS4_lS5_lS3_lT8_i
    .private_segment_fixed_size: 0
    .sgpr_count:     48
    .sgpr_spill_count: 0
    .symbol:         _ZL26rocblas_hemvn_kernel_lowerILb0ELi64ELi4ELi33ELi32ELi16ElfPKfPfEviT6_lT7_lT5_lS4_lS5_lS3_lT8_i.kd
    .uniform_work_group_size: 1
    .uses_dynamic_stack: false
    .vgpr_count:     68
    .vgpr_spill_count: 0
    .wavefront_size: 32
    .workgroup_processor_mode: 1
  - .args:
      - .offset:         0
        .size:           4
        .value_kind:     by_value
      - .offset:         4
        .size:           4
        .value_kind:     by_value
      - .offset:         8
        .size:           8
        .value_kind:     by_value
      - .offset:         16
        .size:           4
        .value_kind:     by_value
      - .offset:         24
        .size:           8
        .value_kind:     by_value
      - .address_space:  global
        .offset:         32
        .size:           8
        .value_kind:     global_buffer
      - .offset:         40
        .size:           8
        .value_kind:     by_value
      - .offset:         48
        .size:           8
        .value_kind:     by_value
      - .offset:         56
        .size:           8
        .value_kind:     by_value
      - .actual_access:  read_only
        .address_space:  global
        .offset:         64
        .size:           8
        .value_kind:     global_buffer
      - .offset:         72
        .size:           4
        .value_kind:     by_value
      - .offset:         80
        .size:           4
        .value_kind:     hidden_block_count_x
      - .offset:         84
        .size:           4
        .value_kind:     hidden_block_count_y
      - .offset:         88
        .size:           4
        .value_kind:     hidden_block_count_z
      - .offset:         92
        .size:           2
        .value_kind:     hidden_group_size_x
      - .offset:         94
        .size:           2
        .value_kind:     hidden_group_size_y
      - .offset:         96
        .size:           2
        .value_kind:     hidden_group_size_z
      - .offset:         98
        .size:           2
        .value_kind:     hidden_remainder_x
      - .offset:         100
        .size:           2
        .value_kind:     hidden_remainder_y
      - .offset:         102
        .size:           2
        .value_kind:     hidden_remainder_z
      - .offset:         120
        .size:           8
        .value_kind:     hidden_global_offset_x
      - .offset:         128
        .size:           8
        .value_kind:     hidden_global_offset_y
      - .offset:         136
        .size:           8
        .value_kind:     hidden_global_offset_z
      - .offset:         144
        .size:           2
        .value_kind:     hidden_grid_dims
    .group_segment_fixed_size: 0
    .kernarg_segment_align: 8
    .kernarg_segment_size: 336
    .language:       OpenCL C
    .language_version:
      - 2
      - 0
    .max_flat_workgroup_size: 64
    .name:           _ZL36rocblas_hemvn_kernel_lower_block_sumILi64ElfPffEviT1_lS1_lT2_lT0_lPT3_i
    .private_segment_fixed_size: 0
    .sgpr_count:     20
    .sgpr_spill_count: 0
    .symbol:         _ZL36rocblas_hemvn_kernel_lower_block_sumILi64ElfPffEviT1_lS1_lT2_lT0_lPT3_i.kd
    .uniform_work_group_size: 1
    .uses_dynamic_stack: false
    .vgpr_count:     7
    .vgpr_spill_count: 0
    .wavefront_size: 32
    .workgroup_processor_mode: 1
  - .args:
      - .offset:         0
        .size:           4
        .value_kind:     by_value
      - .offset:         4
        .size:           4
        .value_kind:     by_value
      - .offset:         8
        .size:           8
        .value_kind:     by_value
      - .address_space:  global
        .offset:         16
        .size:           8
        .value_kind:     global_buffer
      - .offset:         24
        .size:           8
        .value_kind:     by_value
      - .offset:         32
        .size:           4
        .value_kind:     by_value
      - .offset:         40
        .size:           8
        .value_kind:     by_value
      - .address_space:  global
        .offset:         48
        .size:           8
        .value_kind:     global_buffer
      - .offset:         56
        .size:           8
        .value_kind:     by_value
      - .offset:         64
        .size:           4
        .value_kind:     by_value
      - .offset:         72
        .size:           8
        .value_kind:     by_value
      - .offset:         80
        .size:           4
        .value_kind:     by_value
      - .offset:         88
        .size:           8
        .value_kind:     by_value
      - .address_space:  global
        .offset:         96
        .size:           8
        .value_kind:     global_buffer
      - .offset:         104
        .size:           4
        .value_kind:     by_value
      - .offset:         112
        .size:           4
        .value_kind:     hidden_block_count_x
      - .offset:         116
        .size:           4
        .value_kind:     hidden_block_count_y
      - .offset:         120
        .size:           4
        .value_kind:     hidden_block_count_z
      - .offset:         124
        .size:           2
        .value_kind:     hidden_group_size_x
      - .offset:         126
        .size:           2
        .value_kind:     hidden_group_size_y
      - .offset:         128
        .size:           2
        .value_kind:     hidden_group_size_z
      - .offset:         130
        .size:           2
        .value_kind:     hidden_remainder_x
      - .offset:         132
        .size:           2
        .value_kind:     hidden_remainder_y
      - .offset:         134
        .size:           2
        .value_kind:     hidden_remainder_z
      - .offset:         152
        .size:           8
        .value_kind:     hidden_global_offset_x
      - .offset:         160
        .size:           8
        .value_kind:     hidden_global_offset_y
      - .offset:         168
        .size:           8
        .value_kind:     hidden_global_offset_z
      - .offset:         176
        .size:           2
        .value_kind:     hidden_grid_dims
    .group_segment_fixed_size: 4800
    .kernarg_segment_align: 8
    .kernarg_segment_size: 368
    .language:       OpenCL C
    .language_version:
      - 2
      - 0
    .max_flat_workgroup_size: 256
    .name:           _ZL26rocblas_hemvn_kernel_lowerILb0ELi64ELi4ELi33ELi32ELi16EifPKfPfEviT6_lT7_lT5_lS4_lS5_lS3_lT8_i
    .private_segment_fixed_size: 0
    .sgpr_count:     48
    .sgpr_spill_count: 0
    .symbol:         _ZL26rocblas_hemvn_kernel_lowerILb0ELi64ELi4ELi33ELi32ELi16EifPKfPfEviT6_lT7_lT5_lS4_lS5_lS3_lT8_i.kd
    .uniform_work_group_size: 1
    .uses_dynamic_stack: false
    .vgpr_count:     66
    .vgpr_spill_count: 0
    .wavefront_size: 32
    .workgroup_processor_mode: 1
  - .args:
      - .offset:         0
        .size:           4
        .value_kind:     by_value
      - .offset:         4
        .size:           4
        .value_kind:     by_value
      - .offset:         8
        .size:           8
        .value_kind:     by_value
      - .offset:         16
        .size:           4
        .value_kind:     by_value
      - .offset:         24
        .size:           8
        .value_kind:     by_value
      - .address_space:  global
        .offset:         32
        .size:           8
        .value_kind:     global_buffer
      - .offset:         40
        .size:           8
        .value_kind:     by_value
      - .offset:         48
        .size:           4
        .value_kind:     by_value
      - .offset:         56
        .size:           8
        .value_kind:     by_value
      - .actual_access:  read_only
        .address_space:  global
        .offset:         64
        .size:           8
        .value_kind:     global_buffer
      - .offset:         72
        .size:           4
        .value_kind:     by_value
      - .offset:         80
        .size:           4
        .value_kind:     hidden_block_count_x
      - .offset:         84
        .size:           4
        .value_kind:     hidden_block_count_y
      - .offset:         88
        .size:           4
        .value_kind:     hidden_block_count_z
      - .offset:         92
        .size:           2
        .value_kind:     hidden_group_size_x
      - .offset:         94
        .size:           2
        .value_kind:     hidden_group_size_y
      - .offset:         96
        .size:           2
        .value_kind:     hidden_group_size_z
      - .offset:         98
        .size:           2
        .value_kind:     hidden_remainder_x
      - .offset:         100
        .size:           2
        .value_kind:     hidden_remainder_y
      - .offset:         102
        .size:           2
        .value_kind:     hidden_remainder_z
      - .offset:         120
        .size:           8
        .value_kind:     hidden_global_offset_x
      - .offset:         128
        .size:           8
        .value_kind:     hidden_global_offset_y
      - .offset:         136
        .size:           8
        .value_kind:     hidden_global_offset_z
      - .offset:         144
        .size:           2
        .value_kind:     hidden_grid_dims
    .group_segment_fixed_size: 0
    .kernarg_segment_align: 8
    .kernarg_segment_size: 336
    .language:       OpenCL C
    .language_version:
      - 2
      - 0
    .max_flat_workgroup_size: 64
    .name:           _ZL36rocblas_hemvn_kernel_lower_block_sumILi64EifPffEviT1_lS1_lT2_lT0_lPT3_i
    .private_segment_fixed_size: 0
    .sgpr_count:     22
    .sgpr_spill_count: 0
    .symbol:         _ZL36rocblas_hemvn_kernel_lower_block_sumILi64EifPffEviT1_lS1_lT2_lT0_lPT3_i.kd
    .uniform_work_group_size: 1
    .uses_dynamic_stack: false
    .vgpr_count:     7
    .vgpr_spill_count: 0
    .wavefront_size: 32
    .workgroup_processor_mode: 1
  - .args:
      - .offset:         0
        .size:           1
        .value_kind:     by_value
      - .offset:         4
        .size:           4
        .value_kind:     by_value
      - .offset:         8
        .size:           8
        .value_kind:     by_value
      - .offset:         16
        .size:           8
        .value_kind:     by_value
      - .address_space:  global
        .offset:         24
        .size:           8
        .value_kind:     global_buffer
      - .offset:         32
        .size:           8
        .value_kind:     by_value
      - .offset:         40
        .size:           8
        .value_kind:     by_value
      - .offset:         48
        .size:           8
        .value_kind:     by_value
      - .address_space:  global
        .offset:         56
        .size:           8
        .value_kind:     global_buffer
      - .offset:         64
        .size:           8
        .value_kind:     by_value
      - .offset:         72
        .size:           8
        .value_kind:     by_value
      - .offset:         80
        .size:           8
        .value_kind:     by_value
      - .offset:         88
        .size:           8
        .value_kind:     by_value
      - .offset:         96
        .size:           8
        .value_kind:     by_value
      - .address_space:  global
        .offset:         104
        .size:           8
        .value_kind:     global_buffer
      - .offset:         112
        .size:           8
        .value_kind:     by_value
      - .offset:         120
        .size:           8
        .value_kind:     by_value
      - .offset:         128
        .size:           8
        .value_kind:     by_value
      - .offset:         136
        .size:           4
        .value_kind:     by_value
    .group_segment_fixed_size: 10496
    .kernarg_segment_align: 8
    .kernarg_segment_size: 140
    .language:       OpenCL C
    .language_version:
      - 2
      - 0
    .max_flat_workgroup_size: 128
    .name:           _ZL50rocblas_symv_kernel_upper_double_buffered_diagonalILi32ELi4E24rocblas_internal_val_ptrIdEPKdPdEvbiT1_lT2_lllS6_lllS5_lT3_llli
    .private_segment_fixed_size: 0
    .sgpr_count:     34
    .sgpr_spill_count: 0
    .symbol:         _ZL50rocblas_symv_kernel_upper_double_buffered_diagonalILi32ELi4E24rocblas_internal_val_ptrIdEPKdPdEvbiT1_lT2_lllS6_lllS5_lT3_llli.kd
    .uniform_work_group_size: 1
    .uses_dynamic_stack: false
    .vgpr_count:     27
    .vgpr_spill_count: 0
    .wavefront_size: 32
    .workgroup_processor_mode: 1
  - .args:
      - .offset:         0
        .size:           1
        .value_kind:     by_value
      - .offset:         4
        .size:           4
        .value_kind:     by_value
      - .offset:         8
        .size:           8
        .value_kind:     by_value
      - .offset:         16
        .size:           8
        .value_kind:     by_value
      - .address_space:  global
        .offset:         24
        .size:           8
        .value_kind:     global_buffer
      - .offset:         32
        .size:           8
        .value_kind:     by_value
      - .offset:         40
        .size:           8
        .value_kind:     by_value
      - .offset:         48
        .size:           8
        .value_kind:     by_value
      - .address_space:  global
        .offset:         56
        .size:           8
        .value_kind:     global_buffer
      - .offset:         64
        .size:           8
        .value_kind:     by_value
      - .offset:         72
        .size:           8
        .value_kind:     by_value
      - .offset:         80
        .size:           8
        .value_kind:     by_value
      - .address_space:  global
        .offset:         88
        .size:           8
        .value_kind:     global_buffer
      - .offset:         96
        .size:           8
        .value_kind:     by_value
      - .offset:         104
        .size:           8
        .value_kind:     by_value
      - .offset:         112
        .size:           8
        .value_kind:     by_value
      - .offset:         120
        .size:           4
        .value_kind:     by_value
      - .offset:         128
        .size:           4
        .value_kind:     hidden_block_count_x
      - .offset:         132
        .size:           4
        .value_kind:     hidden_block_count_y
      - .offset:         136
        .size:           4
        .value_kind:     hidden_block_count_z
      - .offset:         140
        .size:           2
        .value_kind:     hidden_group_size_x
      - .offset:         142
        .size:           2
        .value_kind:     hidden_group_size_y
      - .offset:         144
        .size:           2
        .value_kind:     hidden_group_size_z
      - .offset:         146
        .size:           2
        .value_kind:     hidden_remainder_x
      - .offset:         148
        .size:           2
        .value_kind:     hidden_remainder_y
      - .offset:         150
        .size:           2
        .value_kind:     hidden_remainder_z
      - .offset:         168
        .size:           8
        .value_kind:     hidden_global_offset_x
      - .offset:         176
        .size:           8
        .value_kind:     hidden_global_offset_y
      - .offset:         184
        .size:           8
        .value_kind:     hidden_global_offset_z
      - .offset:         192
        .size:           2
        .value_kind:     hidden_grid_dims
    .group_segment_fixed_size: 6400
    .kernarg_segment_align: 8
    .kernarg_segment_size: 384
    .language:       OpenCL C
    .language_version:
      - 2
      - 0
    .max_flat_workgroup_size: 128
    .name:           _ZL54rocblas_symv_kernel_upper_double_buffered_non_diagonalILi32ELi4ELi4E24rocblas_internal_val_ptrIdEPKdPdEvbiT2_lT3_lllS6_lllT4_llli
    .private_segment_fixed_size: 0
    .sgpr_count:     34
    .sgpr_spill_count: 0
    .symbol:         _ZL54rocblas_symv_kernel_upper_double_buffered_non_diagonalILi32ELi4ELi4E24rocblas_internal_val_ptrIdEPKdPdEvbiT2_lT3_lllS6_lllT4_llli.kd
    .uniform_work_group_size: 1
    .uses_dynamic_stack: false
    .vgpr_count:     72
    .vgpr_spill_count: 0
    .wavefront_size: 32
    .workgroup_processor_mode: 1
  - .args:
      - .offset:         0
        .size:           1
        .value_kind:     by_value
      - .offset:         4
        .size:           4
        .value_kind:     by_value
      - .offset:         8
        .size:           8
        .value_kind:     by_value
      - .offset:         16
        .size:           8
        .value_kind:     by_value
      - .address_space:  global
        .offset:         24
        .size:           8
        .value_kind:     global_buffer
      - .offset:         32
        .size:           8
        .value_kind:     by_value
      - .offset:         40
        .size:           8
        .value_kind:     by_value
      - .offset:         48
        .size:           8
        .value_kind:     by_value
      - .address_space:  global
        .offset:         56
        .size:           8
        .value_kind:     global_buffer
      - .offset:         64
        .size:           8
        .value_kind:     by_value
      - .offset:         72
        .size:           8
        .value_kind:     by_value
      - .offset:         80
        .size:           8
        .value_kind:     by_value
      - .offset:         88
        .size:           8
        .value_kind:     by_value
      - .offset:         96
        .size:           8
        .value_kind:     by_value
      - .address_space:  global
        .offset:         104
        .size:           8
        .value_kind:     global_buffer
      - .offset:         112
        .size:           8
        .value_kind:     by_value
      - .offset:         120
        .size:           8
        .value_kind:     by_value
      - .offset:         128
        .size:           8
        .value_kind:     by_value
      - .offset:         136
        .size:           4
        .value_kind:     by_value
      - .offset:         140
        .size:           4
        .value_kind:     by_value
      - .offset:         144
        .size:           4
        .value_kind:     hidden_block_count_x
      - .offset:         148
        .size:           4
        .value_kind:     hidden_block_count_y
      - .offset:         152
        .size:           4
        .value_kind:     hidden_block_count_z
      - .offset:         156
        .size:           2
        .value_kind:     hidden_group_size_x
      - .offset:         158
        .size:           2
        .value_kind:     hidden_group_size_y
      - .offset:         160
        .size:           2
        .value_kind:     hidden_group_size_z
      - .offset:         162
        .size:           2
        .value_kind:     hidden_remainder_x
      - .offset:         164
        .size:           2
        .value_kind:     hidden_remainder_y
      - .offset:         166
        .size:           2
        .value_kind:     hidden_remainder_z
      - .offset:         184
        .size:           8
        .value_kind:     hidden_global_offset_x
      - .offset:         192
        .size:           8
        .value_kind:     hidden_global_offset_y
      - .offset:         200
        .size:           8
        .value_kind:     hidden_global_offset_z
      - .offset:         208
        .size:           2
        .value_kind:     hidden_grid_dims
    .group_segment_fixed_size: 12544
    .kernarg_segment_align: 8
    .kernarg_segment_size: 400
    .language:       OpenCL C
    .language_version:
      - 2
      - 0
    .max_flat_workgroup_size: 256
    .name:           _ZL58rocblas_symv_kernel_upper_double_buffered_diagonal_genericILi32ELi8E24rocblas_internal_val_ptrIdEPKdPdEvbiT1_lT2_lllS6_lllS5_lT3_lllii
    .private_segment_fixed_size: 0
    .sgpr_count:     39
    .sgpr_spill_count: 0
    .symbol:         _ZL58rocblas_symv_kernel_upper_double_buffered_diagonal_genericILi32ELi8E24rocblas_internal_val_ptrIdEPKdPdEvbiT1_lT2_lllS6_lllS5_lT3_lllii.kd
    .uniform_work_group_size: 1
    .uses_dynamic_stack: false
    .vgpr_count:     31
    .vgpr_spill_count: 0
    .wavefront_size: 32
    .workgroup_processor_mode: 1
  - .args:
      - .offset:         0
        .size:           1
        .value_kind:     by_value
      - .offset:         4
        .size:           4
        .value_kind:     by_value
      - .offset:         8
        .size:           8
        .value_kind:     by_value
      - .offset:         16
        .size:           8
        .value_kind:     by_value
      - .address_space:  global
        .offset:         24
        .size:           8
        .value_kind:     global_buffer
      - .offset:         32
        .size:           8
        .value_kind:     by_value
      - .offset:         40
        .size:           8
        .value_kind:     by_value
      - .offset:         48
        .size:           8
        .value_kind:     by_value
      - .address_space:  global
        .offset:         56
        .size:           8
        .value_kind:     global_buffer
      - .offset:         64
        .size:           8
        .value_kind:     by_value
      - .offset:         72
        .size:           8
        .value_kind:     by_value
      - .offset:         80
        .size:           8
        .value_kind:     by_value
      - .address_space:  global
        .offset:         88
        .size:           8
        .value_kind:     global_buffer
      - .offset:         96
        .size:           8
        .value_kind:     by_value
      - .offset:         104
        .size:           8
        .value_kind:     by_value
      - .offset:         112
        .size:           8
        .value_kind:     by_value
      - .offset:         120
        .size:           4
        .value_kind:     by_value
      - .offset:         124
        .size:           4
        .value_kind:     by_value
      - .offset:         128
        .size:           4
        .value_kind:     hidden_block_count_x
      - .offset:         132
        .size:           4
        .value_kind:     hidden_block_count_y
      - .offset:         136
        .size:           4
        .value_kind:     hidden_block_count_z
      - .offset:         140
        .size:           2
        .value_kind:     hidden_group_size_x
      - .offset:         142
        .size:           2
        .value_kind:     hidden_group_size_y
      - .offset:         144
        .size:           2
        .value_kind:     hidden_group_size_z
      - .offset:         146
        .size:           2
        .value_kind:     hidden_remainder_x
      - .offset:         148
        .size:           2
        .value_kind:     hidden_remainder_y
      - .offset:         150
        .size:           2
        .value_kind:     hidden_remainder_z
      - .offset:         168
        .size:           8
        .value_kind:     hidden_global_offset_x
      - .offset:         176
        .size:           8
        .value_kind:     hidden_global_offset_y
      - .offset:         184
        .size:           8
        .value_kind:     hidden_global_offset_z
      - .offset:         192
        .size:           2
        .value_kind:     hidden_grid_dims
    .group_segment_fixed_size: 8448
    .kernarg_segment_align: 8
    .kernarg_segment_size: 384
    .language:       OpenCL C
    .language_version:
      - 2
      - 0
    .max_flat_workgroup_size: 256
    .name:           _ZL62rocblas_symv_kernel_upper_double_buffered_non_diagonal_genericILi32ELi8ELi2ELi0E24rocblas_internal_val_ptrIdEPKdPdEvbiT3_lT4_lllS6_lllT5_lllii
    .private_segment_fixed_size: 0
    .sgpr_count:     42
    .sgpr_spill_count: 0
    .symbol:         _ZL62rocblas_symv_kernel_upper_double_buffered_non_diagonal_genericILi32ELi8ELi2ELi0E24rocblas_internal_val_ptrIdEPKdPdEvbiT3_lT4_lllS6_lllT5_lllii.kd
    .uniform_work_group_size: 1
    .uses_dynamic_stack: false
    .vgpr_count:     56
    .vgpr_spill_count: 0
    .wavefront_size: 32
    .workgroup_processor_mode: 1
  - .args:
      - .offset:         0
        .size:           1
        .value_kind:     by_value
      - .offset:         4
        .size:           4
        .value_kind:     by_value
      - .offset:         8
        .size:           8
        .value_kind:     by_value
      - .offset:         16
        .size:           8
        .value_kind:     by_value
      - .address_space:  global
        .offset:         24
        .size:           8
        .value_kind:     global_buffer
      - .offset:         32
        .size:           8
        .value_kind:     by_value
      - .offset:         40
        .size:           8
        .value_kind:     by_value
      - .offset:         48
        .size:           8
        .value_kind:     by_value
      - .address_space:  global
        .offset:         56
        .size:           8
        .value_kind:     global_buffer
      - .offset:         64
        .size:           8
        .value_kind:     by_value
      - .offset:         72
        .size:           8
        .value_kind:     by_value
      - .offset:         80
        .size:           8
        .value_kind:     by_value
      - .address_space:  global
        .offset:         88
        .size:           8
        .value_kind:     global_buffer
      - .offset:         96
        .size:           8
        .value_kind:     by_value
      - .offset:         104
        .size:           8
        .value_kind:     by_value
      - .offset:         112
        .size:           8
        .value_kind:     by_value
      - .offset:         120
        .size:           4
        .value_kind:     by_value
      - .offset:         124
        .size:           4
        .value_kind:     by_value
      - .offset:         128
        .size:           4
        .value_kind:     hidden_block_count_x
      - .offset:         132
        .size:           4
        .value_kind:     hidden_block_count_y
      - .offset:         136
        .size:           4
        .value_kind:     hidden_block_count_z
      - .offset:         140
        .size:           2
        .value_kind:     hidden_group_size_x
      - .offset:         142
        .size:           2
        .value_kind:     hidden_group_size_y
      - .offset:         144
        .size:           2
        .value_kind:     hidden_group_size_z
      - .offset:         146
        .size:           2
        .value_kind:     hidden_remainder_x
      - .offset:         148
        .size:           2
        .value_kind:     hidden_remainder_y
      - .offset:         150
        .size:           2
        .value_kind:     hidden_remainder_z
      - .offset:         168
        .size:           8
        .value_kind:     hidden_global_offset_x
      - .offset:         176
        .size:           8
        .value_kind:     hidden_global_offset_y
      - .offset:         184
        .size:           8
        .value_kind:     hidden_global_offset_z
      - .offset:         192
        .size:           2
        .value_kind:     hidden_grid_dims
    .group_segment_fixed_size: 8448
    .kernarg_segment_align: 8
    .kernarg_segment_size: 384
    .language:       OpenCL C
    .language_version:
      - 2
      - 0
    .max_flat_workgroup_size: 256
    .name:           _ZL62rocblas_symv_kernel_upper_double_buffered_non_diagonal_genericILi32ELi8ELi2ELi1E24rocblas_internal_val_ptrIdEPKdPdEvbiT3_lT4_lllS6_lllT5_lllii
    .private_segment_fixed_size: 0
    .sgpr_count:     34
    .sgpr_spill_count: 0
    .symbol:         _ZL62rocblas_symv_kernel_upper_double_buffered_non_diagonal_genericILi32ELi8ELi2ELi1E24rocblas_internal_val_ptrIdEPKdPdEvbiT3_lT4_lllS6_lllT5_lllii.kd
    .uniform_work_group_size: 1
    .uses_dynamic_stack: false
    .vgpr_count:     55
    .vgpr_spill_count: 0
    .wavefront_size: 32
    .workgroup_processor_mode: 1
  - .args:
      - .offset:         0
        .size:           4
        .value_kind:     by_value
      - .address_space:  global
        .offset:         8
        .size:           8
        .value_kind:     global_buffer
      - .offset:         16
        .size:           8
        .value_kind:     by_value
      - .address_space:  global
        .offset:         24
        .size:           8
        .value_kind:     global_buffer
      - .offset:         32
        .size:           8
        .value_kind:     by_value
      - .offset:         40
        .size:           8
        .value_kind:     by_value
      - .offset:         48
        .size:           8
        .value_kind:     by_value
      - .address_space:  global
        .offset:         56
        .size:           8
        .value_kind:     global_buffer
      - .offset:         64
        .size:           8
        .value_kind:     by_value
      - .offset:         72
        .size:           8
        .value_kind:     by_value
      - .offset:         80
        .size:           8
        .value_kind:     by_value
      - .address_space:  global
        .offset:         88
        .size:           8
        .value_kind:     global_buffer
      - .offset:         96
        .size:           8
        .value_kind:     by_value
      - .address_space:  global
        .offset:         104
        .size:           8
        .value_kind:     global_buffer
      - .offset:         112
        .size:           4
        .value_kind:     by_value
      - .offset:         120
        .size:           4
        .value_kind:     hidden_block_count_x
      - .offset:         124
        .size:           4
        .value_kind:     hidden_block_count_y
      - .offset:         128
        .size:           4
        .value_kind:     hidden_block_count_z
      - .offset:         132
        .size:           2
        .value_kind:     hidden_group_size_x
      - .offset:         134
        .size:           2
        .value_kind:     hidden_group_size_y
      - .offset:         136
        .size:           2
        .value_kind:     hidden_group_size_z
      - .offset:         138
        .size:           2
        .value_kind:     hidden_remainder_x
      - .offset:         140
        .size:           2
        .value_kind:     hidden_remainder_y
      - .offset:         142
        .size:           2
        .value_kind:     hidden_remainder_z
      - .offset:         160
        .size:           8
        .value_kind:     hidden_global_offset_x
      - .offset:         168
        .size:           8
        .value_kind:     hidden_global_offset_y
      - .offset:         176
        .size:           8
        .value_kind:     hidden_global_offset_z
      - .offset:         184
        .size:           2
        .value_kind:     hidden_grid_dims
    .group_segment_fixed_size: 9600
    .kernarg_segment_align: 8
    .kernarg_segment_size: 376
    .language:       OpenCL C
    .language_version:
      - 2
      - 0
    .max_flat_workgroup_size: 256
    .name:           _ZL26rocblas_hemvn_kernel_upperILb0ELi64ELi4ELi33ELi32ELi16ElPKdS1_PdEviT6_lT7_lT5_lS4_lS5_lS3_lT8_i
    .private_segment_fixed_size: 0
    .sgpr_count:     46
    .sgpr_spill_count: 0
    .symbol:         _ZL26rocblas_hemvn_kernel_upperILb0ELi64ELi4ELi33ELi32ELi16ElPKdS1_PdEviT6_lT7_lT5_lS4_lS5_lS3_lT8_i.kd
    .uniform_work_group_size: 1
    .uses_dynamic_stack: false
    .vgpr_count:     162
    .vgpr_spill_count: 0
    .wavefront_size: 32
    .workgroup_processor_mode: 1
  - .args:
      - .offset:         0
        .size:           4
        .value_kind:     by_value
      - .address_space:  global
        .offset:         8
        .size:           8
        .value_kind:     global_buffer
      - .offset:         16
        .size:           8
        .value_kind:     by_value
      - .address_space:  global
        .offset:         24
        .size:           8
        .value_kind:     global_buffer
      - .offset:         32
        .size:           8
        .value_kind:     by_value
      - .address_space:  global
        .offset:         40
        .size:           8
        .value_kind:     global_buffer
      - .offset:         48
        .size:           8
        .value_kind:     by_value
      - .offset:         56
        .size:           8
        .value_kind:     by_value
      - .offset:         64
        .size:           8
        .value_kind:     by_value
      - .address_space:  global
        .offset:         72
        .size:           8
        .value_kind:     global_buffer
      - .offset:         80
        .size:           4
        .value_kind:     by_value
      - .offset:         88
        .size:           4
        .value_kind:     hidden_block_count_x
      - .offset:         92
        .size:           4
        .value_kind:     hidden_block_count_y
      - .offset:         96
        .size:           4
        .value_kind:     hidden_block_count_z
      - .offset:         100
        .size:           2
        .value_kind:     hidden_group_size_x
      - .offset:         102
        .size:           2
        .value_kind:     hidden_group_size_y
      - .offset:         104
        .size:           2
        .value_kind:     hidden_group_size_z
      - .offset:         106
        .size:           2
        .value_kind:     hidden_remainder_x
      - .offset:         108
        .size:           2
        .value_kind:     hidden_remainder_y
      - .offset:         110
        .size:           2
        .value_kind:     hidden_remainder_z
      - .offset:         128
        .size:           8
        .value_kind:     hidden_global_offset_x
      - .offset:         136
        .size:           8
        .value_kind:     hidden_global_offset_y
      - .offset:         144
        .size:           8
        .value_kind:     hidden_global_offset_z
      - .offset:         152
        .size:           2
        .value_kind:     hidden_grid_dims
    .group_segment_fixed_size: 0
    .kernarg_segment_align: 8
    .kernarg_segment_size: 344
    .language:       OpenCL C
    .language_version:
      - 2
      - 0
    .max_flat_workgroup_size: 64
    .name:           _ZL36rocblas_hemvn_kernel_upper_block_sumILi64ElPKdPddEviT1_lS3_lT2_lT0_lPT3_i
    .private_segment_fixed_size: 0
    .sgpr_count:     23
    .sgpr_spill_count: 0
    .symbol:         _ZL36rocblas_hemvn_kernel_upper_block_sumILi64ElPKdPddEviT1_lS3_lT2_lT0_lPT3_i.kd
    .uniform_work_group_size: 1
    .uses_dynamic_stack: false
    .vgpr_count:     9
    .vgpr_spill_count: 0
    .wavefront_size: 32
    .workgroup_processor_mode: 1
  - .args:
      - .offset:         0
        .size:           4
        .value_kind:     by_value
      - .address_space:  global
        .offset:         8
        .size:           8
        .value_kind:     global_buffer
      - .offset:         16
        .size:           8
        .value_kind:     by_value
      - .address_space:  global
        .offset:         24
        .size:           8
        .value_kind:     global_buffer
      - .offset:         32
        .size:           8
        .value_kind:     by_value
      - .offset:         40
        .size:           4
        .value_kind:     by_value
      - .offset:         48
        .size:           8
        .value_kind:     by_value
      - .address_space:  global
        .offset:         56
        .size:           8
        .value_kind:     global_buffer
      - .offset:         64
        .size:           8
        .value_kind:     by_value
      - .offset:         72
        .size:           4
        .value_kind:     by_value
      - .offset:         80
        .size:           8
        .value_kind:     by_value
      - .address_space:  global
        .offset:         88
        .size:           8
        .value_kind:     global_buffer
      - .offset:         96
        .size:           8
        .value_kind:     by_value
      - .address_space:  global
        .offset:         104
        .size:           8
        .value_kind:     global_buffer
      - .offset:         112
        .size:           4
        .value_kind:     by_value
      - .offset:         120
        .size:           4
        .value_kind:     hidden_block_count_x
      - .offset:         124
        .size:           4
        .value_kind:     hidden_block_count_y
      - .offset:         128
        .size:           4
        .value_kind:     hidden_block_count_z
      - .offset:         132
        .size:           2
        .value_kind:     hidden_group_size_x
      - .offset:         134
        .size:           2
        .value_kind:     hidden_group_size_y
      - .offset:         136
        .size:           2
        .value_kind:     hidden_group_size_z
      - .offset:         138
        .size:           2
        .value_kind:     hidden_remainder_x
      - .offset:         140
        .size:           2
        .value_kind:     hidden_remainder_y
      - .offset:         142
        .size:           2
        .value_kind:     hidden_remainder_z
      - .offset:         160
        .size:           8
        .value_kind:     hidden_global_offset_x
      - .offset:         168
        .size:           8
        .value_kind:     hidden_global_offset_y
      - .offset:         176
        .size:           8
        .value_kind:     hidden_global_offset_z
      - .offset:         184
        .size:           2
        .value_kind:     hidden_grid_dims
    .group_segment_fixed_size: 9600
    .kernarg_segment_align: 8
    .kernarg_segment_size: 376
    .language:       OpenCL C
    .language_version:
      - 2
      - 0
    .max_flat_workgroup_size: 256
    .name:           _ZL26rocblas_hemvn_kernel_upperILb0ELi64ELi4ELi33ELi32ELi16EiPKdS1_PdEviT6_lT7_lT5_lS4_lS5_lS3_lT8_i
    .private_segment_fixed_size: 0
    .sgpr_count:     43
    .sgpr_spill_count: 0
    .symbol:         _ZL26rocblas_hemvn_kernel_upperILb0ELi64ELi4ELi33ELi32ELi16EiPKdS1_PdEviT6_lT7_lT5_lS4_lS5_lS3_lT8_i.kd
    .uniform_work_group_size: 1
    .uses_dynamic_stack: false
    .vgpr_count:     182
    .vgpr_spill_count: 0
    .wavefront_size: 32
    .workgroup_processor_mode: 1
  - .args:
      - .offset:         0
        .size:           4
        .value_kind:     by_value
      - .address_space:  global
        .offset:         8
        .size:           8
        .value_kind:     global_buffer
      - .offset:         16
        .size:           8
        .value_kind:     by_value
      - .address_space:  global
        .offset:         24
        .size:           8
        .value_kind:     global_buffer
      - .offset:         32
        .size:           8
        .value_kind:     by_value
      - .address_space:  global
        .offset:         40
        .size:           8
        .value_kind:     global_buffer
      - .offset:         48
        .size:           8
        .value_kind:     by_value
      - .offset:         56
        .size:           4
        .value_kind:     by_value
      - .offset:         64
        .size:           8
        .value_kind:     by_value
      - .address_space:  global
        .offset:         72
        .size:           8
        .value_kind:     global_buffer
      - .offset:         80
        .size:           4
        .value_kind:     by_value
      - .offset:         88
        .size:           4
        .value_kind:     hidden_block_count_x
      - .offset:         92
        .size:           4
        .value_kind:     hidden_block_count_y
      - .offset:         96
        .size:           4
        .value_kind:     hidden_block_count_z
      - .offset:         100
        .size:           2
        .value_kind:     hidden_group_size_x
      - .offset:         102
        .size:           2
        .value_kind:     hidden_group_size_y
      - .offset:         104
        .size:           2
        .value_kind:     hidden_group_size_z
      - .offset:         106
        .size:           2
        .value_kind:     hidden_remainder_x
      - .offset:         108
        .size:           2
        .value_kind:     hidden_remainder_y
      - .offset:         110
        .size:           2
        .value_kind:     hidden_remainder_z
      - .offset:         128
        .size:           8
        .value_kind:     hidden_global_offset_x
      - .offset:         136
        .size:           8
        .value_kind:     hidden_global_offset_y
      - .offset:         144
        .size:           8
        .value_kind:     hidden_global_offset_z
      - .offset:         152
        .size:           2
        .value_kind:     hidden_grid_dims
    .group_segment_fixed_size: 0
    .kernarg_segment_align: 8
    .kernarg_segment_size: 344
    .language:       OpenCL C
    .language_version:
      - 2
      - 0
    .max_flat_workgroup_size: 64
    .name:           _ZL36rocblas_hemvn_kernel_upper_block_sumILi64EiPKdPddEviT1_lS3_lT2_lT0_lPT3_i
    .private_segment_fixed_size: 0
    .sgpr_count:     26
    .sgpr_spill_count: 0
    .symbol:         _ZL36rocblas_hemvn_kernel_upper_block_sumILi64EiPKdPddEviT1_lS3_lT2_lT0_lPT3_i.kd
    .uniform_work_group_size: 1
    .uses_dynamic_stack: false
    .vgpr_count:     7
    .vgpr_spill_count: 0
    .wavefront_size: 32
    .workgroup_processor_mode: 1
  - .args:
      - .offset:         0
        .size:           4
        .value_kind:     by_value
      - .offset:         8
        .size:           8
        .value_kind:     by_value
      - .offset:         16
        .size:           8
        .value_kind:     by_value
      - .address_space:  global
        .offset:         24
        .size:           8
        .value_kind:     global_buffer
      - .offset:         32
        .size:           8
        .value_kind:     by_value
      - .offset:         40
        .size:           8
        .value_kind:     by_value
      - .offset:         48
        .size:           8
        .value_kind:     by_value
      - .address_space:  global
        .offset:         56
        .size:           8
        .value_kind:     global_buffer
      - .offset:         64
        .size:           8
        .value_kind:     by_value
      - .offset:         72
        .size:           8
        .value_kind:     by_value
      - .offset:         80
        .size:           8
        .value_kind:     by_value
      - .offset:         88
        .size:           8
        .value_kind:     by_value
      - .offset:         96
        .size:           8
        .value_kind:     by_value
      - .address_space:  global
        .offset:         104
        .size:           8
        .value_kind:     global_buffer
      - .offset:         112
        .size:           4
        .value_kind:     by_value
      - .offset:         120
        .size:           4
        .value_kind:     hidden_block_count_x
      - .offset:         124
        .size:           4
        .value_kind:     hidden_block_count_y
      - .offset:         128
        .size:           4
        .value_kind:     hidden_block_count_z
      - .offset:         132
        .size:           2
        .value_kind:     hidden_group_size_x
      - .offset:         134
        .size:           2
        .value_kind:     hidden_group_size_y
      - .offset:         136
        .size:           2
        .value_kind:     hidden_group_size_z
      - .offset:         138
        .size:           2
        .value_kind:     hidden_remainder_x
      - .offset:         140
        .size:           2
        .value_kind:     hidden_remainder_y
      - .offset:         142
        .size:           2
        .value_kind:     hidden_remainder_z
      - .offset:         160
        .size:           8
        .value_kind:     hidden_global_offset_x
      - .offset:         168
        .size:           8
        .value_kind:     hidden_global_offset_y
      - .offset:         176
        .size:           8
        .value_kind:     hidden_global_offset_z
      - .offset:         184
        .size:           2
        .value_kind:     hidden_grid_dims
    .group_segment_fixed_size: 9600
    .kernarg_segment_align: 8
    .kernarg_segment_size: 376
    .language:       OpenCL C
    .language_version:
      - 2
      - 0
    .max_flat_workgroup_size: 256
    .name:           _ZL26rocblas_hemvn_kernel_upperILb0ELi64ELi4ELi33ELi32ELi16EldPKdPdEviT6_lT7_lT5_lS4_lS5_lS3_lT8_i
    .private_segment_fixed_size: 0
    .sgpr_count:     34
    .sgpr_spill_count: 0
    .symbol:         _ZL26rocblas_hemvn_kernel_upperILb0ELi64ELi4ELi33ELi32ELi16EldPKdPdEviT6_lT7_lT5_lS4_lS5_lS3_lT8_i.kd
    .uniform_work_group_size: 1
    .uses_dynamic_stack: false
    .vgpr_count:     162
    .vgpr_spill_count: 0
    .wavefront_size: 32
    .workgroup_processor_mode: 1
  - .args:
      - .offset:         0
        .size:           4
        .value_kind:     by_value
      - .offset:         8
        .size:           8
        .value_kind:     by_value
      - .offset:         16
        .size:           8
        .value_kind:     by_value
      - .offset:         24
        .size:           8
        .value_kind:     by_value
      - .offset:         32
        .size:           8
        .value_kind:     by_value
      - .address_space:  global
        .offset:         40
        .size:           8
        .value_kind:     global_buffer
      - .offset:         48
        .size:           8
        .value_kind:     by_value
      - .offset:         56
        .size:           8
        .value_kind:     by_value
      - .offset:         64
        .size:           8
        .value_kind:     by_value
      - .address_space:  global
        .offset:         72
        .size:           8
        .value_kind:     global_buffer
      - .offset:         80
        .size:           4
        .value_kind:     by_value
      - .offset:         88
        .size:           4
        .value_kind:     hidden_block_count_x
      - .offset:         92
        .size:           4
        .value_kind:     hidden_block_count_y
      - .offset:         96
        .size:           4
        .value_kind:     hidden_block_count_z
      - .offset:         100
        .size:           2
        .value_kind:     hidden_group_size_x
      - .offset:         102
        .size:           2
        .value_kind:     hidden_group_size_y
      - .offset:         104
        .size:           2
        .value_kind:     hidden_group_size_z
      - .offset:         106
        .size:           2
        .value_kind:     hidden_remainder_x
      - .offset:         108
        .size:           2
        .value_kind:     hidden_remainder_y
      - .offset:         110
        .size:           2
        .value_kind:     hidden_remainder_z
      - .offset:         128
        .size:           8
        .value_kind:     hidden_global_offset_x
      - .offset:         136
        .size:           8
        .value_kind:     hidden_global_offset_y
      - .offset:         144
        .size:           8
        .value_kind:     hidden_global_offset_z
      - .offset:         152
        .size:           2
        .value_kind:     hidden_grid_dims
    .group_segment_fixed_size: 0
    .kernarg_segment_align: 8
    .kernarg_segment_size: 344
    .language:       OpenCL C
    .language_version:
      - 2
      - 0
    .max_flat_workgroup_size: 64
    .name:           _ZL36rocblas_hemvn_kernel_upper_block_sumILi64EldPddEviT1_lS1_lT2_lT0_lPT3_i
    .private_segment_fixed_size: 0
    .sgpr_count:     23
    .sgpr_spill_count: 0
    .symbol:         _ZL36rocblas_hemvn_kernel_upper_block_sumILi64EldPddEviT1_lS1_lT2_lT0_lPT3_i.kd
    .uniform_work_group_size: 1
    .uses_dynamic_stack: false
    .vgpr_count:     9
    .vgpr_spill_count: 0
    .wavefront_size: 32
    .workgroup_processor_mode: 1
  - .args:
      - .offset:         0
        .size:           4
        .value_kind:     by_value
      - .offset:         8
        .size:           8
        .value_kind:     by_value
      - .offset:         16
        .size:           8
        .value_kind:     by_value
      - .address_space:  global
        .offset:         24
        .size:           8
        .value_kind:     global_buffer
      - .offset:         32
        .size:           8
        .value_kind:     by_value
      - .offset:         40
        .size:           4
        .value_kind:     by_value
      - .offset:         48
        .size:           8
        .value_kind:     by_value
      - .address_space:  global
        .offset:         56
        .size:           8
        .value_kind:     global_buffer
      - .offset:         64
        .size:           8
        .value_kind:     by_value
      - .offset:         72
        .size:           4
        .value_kind:     by_value
      - .offset:         80
        .size:           8
        .value_kind:     by_value
      - .offset:         88
        .size:           8
        .value_kind:     by_value
      - .offset:         96
        .size:           8
        .value_kind:     by_value
      - .address_space:  global
        .offset:         104
        .size:           8
        .value_kind:     global_buffer
      - .offset:         112
        .size:           4
        .value_kind:     by_value
      - .offset:         120
        .size:           4
        .value_kind:     hidden_block_count_x
      - .offset:         124
        .size:           4
        .value_kind:     hidden_block_count_y
      - .offset:         128
        .size:           4
        .value_kind:     hidden_block_count_z
      - .offset:         132
        .size:           2
        .value_kind:     hidden_group_size_x
      - .offset:         134
        .size:           2
        .value_kind:     hidden_group_size_y
      - .offset:         136
        .size:           2
        .value_kind:     hidden_group_size_z
      - .offset:         138
        .size:           2
        .value_kind:     hidden_remainder_x
      - .offset:         140
        .size:           2
        .value_kind:     hidden_remainder_y
      - .offset:         142
        .size:           2
        .value_kind:     hidden_remainder_z
      - .offset:         160
        .size:           8
        .value_kind:     hidden_global_offset_x
      - .offset:         168
        .size:           8
        .value_kind:     hidden_global_offset_y
      - .offset:         176
        .size:           8
        .value_kind:     hidden_global_offset_z
      - .offset:         184
        .size:           2
        .value_kind:     hidden_grid_dims
    .group_segment_fixed_size: 9600
    .kernarg_segment_align: 8
    .kernarg_segment_size: 376
    .language:       OpenCL C
    .language_version:
      - 2
      - 0
    .max_flat_workgroup_size: 256
    .name:           _ZL26rocblas_hemvn_kernel_upperILb0ELi64ELi4ELi33ELi32ELi16EidPKdPdEviT6_lT7_lT5_lS4_lS5_lS3_lT8_i
    .private_segment_fixed_size: 0
    .sgpr_count:     43
    .sgpr_spill_count: 0
    .symbol:         _ZL26rocblas_hemvn_kernel_upperILb0ELi64ELi4ELi33ELi32ELi16EidPKdPdEviT6_lT7_lT5_lS4_lS5_lS3_lT8_i.kd
    .uniform_work_group_size: 1
    .uses_dynamic_stack: false
    .vgpr_count:     182
    .vgpr_spill_count: 0
    .wavefront_size: 32
    .workgroup_processor_mode: 1
  - .args:
      - .offset:         0
        .size:           4
        .value_kind:     by_value
      - .offset:         8
        .size:           8
        .value_kind:     by_value
      - .offset:         16
        .size:           8
        .value_kind:     by_value
      - .offset:         24
        .size:           8
        .value_kind:     by_value
      - .offset:         32
        .size:           8
        .value_kind:     by_value
      - .address_space:  global
        .offset:         40
        .size:           8
        .value_kind:     global_buffer
      - .offset:         48
        .size:           8
        .value_kind:     by_value
      - .offset:         56
        .size:           4
        .value_kind:     by_value
      - .offset:         64
        .size:           8
        .value_kind:     by_value
      - .address_space:  global
        .offset:         72
        .size:           8
        .value_kind:     global_buffer
      - .offset:         80
        .size:           4
        .value_kind:     by_value
      - .offset:         88
        .size:           4
        .value_kind:     hidden_block_count_x
      - .offset:         92
        .size:           4
        .value_kind:     hidden_block_count_y
      - .offset:         96
        .size:           4
        .value_kind:     hidden_block_count_z
      - .offset:         100
        .size:           2
        .value_kind:     hidden_group_size_x
      - .offset:         102
        .size:           2
        .value_kind:     hidden_group_size_y
      - .offset:         104
        .size:           2
        .value_kind:     hidden_group_size_z
      - .offset:         106
        .size:           2
        .value_kind:     hidden_remainder_x
      - .offset:         108
        .size:           2
        .value_kind:     hidden_remainder_y
      - .offset:         110
        .size:           2
        .value_kind:     hidden_remainder_z
      - .offset:         128
        .size:           8
        .value_kind:     hidden_global_offset_x
      - .offset:         136
        .size:           8
        .value_kind:     hidden_global_offset_y
      - .offset:         144
        .size:           8
        .value_kind:     hidden_global_offset_z
      - .offset:         152
        .size:           2
        .value_kind:     hidden_grid_dims
    .group_segment_fixed_size: 0
    .kernarg_segment_align: 8
    .kernarg_segment_size: 344
    .language:       OpenCL C
    .language_version:
      - 2
      - 0
    .max_flat_workgroup_size: 64
    .name:           _ZL36rocblas_hemvn_kernel_upper_block_sumILi64EidPddEviT1_lS1_lT2_lT0_lPT3_i
    .private_segment_fixed_size: 0
    .sgpr_count:     26
    .sgpr_spill_count: 0
    .symbol:         _ZL36rocblas_hemvn_kernel_upper_block_sumILi64EidPddEviT1_lS1_lT2_lT0_lPT3_i.kd
    .uniform_work_group_size: 1
    .uses_dynamic_stack: false
    .vgpr_count:     7
    .vgpr_spill_count: 0
    .wavefront_size: 32
    .workgroup_processor_mode: 1
  - .args:
      - .offset:         0
        .size:           1
        .value_kind:     by_value
      - .offset:         4
        .size:           4
        .value_kind:     by_value
      - .offset:         8
        .size:           8
        .value_kind:     by_value
      - .offset:         16
        .size:           8
        .value_kind:     by_value
      - .address_space:  global
        .offset:         24
        .size:           8
        .value_kind:     global_buffer
      - .offset:         32
        .size:           8
        .value_kind:     by_value
      - .offset:         40
        .size:           8
        .value_kind:     by_value
      - .offset:         48
        .size:           8
        .value_kind:     by_value
      - .address_space:  global
        .offset:         56
        .size:           8
        .value_kind:     global_buffer
      - .offset:         64
        .size:           8
        .value_kind:     by_value
      - .offset:         72
        .size:           8
        .value_kind:     by_value
      - .offset:         80
        .size:           8
        .value_kind:     by_value
      - .offset:         88
        .size:           8
        .value_kind:     by_value
      - .offset:         96
        .size:           8
        .value_kind:     by_value
      - .address_space:  global
        .offset:         104
        .size:           8
        .value_kind:     global_buffer
      - .offset:         112
        .size:           8
        .value_kind:     by_value
      - .offset:         120
        .size:           8
        .value_kind:     by_value
      - .offset:         128
        .size:           8
        .value_kind:     by_value
      - .offset:         136
        .size:           4
        .value_kind:     by_value
    .group_segment_fixed_size: 10496
    .kernarg_segment_align: 8
    .kernarg_segment_size: 140
    .language:       OpenCL C
    .language_version:
      - 2
      - 0
    .max_flat_workgroup_size: 128
    .name:           _ZL50rocblas_symv_kernel_lower_double_buffered_diagonalILi32ELi4E24rocblas_internal_val_ptrIdEPKdPdEvbiT1_lT2_lllS6_lllS5_lT3_llli
    .private_segment_fixed_size: 0
    .sgpr_count:     34
    .sgpr_spill_count: 0
    .symbol:         _ZL50rocblas_symv_kernel_lower_double_buffered_diagonalILi32ELi4E24rocblas_internal_val_ptrIdEPKdPdEvbiT1_lT2_lllS6_lllS5_lT3_llli.kd
    .uniform_work_group_size: 1
    .uses_dynamic_stack: false
    .vgpr_count:     29
    .vgpr_spill_count: 0
    .wavefront_size: 32
    .workgroup_processor_mode: 1
  - .args:
      - .offset:         0
        .size:           1
        .value_kind:     by_value
      - .offset:         4
        .size:           4
        .value_kind:     by_value
      - .offset:         8
        .size:           8
        .value_kind:     by_value
      - .offset:         16
        .size:           8
        .value_kind:     by_value
      - .address_space:  global
        .offset:         24
        .size:           8
        .value_kind:     global_buffer
      - .offset:         32
        .size:           8
        .value_kind:     by_value
      - .offset:         40
        .size:           8
        .value_kind:     by_value
      - .offset:         48
        .size:           8
        .value_kind:     by_value
      - .address_space:  global
        .offset:         56
        .size:           8
        .value_kind:     global_buffer
      - .offset:         64
        .size:           8
        .value_kind:     by_value
      - .offset:         72
        .size:           8
        .value_kind:     by_value
      - .offset:         80
        .size:           8
        .value_kind:     by_value
      - .address_space:  global
        .offset:         88
        .size:           8
        .value_kind:     global_buffer
      - .offset:         96
        .size:           8
        .value_kind:     by_value
      - .offset:         104
        .size:           8
        .value_kind:     by_value
      - .offset:         112
        .size:           8
        .value_kind:     by_value
      - .offset:         120
        .size:           4
        .value_kind:     by_value
      - .offset:         128
        .size:           4
        .value_kind:     hidden_block_count_x
      - .offset:         132
        .size:           4
        .value_kind:     hidden_block_count_y
      - .offset:         136
        .size:           4
        .value_kind:     hidden_block_count_z
      - .offset:         140
        .size:           2
        .value_kind:     hidden_group_size_x
      - .offset:         142
        .size:           2
        .value_kind:     hidden_group_size_y
      - .offset:         144
        .size:           2
        .value_kind:     hidden_group_size_z
      - .offset:         146
        .size:           2
        .value_kind:     hidden_remainder_x
      - .offset:         148
        .size:           2
        .value_kind:     hidden_remainder_y
      - .offset:         150
        .size:           2
        .value_kind:     hidden_remainder_z
      - .offset:         168
        .size:           8
        .value_kind:     hidden_global_offset_x
      - .offset:         176
        .size:           8
        .value_kind:     hidden_global_offset_y
      - .offset:         184
        .size:           8
        .value_kind:     hidden_global_offset_z
      - .offset:         192
        .size:           2
        .value_kind:     hidden_grid_dims
    .group_segment_fixed_size: 6400
    .kernarg_segment_align: 8
    .kernarg_segment_size: 384
    .language:       OpenCL C
    .language_version:
      - 2
      - 0
    .max_flat_workgroup_size: 128
    .name:           _ZL54rocblas_symv_kernel_lower_double_buffered_non_diagonalILi32ELi4ELi4E24rocblas_internal_val_ptrIdEPKdPdEvbiT2_lT3_lllS6_lllT4_llli
    .private_segment_fixed_size: 0
    .sgpr_count:     34
    .sgpr_spill_count: 0
    .symbol:         _ZL54rocblas_symv_kernel_lower_double_buffered_non_diagonalILi32ELi4ELi4E24rocblas_internal_val_ptrIdEPKdPdEvbiT2_lT3_lllS6_lllT4_llli.kd
    .uniform_work_group_size: 1
    .uses_dynamic_stack: false
    .vgpr_count:     70
    .vgpr_spill_count: 0
    .wavefront_size: 32
    .workgroup_processor_mode: 1
  - .args:
      - .offset:         0
        .size:           1
        .value_kind:     by_value
      - .offset:         4
        .size:           4
        .value_kind:     by_value
      - .offset:         8
        .size:           8
        .value_kind:     by_value
      - .offset:         16
        .size:           8
        .value_kind:     by_value
      - .address_space:  global
        .offset:         24
        .size:           8
        .value_kind:     global_buffer
      - .offset:         32
        .size:           8
        .value_kind:     by_value
      - .offset:         40
        .size:           8
        .value_kind:     by_value
      - .offset:         48
        .size:           8
        .value_kind:     by_value
      - .address_space:  global
        .offset:         56
        .size:           8
        .value_kind:     global_buffer
      - .offset:         64
        .size:           8
        .value_kind:     by_value
      - .offset:         72
        .size:           8
        .value_kind:     by_value
      - .offset:         80
        .size:           8
        .value_kind:     by_value
      - .offset:         88
        .size:           8
        .value_kind:     by_value
      - .offset:         96
        .size:           8
        .value_kind:     by_value
      - .address_space:  global
        .offset:         104
        .size:           8
        .value_kind:     global_buffer
      - .offset:         112
        .size:           8
        .value_kind:     by_value
      - .offset:         120
        .size:           8
        .value_kind:     by_value
      - .offset:         128
        .size:           8
        .value_kind:     by_value
      - .offset:         136
        .size:           4
        .value_kind:     by_value
      - .offset:         140
        .size:           4
        .value_kind:     by_value
      - .offset:         144
        .size:           4
        .value_kind:     hidden_block_count_x
      - .offset:         148
        .size:           4
        .value_kind:     hidden_block_count_y
      - .offset:         152
        .size:           4
        .value_kind:     hidden_block_count_z
      - .offset:         156
        .size:           2
        .value_kind:     hidden_group_size_x
      - .offset:         158
        .size:           2
        .value_kind:     hidden_group_size_y
      - .offset:         160
        .size:           2
        .value_kind:     hidden_group_size_z
      - .offset:         162
        .size:           2
        .value_kind:     hidden_remainder_x
      - .offset:         164
        .size:           2
        .value_kind:     hidden_remainder_y
      - .offset:         166
        .size:           2
        .value_kind:     hidden_remainder_z
      - .offset:         184
        .size:           8
        .value_kind:     hidden_global_offset_x
      - .offset:         192
        .size:           8
        .value_kind:     hidden_global_offset_y
      - .offset:         200
        .size:           8
        .value_kind:     hidden_global_offset_z
      - .offset:         208
        .size:           2
        .value_kind:     hidden_grid_dims
    .group_segment_fixed_size: 10496
    .kernarg_segment_align: 8
    .kernarg_segment_size: 400
    .language:       OpenCL C
    .language_version:
      - 2
      - 0
    .max_flat_workgroup_size: 128
    .name:           _ZL58rocblas_symv_kernel_lower_double_buffered_diagonal_genericILi32ELi4E24rocblas_internal_val_ptrIdEPKdPdEvbiT1_lT2_lllS6_lllS5_lT3_lllii
    .private_segment_fixed_size: 0
    .sgpr_count:     34
    .sgpr_spill_count: 0
    .symbol:         _ZL58rocblas_symv_kernel_lower_double_buffered_diagonal_genericILi32ELi4E24rocblas_internal_val_ptrIdEPKdPdEvbiT1_lT2_lllS6_lllS5_lT3_lllii.kd
    .uniform_work_group_size: 1
    .uses_dynamic_stack: false
    .vgpr_count:     35
    .vgpr_spill_count: 0
    .wavefront_size: 32
    .workgroup_processor_mode: 1
  - .args:
      - .offset:         0
        .size:           1
        .value_kind:     by_value
      - .offset:         4
        .size:           4
        .value_kind:     by_value
      - .offset:         8
        .size:           8
        .value_kind:     by_value
      - .offset:         16
        .size:           8
        .value_kind:     by_value
      - .address_space:  global
        .offset:         24
        .size:           8
        .value_kind:     global_buffer
      - .offset:         32
        .size:           8
        .value_kind:     by_value
      - .offset:         40
        .size:           8
        .value_kind:     by_value
      - .offset:         48
        .size:           8
        .value_kind:     by_value
      - .address_space:  global
        .offset:         56
        .size:           8
        .value_kind:     global_buffer
      - .offset:         64
        .size:           8
        .value_kind:     by_value
      - .offset:         72
        .size:           8
        .value_kind:     by_value
      - .offset:         80
        .size:           8
        .value_kind:     by_value
      - .address_space:  global
        .offset:         88
        .size:           8
        .value_kind:     global_buffer
      - .offset:         96
        .size:           8
        .value_kind:     by_value
      - .offset:         104
        .size:           8
        .value_kind:     by_value
      - .offset:         112
        .size:           8
        .value_kind:     by_value
      - .offset:         120
        .size:           4
        .value_kind:     by_value
      - .offset:         124
        .size:           4
        .value_kind:     by_value
      - .offset:         128
        .size:           4
        .value_kind:     hidden_block_count_x
      - .offset:         132
        .size:           4
        .value_kind:     hidden_block_count_y
      - .offset:         136
        .size:           4
        .value_kind:     hidden_block_count_z
      - .offset:         140
        .size:           2
        .value_kind:     hidden_group_size_x
      - .offset:         142
        .size:           2
        .value_kind:     hidden_group_size_y
      - .offset:         144
        .size:           2
        .value_kind:     hidden_group_size_z
      - .offset:         146
        .size:           2
        .value_kind:     hidden_remainder_x
      - .offset:         148
        .size:           2
        .value_kind:     hidden_remainder_y
      - .offset:         150
        .size:           2
        .value_kind:     hidden_remainder_z
      - .offset:         168
        .size:           8
        .value_kind:     hidden_global_offset_x
      - .offset:         176
        .size:           8
        .value_kind:     hidden_global_offset_y
      - .offset:         184
        .size:           8
        .value_kind:     hidden_global_offset_z
      - .offset:         192
        .size:           2
        .value_kind:     hidden_grid_dims
    .group_segment_fixed_size: 6400
    .kernarg_segment_align: 8
    .kernarg_segment_size: 384
    .language:       OpenCL C
    .language_version:
      - 2
      - 0
    .max_flat_workgroup_size: 128
    .name:           _ZL62rocblas_symv_kernel_lower_double_buffered_non_diagonal_genericILi32ELi4ELi4E24rocblas_internal_val_ptrIdEPKdPdEvbiT2_lT3_lllS6_lllT4_lllii
    .private_segment_fixed_size: 0
    .sgpr_count:     34
    .sgpr_spill_count: 0
    .symbol:         _ZL62rocblas_symv_kernel_lower_double_buffered_non_diagonal_genericILi32ELi4ELi4E24rocblas_internal_val_ptrIdEPKdPdEvbiT2_lT3_lllS6_lllT4_lllii.kd
    .uniform_work_group_size: 1
    .uses_dynamic_stack: false
    .vgpr_count:     73
    .vgpr_spill_count: 0
    .wavefront_size: 32
    .workgroup_processor_mode: 1
  - .args:
      - .offset:         0
        .size:           4
        .value_kind:     by_value
      - .address_space:  global
        .offset:         8
        .size:           8
        .value_kind:     global_buffer
      - .offset:         16
        .size:           8
        .value_kind:     by_value
      - .address_space:  global
        .offset:         24
        .size:           8
        .value_kind:     global_buffer
      - .offset:         32
        .size:           8
        .value_kind:     by_value
      - .offset:         40
        .size:           8
        .value_kind:     by_value
      - .offset:         48
        .size:           8
        .value_kind:     by_value
      - .address_space:  global
        .offset:         56
        .size:           8
        .value_kind:     global_buffer
      - .offset:         64
        .size:           8
        .value_kind:     by_value
      - .offset:         72
        .size:           8
        .value_kind:     by_value
      - .offset:         80
        .size:           8
        .value_kind:     by_value
      - .address_space:  global
        .offset:         88
        .size:           8
        .value_kind:     global_buffer
      - .offset:         96
        .size:           8
        .value_kind:     by_value
      - .address_space:  global
        .offset:         104
        .size:           8
        .value_kind:     global_buffer
      - .offset:         112
        .size:           4
        .value_kind:     by_value
      - .offset:         120
        .size:           4
        .value_kind:     hidden_block_count_x
      - .offset:         124
        .size:           4
        .value_kind:     hidden_block_count_y
      - .offset:         128
        .size:           4
        .value_kind:     hidden_block_count_z
      - .offset:         132
        .size:           2
        .value_kind:     hidden_group_size_x
      - .offset:         134
        .size:           2
        .value_kind:     hidden_group_size_y
      - .offset:         136
        .size:           2
        .value_kind:     hidden_group_size_z
      - .offset:         138
        .size:           2
        .value_kind:     hidden_remainder_x
      - .offset:         140
        .size:           2
        .value_kind:     hidden_remainder_y
      - .offset:         142
        .size:           2
        .value_kind:     hidden_remainder_z
      - .offset:         160
        .size:           8
        .value_kind:     hidden_global_offset_x
      - .offset:         168
        .size:           8
        .value_kind:     hidden_global_offset_y
      - .offset:         176
        .size:           8
        .value_kind:     hidden_global_offset_z
      - .offset:         184
        .size:           2
        .value_kind:     hidden_grid_dims
    .group_segment_fixed_size: 9600
    .kernarg_segment_align: 8
    .kernarg_segment_size: 376
    .language:       OpenCL C
    .language_version:
      - 2
      - 0
    .max_flat_workgroup_size: 256
    .name:           _ZL26rocblas_hemvn_kernel_lowerILb0ELi64ELi4ELi33ELi32ELi16ElPKdS1_PdEviT6_lT7_lT5_lS4_lS5_lS3_lT8_i
    .private_segment_fixed_size: 0
    .sgpr_count:     48
    .sgpr_spill_count: 0
    .symbol:         _ZL26rocblas_hemvn_kernel_lowerILb0ELi64ELi4ELi33ELi32ELi16ElPKdS1_PdEviT6_lT7_lT5_lS4_lS5_lS3_lT8_i.kd
    .uniform_work_group_size: 1
    .uses_dynamic_stack: false
    .vgpr_count:     117
    .vgpr_spill_count: 0
    .wavefront_size: 32
    .workgroup_processor_mode: 1
  - .args:
      - .offset:         0
        .size:           4
        .value_kind:     by_value
      - .address_space:  global
        .offset:         8
        .size:           8
        .value_kind:     global_buffer
      - .offset:         16
        .size:           8
        .value_kind:     by_value
      - .address_space:  global
        .offset:         24
        .size:           8
        .value_kind:     global_buffer
      - .offset:         32
        .size:           8
        .value_kind:     by_value
      - .address_space:  global
        .offset:         40
        .size:           8
        .value_kind:     global_buffer
      - .offset:         48
        .size:           8
        .value_kind:     by_value
      - .offset:         56
        .size:           8
        .value_kind:     by_value
      - .offset:         64
        .size:           8
        .value_kind:     by_value
      - .actual_access:  read_only
        .address_space:  global
        .offset:         72
        .size:           8
        .value_kind:     global_buffer
      - .offset:         80
        .size:           4
        .value_kind:     by_value
      - .offset:         88
        .size:           4
        .value_kind:     hidden_block_count_x
      - .offset:         92
        .size:           4
        .value_kind:     hidden_block_count_y
      - .offset:         96
        .size:           4
        .value_kind:     hidden_block_count_z
      - .offset:         100
        .size:           2
        .value_kind:     hidden_group_size_x
      - .offset:         102
        .size:           2
        .value_kind:     hidden_group_size_y
      - .offset:         104
        .size:           2
        .value_kind:     hidden_group_size_z
      - .offset:         106
        .size:           2
        .value_kind:     hidden_remainder_x
      - .offset:         108
        .size:           2
        .value_kind:     hidden_remainder_y
      - .offset:         110
        .size:           2
        .value_kind:     hidden_remainder_z
      - .offset:         128
        .size:           8
        .value_kind:     hidden_global_offset_x
      - .offset:         136
        .size:           8
        .value_kind:     hidden_global_offset_y
      - .offset:         144
        .size:           8
        .value_kind:     hidden_global_offset_z
      - .offset:         152
        .size:           2
        .value_kind:     hidden_grid_dims
    .group_segment_fixed_size: 0
    .kernarg_segment_align: 8
    .kernarg_segment_size: 344
    .language:       OpenCL C
    .language_version:
      - 2
      - 0
    .max_flat_workgroup_size: 64
    .name:           _ZL36rocblas_hemvn_kernel_lower_block_sumILi64ElPKdPddEviT1_lS3_lT2_lT0_lPT3_i
    .private_segment_fixed_size: 0
    .sgpr_count:     22
    .sgpr_spill_count: 0
    .symbol:         _ZL36rocblas_hemvn_kernel_lower_block_sumILi64ElPKdPddEviT1_lS3_lT2_lT0_lPT3_i.kd
    .uniform_work_group_size: 1
    .uses_dynamic_stack: false
    .vgpr_count:     9
    .vgpr_spill_count: 0
    .wavefront_size: 32
    .workgroup_processor_mode: 1
  - .args:
      - .offset:         0
        .size:           4
        .value_kind:     by_value
      - .address_space:  global
        .offset:         8
        .size:           8
        .value_kind:     global_buffer
      - .offset:         16
        .size:           8
        .value_kind:     by_value
      - .address_space:  global
        .offset:         24
        .size:           8
        .value_kind:     global_buffer
      - .offset:         32
        .size:           8
        .value_kind:     by_value
      - .offset:         40
        .size:           4
        .value_kind:     by_value
      - .offset:         48
        .size:           8
        .value_kind:     by_value
      - .address_space:  global
        .offset:         56
        .size:           8
        .value_kind:     global_buffer
      - .offset:         64
        .size:           8
        .value_kind:     by_value
      - .offset:         72
        .size:           4
        .value_kind:     by_value
      - .offset:         80
        .size:           8
        .value_kind:     by_value
      - .address_space:  global
        .offset:         88
        .size:           8
        .value_kind:     global_buffer
      - .offset:         96
        .size:           8
        .value_kind:     by_value
      - .address_space:  global
        .offset:         104
        .size:           8
        .value_kind:     global_buffer
      - .offset:         112
        .size:           4
        .value_kind:     by_value
      - .offset:         120
        .size:           4
        .value_kind:     hidden_block_count_x
      - .offset:         124
        .size:           4
        .value_kind:     hidden_block_count_y
      - .offset:         128
        .size:           4
        .value_kind:     hidden_block_count_z
      - .offset:         132
        .size:           2
        .value_kind:     hidden_group_size_x
      - .offset:         134
        .size:           2
        .value_kind:     hidden_group_size_y
      - .offset:         136
        .size:           2
        .value_kind:     hidden_group_size_z
      - .offset:         138
        .size:           2
        .value_kind:     hidden_remainder_x
      - .offset:         140
        .size:           2
        .value_kind:     hidden_remainder_y
      - .offset:         142
        .size:           2
        .value_kind:     hidden_remainder_z
      - .offset:         160
        .size:           8
        .value_kind:     hidden_global_offset_x
      - .offset:         168
        .size:           8
        .value_kind:     hidden_global_offset_y
      - .offset:         176
        .size:           8
        .value_kind:     hidden_global_offset_z
      - .offset:         184
        .size:           2
        .value_kind:     hidden_grid_dims
    .group_segment_fixed_size: 9600
    .kernarg_segment_align: 8
    .kernarg_segment_size: 376
    .language:       OpenCL C
    .language_version:
      - 2
      - 0
    .max_flat_workgroup_size: 256
    .name:           _ZL26rocblas_hemvn_kernel_lowerILb0ELi64ELi4ELi33ELi32ELi16EiPKdS1_PdEviT6_lT7_lT5_lS4_lS5_lS3_lT8_i
    .private_segment_fixed_size: 0
    .sgpr_count:     48
    .sgpr_spill_count: 0
    .symbol:         _ZL26rocblas_hemvn_kernel_lowerILb0ELi64ELi4ELi33ELi32ELi16EiPKdS1_PdEviT6_lT7_lT5_lS4_lS5_lS3_lT8_i.kd
    .uniform_work_group_size: 1
    .uses_dynamic_stack: false
    .vgpr_count:     115
    .vgpr_spill_count: 0
    .wavefront_size: 32
    .workgroup_processor_mode: 1
  - .args:
      - .offset:         0
        .size:           4
        .value_kind:     by_value
      - .address_space:  global
        .offset:         8
        .size:           8
        .value_kind:     global_buffer
      - .offset:         16
        .size:           8
        .value_kind:     by_value
      - .address_space:  global
        .offset:         24
        .size:           8
        .value_kind:     global_buffer
      - .offset:         32
        .size:           8
        .value_kind:     by_value
      - .address_space:  global
        .offset:         40
        .size:           8
        .value_kind:     global_buffer
      - .offset:         48
        .size:           8
        .value_kind:     by_value
      - .offset:         56
        .size:           4
        .value_kind:     by_value
      - .offset:         64
        .size:           8
        .value_kind:     by_value
      - .actual_access:  read_only
        .address_space:  global
        .offset:         72
        .size:           8
        .value_kind:     global_buffer
      - .offset:         80
        .size:           4
        .value_kind:     by_value
      - .offset:         88
        .size:           4
        .value_kind:     hidden_block_count_x
      - .offset:         92
        .size:           4
        .value_kind:     hidden_block_count_y
      - .offset:         96
        .size:           4
        .value_kind:     hidden_block_count_z
      - .offset:         100
        .size:           2
        .value_kind:     hidden_group_size_x
      - .offset:         102
        .size:           2
        .value_kind:     hidden_group_size_y
      - .offset:         104
        .size:           2
        .value_kind:     hidden_group_size_z
      - .offset:         106
        .size:           2
        .value_kind:     hidden_remainder_x
      - .offset:         108
        .size:           2
        .value_kind:     hidden_remainder_y
      - .offset:         110
        .size:           2
        .value_kind:     hidden_remainder_z
      - .offset:         128
        .size:           8
        .value_kind:     hidden_global_offset_x
      - .offset:         136
        .size:           8
        .value_kind:     hidden_global_offset_y
      - .offset:         144
        .size:           8
        .value_kind:     hidden_global_offset_z
      - .offset:         152
        .size:           2
        .value_kind:     hidden_grid_dims
    .group_segment_fixed_size: 0
    .kernarg_segment_align: 8
    .kernarg_segment_size: 344
    .language:       OpenCL C
    .language_version:
      - 2
      - 0
    .max_flat_workgroup_size: 64
    .name:           _ZL36rocblas_hemvn_kernel_lower_block_sumILi64EiPKdPddEviT1_lS3_lT2_lT0_lPT3_i
    .private_segment_fixed_size: 0
    .sgpr_count:     22
    .sgpr_spill_count: 0
    .symbol:         _ZL36rocblas_hemvn_kernel_lower_block_sumILi64EiPKdPddEviT1_lS3_lT2_lT0_lPT3_i.kd
    .uniform_work_group_size: 1
    .uses_dynamic_stack: false
    .vgpr_count:     7
    .vgpr_spill_count: 0
    .wavefront_size: 32
    .workgroup_processor_mode: 1
  - .args:
      - .offset:         0
        .size:           4
        .value_kind:     by_value
      - .offset:         8
        .size:           8
        .value_kind:     by_value
      - .offset:         16
        .size:           8
        .value_kind:     by_value
      - .address_space:  global
        .offset:         24
        .size:           8
        .value_kind:     global_buffer
      - .offset:         32
        .size:           8
        .value_kind:     by_value
      - .offset:         40
        .size:           8
        .value_kind:     by_value
      - .offset:         48
        .size:           8
        .value_kind:     by_value
      - .address_space:  global
        .offset:         56
        .size:           8
        .value_kind:     global_buffer
      - .offset:         64
        .size:           8
        .value_kind:     by_value
      - .offset:         72
        .size:           8
        .value_kind:     by_value
      - .offset:         80
        .size:           8
        .value_kind:     by_value
      - .offset:         88
        .size:           8
        .value_kind:     by_value
      - .offset:         96
        .size:           8
        .value_kind:     by_value
      - .address_space:  global
        .offset:         104
        .size:           8
        .value_kind:     global_buffer
      - .offset:         112
        .size:           4
        .value_kind:     by_value
      - .offset:         120
        .size:           4
        .value_kind:     hidden_block_count_x
      - .offset:         124
        .size:           4
        .value_kind:     hidden_block_count_y
      - .offset:         128
        .size:           4
        .value_kind:     hidden_block_count_z
      - .offset:         132
        .size:           2
        .value_kind:     hidden_group_size_x
      - .offset:         134
        .size:           2
        .value_kind:     hidden_group_size_y
      - .offset:         136
        .size:           2
        .value_kind:     hidden_group_size_z
      - .offset:         138
        .size:           2
        .value_kind:     hidden_remainder_x
      - .offset:         140
        .size:           2
        .value_kind:     hidden_remainder_y
      - .offset:         142
        .size:           2
        .value_kind:     hidden_remainder_z
      - .offset:         160
        .size:           8
        .value_kind:     hidden_global_offset_x
      - .offset:         168
        .size:           8
        .value_kind:     hidden_global_offset_y
      - .offset:         176
        .size:           8
        .value_kind:     hidden_global_offset_z
      - .offset:         184
        .size:           2
        .value_kind:     hidden_grid_dims
    .group_segment_fixed_size: 9600
    .kernarg_segment_align: 8
    .kernarg_segment_size: 376
    .language:       OpenCL C
    .language_version:
      - 2
      - 0
    .max_flat_workgroup_size: 256
    .name:           _ZL26rocblas_hemvn_kernel_lowerILb0ELi64ELi4ELi33ELi32ELi16EldPKdPdEviT6_lT7_lT5_lS4_lS5_lS3_lT8_i
    .private_segment_fixed_size: 0
    .sgpr_count:     48
    .sgpr_spill_count: 0
    .symbol:         _ZL26rocblas_hemvn_kernel_lowerILb0ELi64ELi4ELi33ELi32ELi16EldPKdPdEviT6_lT7_lT5_lS4_lS5_lS3_lT8_i.kd
    .uniform_work_group_size: 1
    .uses_dynamic_stack: false
    .vgpr_count:     117
    .vgpr_spill_count: 0
    .wavefront_size: 32
    .workgroup_processor_mode: 1
  - .args:
      - .offset:         0
        .size:           4
        .value_kind:     by_value
      - .offset:         8
        .size:           8
        .value_kind:     by_value
      - .offset:         16
        .size:           8
        .value_kind:     by_value
      - .offset:         24
        .size:           8
        .value_kind:     by_value
      - .offset:         32
        .size:           8
        .value_kind:     by_value
      - .address_space:  global
        .offset:         40
        .size:           8
        .value_kind:     global_buffer
      - .offset:         48
        .size:           8
        .value_kind:     by_value
      - .offset:         56
        .size:           8
        .value_kind:     by_value
      - .offset:         64
        .size:           8
        .value_kind:     by_value
      - .actual_access:  read_only
        .address_space:  global
        .offset:         72
        .size:           8
        .value_kind:     global_buffer
      - .offset:         80
        .size:           4
        .value_kind:     by_value
      - .offset:         88
        .size:           4
        .value_kind:     hidden_block_count_x
      - .offset:         92
        .size:           4
        .value_kind:     hidden_block_count_y
      - .offset:         96
        .size:           4
        .value_kind:     hidden_block_count_z
      - .offset:         100
        .size:           2
        .value_kind:     hidden_group_size_x
      - .offset:         102
        .size:           2
        .value_kind:     hidden_group_size_y
      - .offset:         104
        .size:           2
        .value_kind:     hidden_group_size_z
      - .offset:         106
        .size:           2
        .value_kind:     hidden_remainder_x
      - .offset:         108
        .size:           2
        .value_kind:     hidden_remainder_y
      - .offset:         110
        .size:           2
        .value_kind:     hidden_remainder_z
      - .offset:         128
        .size:           8
        .value_kind:     hidden_global_offset_x
      - .offset:         136
        .size:           8
        .value_kind:     hidden_global_offset_y
      - .offset:         144
        .size:           8
        .value_kind:     hidden_global_offset_z
      - .offset:         152
        .size:           2
        .value_kind:     hidden_grid_dims
    .group_segment_fixed_size: 0
    .kernarg_segment_align: 8
    .kernarg_segment_size: 344
    .language:       OpenCL C
    .language_version:
      - 2
      - 0
    .max_flat_workgroup_size: 64
    .name:           _ZL36rocblas_hemvn_kernel_lower_block_sumILi64EldPddEviT1_lS1_lT2_lT0_lPT3_i
    .private_segment_fixed_size: 0
    .sgpr_count:     22
    .sgpr_spill_count: 0
    .symbol:         _ZL36rocblas_hemvn_kernel_lower_block_sumILi64EldPddEviT1_lS1_lT2_lT0_lPT3_i.kd
    .uniform_work_group_size: 1
    .uses_dynamic_stack: false
    .vgpr_count:     9
    .vgpr_spill_count: 0
    .wavefront_size: 32
    .workgroup_processor_mode: 1
  - .args:
      - .offset:         0
        .size:           4
        .value_kind:     by_value
      - .offset:         8
        .size:           8
        .value_kind:     by_value
      - .offset:         16
        .size:           8
        .value_kind:     by_value
      - .address_space:  global
        .offset:         24
        .size:           8
        .value_kind:     global_buffer
      - .offset:         32
        .size:           8
        .value_kind:     by_value
      - .offset:         40
        .size:           4
        .value_kind:     by_value
      - .offset:         48
        .size:           8
        .value_kind:     by_value
      - .address_space:  global
        .offset:         56
        .size:           8
        .value_kind:     global_buffer
      - .offset:         64
        .size:           8
        .value_kind:     by_value
      - .offset:         72
        .size:           4
        .value_kind:     by_value
      - .offset:         80
        .size:           8
        .value_kind:     by_value
      - .offset:         88
        .size:           8
        .value_kind:     by_value
      - .offset:         96
        .size:           8
        .value_kind:     by_value
      - .address_space:  global
        .offset:         104
        .size:           8
        .value_kind:     global_buffer
      - .offset:         112
        .size:           4
        .value_kind:     by_value
      - .offset:         120
        .size:           4
        .value_kind:     hidden_block_count_x
      - .offset:         124
        .size:           4
        .value_kind:     hidden_block_count_y
      - .offset:         128
        .size:           4
        .value_kind:     hidden_block_count_z
      - .offset:         132
        .size:           2
        .value_kind:     hidden_group_size_x
      - .offset:         134
        .size:           2
        .value_kind:     hidden_group_size_y
      - .offset:         136
        .size:           2
        .value_kind:     hidden_group_size_z
      - .offset:         138
        .size:           2
        .value_kind:     hidden_remainder_x
      - .offset:         140
        .size:           2
        .value_kind:     hidden_remainder_y
      - .offset:         142
        .size:           2
        .value_kind:     hidden_remainder_z
      - .offset:         160
        .size:           8
        .value_kind:     hidden_global_offset_x
      - .offset:         168
        .size:           8
        .value_kind:     hidden_global_offset_y
      - .offset:         176
        .size:           8
        .value_kind:     hidden_global_offset_z
      - .offset:         184
        .size:           2
        .value_kind:     hidden_grid_dims
    .group_segment_fixed_size: 9600
    .kernarg_segment_align: 8
    .kernarg_segment_size: 376
    .language:       OpenCL C
    .language_version:
      - 2
      - 0
    .max_flat_workgroup_size: 256
    .name:           _ZL26rocblas_hemvn_kernel_lowerILb0ELi64ELi4ELi33ELi32ELi16EidPKdPdEviT6_lT7_lT5_lS4_lS5_lS3_lT8_i
    .private_segment_fixed_size: 0
    .sgpr_count:     48
    .sgpr_spill_count: 0
    .symbol:         _ZL26rocblas_hemvn_kernel_lowerILb0ELi64ELi4ELi33ELi32ELi16EidPKdPdEviT6_lT7_lT5_lS4_lS5_lS3_lT8_i.kd
    .uniform_work_group_size: 1
    .uses_dynamic_stack: false
    .vgpr_count:     115
    .vgpr_spill_count: 0
    .wavefront_size: 32
    .workgroup_processor_mode: 1
  - .args:
      - .offset:         0
        .size:           4
        .value_kind:     by_value
      - .offset:         8
        .size:           8
        .value_kind:     by_value
      - .offset:         16
        .size:           8
        .value_kind:     by_value
      - .offset:         24
        .size:           8
        .value_kind:     by_value
      - .offset:         32
        .size:           8
        .value_kind:     by_value
      - .address_space:  global
        .offset:         40
        .size:           8
        .value_kind:     global_buffer
      - .offset:         48
        .size:           8
        .value_kind:     by_value
      - .offset:         56
        .size:           4
        .value_kind:     by_value
      - .offset:         64
        .size:           8
        .value_kind:     by_value
      - .actual_access:  read_only
        .address_space:  global
        .offset:         72
        .size:           8
        .value_kind:     global_buffer
      - .offset:         80
        .size:           4
        .value_kind:     by_value
      - .offset:         88
        .size:           4
        .value_kind:     hidden_block_count_x
      - .offset:         92
        .size:           4
        .value_kind:     hidden_block_count_y
      - .offset:         96
        .size:           4
        .value_kind:     hidden_block_count_z
      - .offset:         100
        .size:           2
        .value_kind:     hidden_group_size_x
      - .offset:         102
        .size:           2
        .value_kind:     hidden_group_size_y
      - .offset:         104
        .size:           2
        .value_kind:     hidden_group_size_z
      - .offset:         106
        .size:           2
        .value_kind:     hidden_remainder_x
      - .offset:         108
        .size:           2
        .value_kind:     hidden_remainder_y
      - .offset:         110
        .size:           2
        .value_kind:     hidden_remainder_z
      - .offset:         128
        .size:           8
        .value_kind:     hidden_global_offset_x
      - .offset:         136
        .size:           8
        .value_kind:     hidden_global_offset_y
      - .offset:         144
        .size:           8
        .value_kind:     hidden_global_offset_z
      - .offset:         152
        .size:           2
        .value_kind:     hidden_grid_dims
    .group_segment_fixed_size: 0
    .kernarg_segment_align: 8
    .kernarg_segment_size: 344
    .language:       OpenCL C
    .language_version:
      - 2
      - 0
    .max_flat_workgroup_size: 64
    .name:           _ZL36rocblas_hemvn_kernel_lower_block_sumILi64EidPddEviT1_lS1_lT2_lT0_lPT3_i
    .private_segment_fixed_size: 0
    .sgpr_count:     22
    .sgpr_spill_count: 0
    .symbol:         _ZL36rocblas_hemvn_kernel_lower_block_sumILi64EidPddEviT1_lS1_lT2_lT0_lPT3_i.kd
    .uniform_work_group_size: 1
    .uses_dynamic_stack: false
    .vgpr_count:     7
    .vgpr_spill_count: 0
    .wavefront_size: 32
    .workgroup_processor_mode: 1
  - .args:
      - .offset:         0
        .size:           4
        .value_kind:     by_value
      - .address_space:  global
        .offset:         8
        .size:           8
        .value_kind:     global_buffer
      - .offset:         16
        .size:           8
        .value_kind:     by_value
      - .address_space:  global
        .offset:         24
        .size:           8
        .value_kind:     global_buffer
      - .offset:         32
        .size:           8
        .value_kind:     by_value
      - .offset:         40
        .size:           8
        .value_kind:     by_value
      - .offset:         48
        .size:           8
        .value_kind:     by_value
      - .address_space:  global
        .offset:         56
        .size:           8
        .value_kind:     global_buffer
      - .offset:         64
        .size:           8
        .value_kind:     by_value
      - .offset:         72
        .size:           8
        .value_kind:     by_value
      - .offset:         80
        .size:           8
        .value_kind:     by_value
      - .address_space:  global
        .offset:         88
        .size:           8
        .value_kind:     global_buffer
      - .offset:         96
        .size:           8
        .value_kind:     by_value
      - .address_space:  global
        .offset:         104
        .size:           8
        .value_kind:     global_buffer
      - .offset:         112
        .size:           4
        .value_kind:     by_value
      - .offset:         120
        .size:           4
        .value_kind:     hidden_block_count_x
      - .offset:         124
        .size:           4
        .value_kind:     hidden_block_count_y
      - .offset:         128
        .size:           4
        .value_kind:     hidden_block_count_z
      - .offset:         132
        .size:           2
        .value_kind:     hidden_group_size_x
      - .offset:         134
        .size:           2
        .value_kind:     hidden_group_size_y
      - .offset:         136
        .size:           2
        .value_kind:     hidden_group_size_z
      - .offset:         138
        .size:           2
        .value_kind:     hidden_remainder_x
      - .offset:         140
        .size:           2
        .value_kind:     hidden_remainder_y
      - .offset:         142
        .size:           2
        .value_kind:     hidden_remainder_z
      - .offset:         160
        .size:           8
        .value_kind:     hidden_global_offset_x
      - .offset:         168
        .size:           8
        .value_kind:     hidden_global_offset_y
      - .offset:         176
        .size:           8
        .value_kind:     hidden_global_offset_z
      - .offset:         184
        .size:           2
        .value_kind:     hidden_grid_dims
    .group_segment_fixed_size: 9600
    .kernarg_segment_align: 8
    .kernarg_segment_size: 376
    .language:       OpenCL C
    .language_version:
      - 2
      - 0
    .max_flat_workgroup_size: 256
    .name:           _ZL26rocblas_hemvn_kernel_upperILb0ELi64ELi4ELi33ELi32ELi16ElPK19rocblas_complex_numIfES3_PS1_EviT6_lT7_lT5_lS6_lS7_lS5_lT8_i
    .private_segment_fixed_size: 0
    .sgpr_count:     46
    .sgpr_spill_count: 0
    .symbol:         _ZL26rocblas_hemvn_kernel_upperILb0ELi64ELi4ELi33ELi32ELi16ElPK19rocblas_complex_numIfES3_PS1_EviT6_lT7_lT5_lS6_lS7_lS5_lT8_i.kd
    .uniform_work_group_size: 1
    .uses_dynamic_stack: false
    .vgpr_count:     161
    .vgpr_spill_count: 0
    .wavefront_size: 32
    .workgroup_processor_mode: 1
  - .args:
      - .offset:         0
        .size:           4
        .value_kind:     by_value
      - .address_space:  global
        .offset:         8
        .size:           8
        .value_kind:     global_buffer
      - .offset:         16
        .size:           8
        .value_kind:     by_value
      - .address_space:  global
        .offset:         24
        .size:           8
        .value_kind:     global_buffer
      - .offset:         32
        .size:           8
        .value_kind:     by_value
      - .offset:         40
        .size:           4
        .value_kind:     by_value
      - .offset:         48
        .size:           8
        .value_kind:     by_value
      - .address_space:  global
        .offset:         56
        .size:           8
        .value_kind:     global_buffer
      - .offset:         64
        .size:           8
        .value_kind:     by_value
      - .offset:         72
        .size:           4
        .value_kind:     by_value
      - .offset:         80
        .size:           8
        .value_kind:     by_value
      - .address_space:  global
        .offset:         88
        .size:           8
        .value_kind:     global_buffer
      - .offset:         96
        .size:           8
        .value_kind:     by_value
      - .address_space:  global
        .offset:         104
        .size:           8
        .value_kind:     global_buffer
      - .offset:         112
        .size:           4
        .value_kind:     by_value
      - .offset:         120
        .size:           4
        .value_kind:     hidden_block_count_x
      - .offset:         124
        .size:           4
        .value_kind:     hidden_block_count_y
      - .offset:         128
        .size:           4
        .value_kind:     hidden_block_count_z
      - .offset:         132
        .size:           2
        .value_kind:     hidden_group_size_x
      - .offset:         134
        .size:           2
        .value_kind:     hidden_group_size_y
      - .offset:         136
        .size:           2
        .value_kind:     hidden_group_size_z
      - .offset:         138
        .size:           2
        .value_kind:     hidden_remainder_x
      - .offset:         140
        .size:           2
        .value_kind:     hidden_remainder_y
      - .offset:         142
        .size:           2
        .value_kind:     hidden_remainder_z
      - .offset:         160
        .size:           8
        .value_kind:     hidden_global_offset_x
      - .offset:         168
        .size:           8
        .value_kind:     hidden_global_offset_y
      - .offset:         176
        .size:           8
        .value_kind:     hidden_global_offset_z
      - .offset:         184
        .size:           2
        .value_kind:     hidden_grid_dims
    .group_segment_fixed_size: 9600
    .kernarg_segment_align: 8
    .kernarg_segment_size: 376
    .language:       OpenCL C
    .language_version:
      - 2
      - 0
    .max_flat_workgroup_size: 256
    .name:           _ZL26rocblas_hemvn_kernel_upperILb0ELi64ELi4ELi33ELi32ELi16EiPK19rocblas_complex_numIfES3_PS1_EviT6_lT7_lT5_lS6_lS7_lS5_lT8_i
    .private_segment_fixed_size: 0
    .sgpr_count:     40
    .sgpr_spill_count: 0
    .symbol:         _ZL26rocblas_hemvn_kernel_upperILb0ELi64ELi4ELi33ELi32ELi16EiPK19rocblas_complex_numIfES3_PS1_EviT6_lT7_lT5_lS6_lS7_lS5_lT8_i.kd
    .uniform_work_group_size: 1
    .uses_dynamic_stack: false
    .vgpr_count:     171
    .vgpr_spill_count: 0
    .wavefront_size: 32
    .workgroup_processor_mode: 1
  - .args:
      - .offset:         0
        .size:           4
        .value_kind:     by_value
      - .offset:         4
        .size:           8
        .value_kind:     by_value
      - .offset:         16
        .size:           8
        .value_kind:     by_value
      - .address_space:  global
        .offset:         24
        .size:           8
        .value_kind:     global_buffer
      - .offset:         32
        .size:           8
        .value_kind:     by_value
      - .offset:         40
        .size:           8
        .value_kind:     by_value
      - .offset:         48
        .size:           8
        .value_kind:     by_value
      - .address_space:  global
        .offset:         56
        .size:           8
        .value_kind:     global_buffer
      - .offset:         64
        .size:           8
        .value_kind:     by_value
      - .offset:         72
        .size:           8
        .value_kind:     by_value
      - .offset:         80
        .size:           8
        .value_kind:     by_value
      - .offset:         88
        .size:           8
        .value_kind:     by_value
      - .offset:         96
        .size:           8
        .value_kind:     by_value
      - .address_space:  global
        .offset:         104
        .size:           8
        .value_kind:     global_buffer
      - .offset:         112
        .size:           4
        .value_kind:     by_value
      - .offset:         120
        .size:           4
        .value_kind:     hidden_block_count_x
      - .offset:         124
        .size:           4
        .value_kind:     hidden_block_count_y
      - .offset:         128
        .size:           4
        .value_kind:     hidden_block_count_z
      - .offset:         132
        .size:           2
        .value_kind:     hidden_group_size_x
      - .offset:         134
        .size:           2
        .value_kind:     hidden_group_size_y
      - .offset:         136
        .size:           2
        .value_kind:     hidden_group_size_z
      - .offset:         138
        .size:           2
        .value_kind:     hidden_remainder_x
      - .offset:         140
        .size:           2
        .value_kind:     hidden_remainder_y
      - .offset:         142
        .size:           2
        .value_kind:     hidden_remainder_z
      - .offset:         160
        .size:           8
        .value_kind:     hidden_global_offset_x
      - .offset:         168
        .size:           8
        .value_kind:     hidden_global_offset_y
      - .offset:         176
        .size:           8
        .value_kind:     hidden_global_offset_z
      - .offset:         184
        .size:           2
        .value_kind:     hidden_grid_dims
    .group_segment_fixed_size: 9600
    .kernarg_segment_align: 8
    .kernarg_segment_size: 376
    .language:       OpenCL C
    .language_version:
      - 2
      - 0
    .max_flat_workgroup_size: 256
    .name:           _ZL26rocblas_hemvn_kernel_upperILb0ELi64ELi4ELi33ELi32ELi16El19rocblas_complex_numIfEPKS1_PS1_EviT6_lT7_lT5_lS6_lS7_lS5_lT8_i
    .private_segment_fixed_size: 0
    .sgpr_count:     34
    .sgpr_spill_count: 0
    .symbol:         _ZL26rocblas_hemvn_kernel_upperILb0ELi64ELi4ELi33ELi32ELi16El19rocblas_complex_numIfEPKS1_PS1_EviT6_lT7_lT5_lS6_lS7_lS5_lT8_i.kd
    .uniform_work_group_size: 1
    .uses_dynamic_stack: false
    .vgpr_count:     161
    .vgpr_spill_count: 0
    .wavefront_size: 32
    .workgroup_processor_mode: 1
  - .args:
      - .offset:         0
        .size:           4
        .value_kind:     by_value
      - .offset:         4
        .size:           8
        .value_kind:     by_value
      - .offset:         16
        .size:           8
        .value_kind:     by_value
      - .address_space:  global
        .offset:         24
        .size:           8
        .value_kind:     global_buffer
      - .offset:         32
        .size:           8
        .value_kind:     by_value
      - .offset:         40
        .size:           4
        .value_kind:     by_value
      - .offset:         48
        .size:           8
        .value_kind:     by_value
      - .address_space:  global
        .offset:         56
        .size:           8
        .value_kind:     global_buffer
      - .offset:         64
        .size:           8
        .value_kind:     by_value
      - .offset:         72
        .size:           4
        .value_kind:     by_value
      - .offset:         80
        .size:           8
        .value_kind:     by_value
      - .offset:         88
        .size:           8
        .value_kind:     by_value
      - .offset:         96
        .size:           8
        .value_kind:     by_value
      - .address_space:  global
        .offset:         104
        .size:           8
        .value_kind:     global_buffer
      - .offset:         112
        .size:           4
        .value_kind:     by_value
      - .offset:         120
        .size:           4
        .value_kind:     hidden_block_count_x
      - .offset:         124
        .size:           4
        .value_kind:     hidden_block_count_y
      - .offset:         128
        .size:           4
        .value_kind:     hidden_block_count_z
      - .offset:         132
        .size:           2
        .value_kind:     hidden_group_size_x
      - .offset:         134
        .size:           2
        .value_kind:     hidden_group_size_y
      - .offset:         136
        .size:           2
        .value_kind:     hidden_group_size_z
      - .offset:         138
        .size:           2
        .value_kind:     hidden_remainder_x
      - .offset:         140
        .size:           2
        .value_kind:     hidden_remainder_y
      - .offset:         142
        .size:           2
        .value_kind:     hidden_remainder_z
      - .offset:         160
        .size:           8
        .value_kind:     hidden_global_offset_x
      - .offset:         168
        .size:           8
        .value_kind:     hidden_global_offset_y
      - .offset:         176
        .size:           8
        .value_kind:     hidden_global_offset_z
      - .offset:         184
        .size:           2
        .value_kind:     hidden_grid_dims
    .group_segment_fixed_size: 9600
    .kernarg_segment_align: 8
    .kernarg_segment_size: 376
    .language:       OpenCL C
    .language_version:
      - 2
      - 0
    .max_flat_workgroup_size: 256
    .name:           _ZL26rocblas_hemvn_kernel_upperILb0ELi64ELi4ELi33ELi32ELi16Ei19rocblas_complex_numIfEPKS1_PS1_EviT6_lT7_lT5_lS6_lS7_lS5_lT8_i
    .private_segment_fixed_size: 0
    .sgpr_count:     40
    .sgpr_spill_count: 0
    .symbol:         _ZL26rocblas_hemvn_kernel_upperILb0ELi64ELi4ELi33ELi32ELi16Ei19rocblas_complex_numIfEPKS1_PS1_EviT6_lT7_lT5_lS6_lS7_lS5_lT8_i.kd
    .uniform_work_group_size: 1
    .uses_dynamic_stack: false
    .vgpr_count:     171
    .vgpr_spill_count: 0
    .wavefront_size: 32
    .workgroup_processor_mode: 1
  - .args:
      - .offset:         0
        .size:           4
        .value_kind:     by_value
      - .address_space:  global
        .offset:         8
        .size:           8
        .value_kind:     global_buffer
      - .offset:         16
        .size:           8
        .value_kind:     by_value
      - .address_space:  global
        .offset:         24
        .size:           8
        .value_kind:     global_buffer
      - .offset:         32
        .size:           8
        .value_kind:     by_value
      - .offset:         40
        .size:           8
        .value_kind:     by_value
      - .offset:         48
        .size:           8
        .value_kind:     by_value
      - .address_space:  global
        .offset:         56
        .size:           8
        .value_kind:     global_buffer
      - .offset:         64
        .size:           8
        .value_kind:     by_value
      - .offset:         72
        .size:           8
        .value_kind:     by_value
      - .offset:         80
        .size:           8
        .value_kind:     by_value
      - .address_space:  global
        .offset:         88
        .size:           8
        .value_kind:     global_buffer
      - .offset:         96
        .size:           8
        .value_kind:     by_value
      - .address_space:  global
        .offset:         104
        .size:           8
        .value_kind:     global_buffer
      - .offset:         112
        .size:           4
        .value_kind:     by_value
      - .offset:         120
        .size:           4
        .value_kind:     hidden_block_count_x
      - .offset:         124
        .size:           4
        .value_kind:     hidden_block_count_y
      - .offset:         128
        .size:           4
        .value_kind:     hidden_block_count_z
      - .offset:         132
        .size:           2
        .value_kind:     hidden_group_size_x
      - .offset:         134
        .size:           2
        .value_kind:     hidden_group_size_y
      - .offset:         136
        .size:           2
        .value_kind:     hidden_group_size_z
      - .offset:         138
        .size:           2
        .value_kind:     hidden_remainder_x
      - .offset:         140
        .size:           2
        .value_kind:     hidden_remainder_y
      - .offset:         142
        .size:           2
        .value_kind:     hidden_remainder_z
      - .offset:         160
        .size:           8
        .value_kind:     hidden_global_offset_x
      - .offset:         168
        .size:           8
        .value_kind:     hidden_global_offset_y
      - .offset:         176
        .size:           8
        .value_kind:     hidden_global_offset_z
      - .offset:         184
        .size:           2
        .value_kind:     hidden_grid_dims
    .group_segment_fixed_size: 9600
    .kernarg_segment_align: 8
    .kernarg_segment_size: 376
    .language:       OpenCL C
    .language_version:
      - 2
      - 0
    .max_flat_workgroup_size: 256
    .name:           _ZL26rocblas_hemvn_kernel_lowerILb0ELi64ELi4ELi33ELi32ELi16ElPK19rocblas_complex_numIfES3_PS1_EviT6_lT7_lT5_lS6_lS7_lS5_lT8_i
    .private_segment_fixed_size: 0
    .sgpr_count:     48
    .sgpr_spill_count: 0
    .symbol:         _ZL26rocblas_hemvn_kernel_lowerILb0ELi64ELi4ELi33ELi32ELi16ElPK19rocblas_complex_numIfES3_PS1_EviT6_lT7_lT5_lS6_lS7_lS5_lT8_i.kd
    .uniform_work_group_size: 1
    .uses_dynamic_stack: false
    .vgpr_count:     114
    .vgpr_spill_count: 0
    .wavefront_size: 32
    .workgroup_processor_mode: 1
  - .args:
      - .offset:         0
        .size:           4
        .value_kind:     by_value
      - .address_space:  global
        .offset:         8
        .size:           8
        .value_kind:     global_buffer
      - .offset:         16
        .size:           8
        .value_kind:     by_value
      - .address_space:  global
        .offset:         24
        .size:           8
        .value_kind:     global_buffer
      - .offset:         32
        .size:           8
        .value_kind:     by_value
      - .offset:         40
        .size:           4
        .value_kind:     by_value
      - .offset:         48
        .size:           8
        .value_kind:     by_value
      - .address_space:  global
        .offset:         56
        .size:           8
        .value_kind:     global_buffer
      - .offset:         64
        .size:           8
        .value_kind:     by_value
      - .offset:         72
        .size:           4
        .value_kind:     by_value
      - .offset:         80
        .size:           8
        .value_kind:     by_value
      - .address_space:  global
        .offset:         88
        .size:           8
        .value_kind:     global_buffer
      - .offset:         96
        .size:           8
        .value_kind:     by_value
      - .address_space:  global
        .offset:         104
        .size:           8
        .value_kind:     global_buffer
      - .offset:         112
        .size:           4
        .value_kind:     by_value
      - .offset:         120
        .size:           4
        .value_kind:     hidden_block_count_x
      - .offset:         124
        .size:           4
        .value_kind:     hidden_block_count_y
      - .offset:         128
        .size:           4
        .value_kind:     hidden_block_count_z
      - .offset:         132
        .size:           2
        .value_kind:     hidden_group_size_x
      - .offset:         134
        .size:           2
        .value_kind:     hidden_group_size_y
      - .offset:         136
        .size:           2
        .value_kind:     hidden_group_size_z
      - .offset:         138
        .size:           2
        .value_kind:     hidden_remainder_x
      - .offset:         140
        .size:           2
        .value_kind:     hidden_remainder_y
      - .offset:         142
        .size:           2
        .value_kind:     hidden_remainder_z
      - .offset:         160
        .size:           8
        .value_kind:     hidden_global_offset_x
      - .offset:         168
        .size:           8
        .value_kind:     hidden_global_offset_y
      - .offset:         176
        .size:           8
        .value_kind:     hidden_global_offset_z
      - .offset:         184
        .size:           2
        .value_kind:     hidden_grid_dims
    .group_segment_fixed_size: 9600
    .kernarg_segment_align: 8
    .kernarg_segment_size: 376
    .language:       OpenCL C
    .language_version:
      - 2
      - 0
    .max_flat_workgroup_size: 256
    .name:           _ZL26rocblas_hemvn_kernel_lowerILb0ELi64ELi4ELi33ELi32ELi16EiPK19rocblas_complex_numIfES3_PS1_EviT6_lT7_lT5_lS6_lS7_lS5_lT8_i
    .private_segment_fixed_size: 0
    .sgpr_count:     48
    .sgpr_spill_count: 0
    .symbol:         _ZL26rocblas_hemvn_kernel_lowerILb0ELi64ELi4ELi33ELi32ELi16EiPK19rocblas_complex_numIfES3_PS1_EviT6_lT7_lT5_lS6_lS7_lS5_lT8_i.kd
    .uniform_work_group_size: 1
    .uses_dynamic_stack: false
    .vgpr_count:     113
    .vgpr_spill_count: 0
    .wavefront_size: 32
    .workgroup_processor_mode: 1
  - .args:
      - .offset:         0
        .size:           4
        .value_kind:     by_value
      - .offset:         4
        .size:           8
        .value_kind:     by_value
      - .offset:         16
        .size:           8
        .value_kind:     by_value
      - .address_space:  global
        .offset:         24
        .size:           8
        .value_kind:     global_buffer
      - .offset:         32
        .size:           8
        .value_kind:     by_value
      - .offset:         40
        .size:           8
        .value_kind:     by_value
      - .offset:         48
        .size:           8
        .value_kind:     by_value
      - .address_space:  global
        .offset:         56
        .size:           8
        .value_kind:     global_buffer
      - .offset:         64
        .size:           8
        .value_kind:     by_value
      - .offset:         72
        .size:           8
        .value_kind:     by_value
      - .offset:         80
        .size:           8
        .value_kind:     by_value
      - .offset:         88
        .size:           8
        .value_kind:     by_value
      - .offset:         96
        .size:           8
        .value_kind:     by_value
      - .address_space:  global
        .offset:         104
        .size:           8
        .value_kind:     global_buffer
      - .offset:         112
        .size:           4
        .value_kind:     by_value
      - .offset:         120
        .size:           4
        .value_kind:     hidden_block_count_x
      - .offset:         124
        .size:           4
        .value_kind:     hidden_block_count_y
      - .offset:         128
        .size:           4
        .value_kind:     hidden_block_count_z
      - .offset:         132
        .size:           2
        .value_kind:     hidden_group_size_x
      - .offset:         134
        .size:           2
        .value_kind:     hidden_group_size_y
      - .offset:         136
        .size:           2
        .value_kind:     hidden_group_size_z
      - .offset:         138
        .size:           2
        .value_kind:     hidden_remainder_x
      - .offset:         140
        .size:           2
        .value_kind:     hidden_remainder_y
      - .offset:         142
        .size:           2
        .value_kind:     hidden_remainder_z
      - .offset:         160
        .size:           8
        .value_kind:     hidden_global_offset_x
      - .offset:         168
        .size:           8
        .value_kind:     hidden_global_offset_y
      - .offset:         176
        .size:           8
        .value_kind:     hidden_global_offset_z
      - .offset:         184
        .size:           2
        .value_kind:     hidden_grid_dims
    .group_segment_fixed_size: 9600
    .kernarg_segment_align: 8
    .kernarg_segment_size: 376
    .language:       OpenCL C
    .language_version:
      - 2
      - 0
    .max_flat_workgroup_size: 256
    .name:           _ZL26rocblas_hemvn_kernel_lowerILb0ELi64ELi4ELi33ELi32ELi16El19rocblas_complex_numIfEPKS1_PS1_EviT6_lT7_lT5_lS6_lS7_lS5_lT8_i
    .private_segment_fixed_size: 0
    .sgpr_count:     48
    .sgpr_spill_count: 0
    .symbol:         _ZL26rocblas_hemvn_kernel_lowerILb0ELi64ELi4ELi33ELi32ELi16El19rocblas_complex_numIfEPKS1_PS1_EviT6_lT7_lT5_lS6_lS7_lS5_lT8_i.kd
    .uniform_work_group_size: 1
    .uses_dynamic_stack: false
    .vgpr_count:     114
    .vgpr_spill_count: 0
    .wavefront_size: 32
    .workgroup_processor_mode: 1
  - .args:
      - .offset:         0
        .size:           4
        .value_kind:     by_value
      - .offset:         4
        .size:           8
        .value_kind:     by_value
      - .offset:         16
        .size:           8
        .value_kind:     by_value
      - .address_space:  global
        .offset:         24
        .size:           8
        .value_kind:     global_buffer
      - .offset:         32
        .size:           8
        .value_kind:     by_value
      - .offset:         40
        .size:           4
        .value_kind:     by_value
      - .offset:         48
        .size:           8
        .value_kind:     by_value
      - .address_space:  global
        .offset:         56
        .size:           8
        .value_kind:     global_buffer
      - .offset:         64
        .size:           8
        .value_kind:     by_value
      - .offset:         72
        .size:           4
        .value_kind:     by_value
      - .offset:         80
        .size:           8
        .value_kind:     by_value
      - .offset:         88
        .size:           8
        .value_kind:     by_value
      - .offset:         96
        .size:           8
        .value_kind:     by_value
      - .address_space:  global
        .offset:         104
        .size:           8
        .value_kind:     global_buffer
      - .offset:         112
        .size:           4
        .value_kind:     by_value
      - .offset:         120
        .size:           4
        .value_kind:     hidden_block_count_x
      - .offset:         124
        .size:           4
        .value_kind:     hidden_block_count_y
      - .offset:         128
        .size:           4
        .value_kind:     hidden_block_count_z
      - .offset:         132
        .size:           2
        .value_kind:     hidden_group_size_x
      - .offset:         134
        .size:           2
        .value_kind:     hidden_group_size_y
      - .offset:         136
        .size:           2
        .value_kind:     hidden_group_size_z
      - .offset:         138
        .size:           2
        .value_kind:     hidden_remainder_x
      - .offset:         140
        .size:           2
        .value_kind:     hidden_remainder_y
      - .offset:         142
        .size:           2
        .value_kind:     hidden_remainder_z
      - .offset:         160
        .size:           8
        .value_kind:     hidden_global_offset_x
      - .offset:         168
        .size:           8
        .value_kind:     hidden_global_offset_y
      - .offset:         176
        .size:           8
        .value_kind:     hidden_global_offset_z
      - .offset:         184
        .size:           2
        .value_kind:     hidden_grid_dims
    .group_segment_fixed_size: 9600
    .kernarg_segment_align: 8
    .kernarg_segment_size: 376
    .language:       OpenCL C
    .language_version:
      - 2
      - 0
    .max_flat_workgroup_size: 256
    .name:           _ZL26rocblas_hemvn_kernel_lowerILb0ELi64ELi4ELi33ELi32ELi16Ei19rocblas_complex_numIfEPKS1_PS1_EviT6_lT7_lT5_lS6_lS7_lS5_lT8_i
    .private_segment_fixed_size: 0
    .sgpr_count:     48
    .sgpr_spill_count: 0
    .symbol:         _ZL26rocblas_hemvn_kernel_lowerILb0ELi64ELi4ELi33ELi32ELi16Ei19rocblas_complex_numIfEPKS1_PS1_EviT6_lT7_lT5_lS6_lS7_lS5_lT8_i.kd
    .uniform_work_group_size: 1
    .uses_dynamic_stack: false
    .vgpr_count:     113
    .vgpr_spill_count: 0
    .wavefront_size: 32
    .workgroup_processor_mode: 1
  - .args:
      - .offset:         0
        .size:           4
        .value_kind:     by_value
      - .address_space:  global
        .offset:         8
        .size:           8
        .value_kind:     global_buffer
      - .offset:         16
        .size:           8
        .value_kind:     by_value
      - .address_space:  global
        .offset:         24
        .size:           8
        .value_kind:     global_buffer
      - .offset:         32
        .size:           8
        .value_kind:     by_value
      - .offset:         40
        .size:           8
        .value_kind:     by_value
      - .offset:         48
        .size:           8
        .value_kind:     by_value
      - .address_space:  global
        .offset:         56
        .size:           8
        .value_kind:     global_buffer
      - .offset:         64
        .size:           8
        .value_kind:     by_value
      - .offset:         72
        .size:           8
        .value_kind:     by_value
      - .offset:         80
        .size:           8
        .value_kind:     by_value
      - .address_space:  global
        .offset:         88
        .size:           8
        .value_kind:     global_buffer
      - .offset:         96
        .size:           8
        .value_kind:     by_value
      - .address_space:  global
        .offset:         104
        .size:           8
        .value_kind:     global_buffer
      - .offset:         112
        .size:           4
        .value_kind:     by_value
      - .offset:         120
        .size:           4
        .value_kind:     hidden_block_count_x
      - .offset:         124
        .size:           4
        .value_kind:     hidden_block_count_y
      - .offset:         128
        .size:           4
        .value_kind:     hidden_block_count_z
      - .offset:         132
        .size:           2
        .value_kind:     hidden_group_size_x
      - .offset:         134
        .size:           2
        .value_kind:     hidden_group_size_y
      - .offset:         136
        .size:           2
        .value_kind:     hidden_group_size_z
      - .offset:         138
        .size:           2
        .value_kind:     hidden_remainder_x
      - .offset:         140
        .size:           2
        .value_kind:     hidden_remainder_y
      - .offset:         142
        .size:           2
        .value_kind:     hidden_remainder_z
      - .offset:         160
        .size:           8
        .value_kind:     hidden_global_offset_x
      - .offset:         168
        .size:           8
        .value_kind:     hidden_global_offset_y
      - .offset:         176
        .size:           8
        .value_kind:     hidden_global_offset_z
      - .offset:         184
        .size:           2
        .value_kind:     hidden_grid_dims
    .group_segment_fixed_size: 19200
    .kernarg_segment_align: 8
    .kernarg_segment_size: 376
    .language:       OpenCL C
    .language_version:
      - 2
      - 0
    .max_flat_workgroup_size: 256
    .name:           _ZL26rocblas_hemvn_kernel_upperILb0ELi64ELi4ELi33ELi32ELi16ElPK19rocblas_complex_numIdES3_PS1_EviT6_lT7_lT5_lS6_lS7_lS5_lT8_i
    .private_segment_fixed_size: 20
    .sgpr_count:     46
    .sgpr_spill_count: 0
    .symbol:         _ZL26rocblas_hemvn_kernel_upperILb0ELi64ELi4ELi33ELi32ELi16ElPK19rocblas_complex_numIdES3_PS1_EviT6_lT7_lT5_lS6_lS7_lS5_lT8_i.kd
    .uniform_work_group_size: 1
    .uses_dynamic_stack: false
    .vgpr_count:     256
    .vgpr_spill_count: 4
    .wavefront_size: 32
    .workgroup_processor_mode: 1
  - .args:
      - .offset:         0
        .size:           4
        .value_kind:     by_value
      - .address_space:  global
        .offset:         8
        .size:           8
        .value_kind:     global_buffer
      - .offset:         16
        .size:           8
        .value_kind:     by_value
      - .address_space:  global
        .offset:         24
        .size:           8
        .value_kind:     global_buffer
      - .offset:         32
        .size:           8
        .value_kind:     by_value
      - .offset:         40
        .size:           4
        .value_kind:     by_value
      - .offset:         48
        .size:           8
        .value_kind:     by_value
      - .address_space:  global
        .offset:         56
        .size:           8
        .value_kind:     global_buffer
      - .offset:         64
        .size:           8
        .value_kind:     by_value
      - .offset:         72
        .size:           4
        .value_kind:     by_value
      - .offset:         80
        .size:           8
        .value_kind:     by_value
      - .address_space:  global
        .offset:         88
        .size:           8
        .value_kind:     global_buffer
      - .offset:         96
        .size:           8
        .value_kind:     by_value
      - .address_space:  global
        .offset:         104
        .size:           8
        .value_kind:     global_buffer
      - .offset:         112
        .size:           4
        .value_kind:     by_value
      - .offset:         120
        .size:           4
        .value_kind:     hidden_block_count_x
      - .offset:         124
        .size:           4
        .value_kind:     hidden_block_count_y
      - .offset:         128
        .size:           4
        .value_kind:     hidden_block_count_z
      - .offset:         132
        .size:           2
        .value_kind:     hidden_group_size_x
      - .offset:         134
        .size:           2
        .value_kind:     hidden_group_size_y
      - .offset:         136
        .size:           2
        .value_kind:     hidden_group_size_z
      - .offset:         138
        .size:           2
        .value_kind:     hidden_remainder_x
      - .offset:         140
        .size:           2
        .value_kind:     hidden_remainder_y
      - .offset:         142
        .size:           2
        .value_kind:     hidden_remainder_z
      - .offset:         160
        .size:           8
        .value_kind:     hidden_global_offset_x
      - .offset:         168
        .size:           8
        .value_kind:     hidden_global_offset_y
      - .offset:         176
        .size:           8
        .value_kind:     hidden_global_offset_z
      - .offset:         184
        .size:           2
        .value_kind:     hidden_grid_dims
    .group_segment_fixed_size: 19200
    .kernarg_segment_align: 8
    .kernarg_segment_size: 376
    .language:       OpenCL C
    .language_version:
      - 2
      - 0
    .max_flat_workgroup_size: 256
    .name:           _ZL26rocblas_hemvn_kernel_upperILb0ELi64ELi4ELi33ELi32ELi16EiPK19rocblas_complex_numIdES3_PS1_EviT6_lT7_lT5_lS6_lS7_lS5_lT8_i
    .private_segment_fixed_size: 24
    .sgpr_count:     37
    .sgpr_spill_count: 0
    .symbol:         _ZL26rocblas_hemvn_kernel_upperILb0ELi64ELi4ELi33ELi32ELi16EiPK19rocblas_complex_numIdES3_PS1_EviT6_lT7_lT5_lS6_lS7_lS5_lT8_i.kd
    .uniform_work_group_size: 1
    .uses_dynamic_stack: false
    .vgpr_count:     256
    .vgpr_spill_count: 5
    .wavefront_size: 32
    .workgroup_processor_mode: 1
  - .args:
      - .offset:         0
        .size:           4
        .value_kind:     by_value
      - .offset:         8
        .size:           16
        .value_kind:     by_value
      - .offset:         24
        .size:           8
        .value_kind:     by_value
      - .address_space:  global
        .offset:         32
        .size:           8
        .value_kind:     global_buffer
      - .offset:         40
        .size:           8
        .value_kind:     by_value
      - .offset:         48
        .size:           8
        .value_kind:     by_value
      - .offset:         56
        .size:           8
        .value_kind:     by_value
      - .address_space:  global
        .offset:         64
        .size:           8
        .value_kind:     global_buffer
      - .offset:         72
        .size:           8
        .value_kind:     by_value
      - .offset:         80
        .size:           8
        .value_kind:     by_value
      - .offset:         88
        .size:           8
        .value_kind:     by_value
      - .offset:         96
        .size:           16
        .value_kind:     by_value
      - .offset:         112
        .size:           8
        .value_kind:     by_value
      - .address_space:  global
        .offset:         120
        .size:           8
        .value_kind:     global_buffer
      - .offset:         128
        .size:           4
        .value_kind:     by_value
      - .offset:         136
        .size:           4
        .value_kind:     hidden_block_count_x
      - .offset:         140
        .size:           4
        .value_kind:     hidden_block_count_y
      - .offset:         144
        .size:           4
        .value_kind:     hidden_block_count_z
      - .offset:         148
        .size:           2
        .value_kind:     hidden_group_size_x
      - .offset:         150
        .size:           2
        .value_kind:     hidden_group_size_y
      - .offset:         152
        .size:           2
        .value_kind:     hidden_group_size_z
      - .offset:         154
        .size:           2
        .value_kind:     hidden_remainder_x
      - .offset:         156
        .size:           2
        .value_kind:     hidden_remainder_y
      - .offset:         158
        .size:           2
        .value_kind:     hidden_remainder_z
      - .offset:         176
        .size:           8
        .value_kind:     hidden_global_offset_x
      - .offset:         184
        .size:           8
        .value_kind:     hidden_global_offset_y
      - .offset:         192
        .size:           8
        .value_kind:     hidden_global_offset_z
      - .offset:         200
        .size:           2
        .value_kind:     hidden_grid_dims
    .group_segment_fixed_size: 19200
    .kernarg_segment_align: 8
    .kernarg_segment_size: 392
    .language:       OpenCL C
    .language_version:
      - 2
      - 0
    .max_flat_workgroup_size: 256
    .name:           _ZL26rocblas_hemvn_kernel_upperILb0ELi64ELi4ELi33ELi32ELi16El19rocblas_complex_numIdEPKS1_PS1_EviT6_lT7_lT5_lS6_lS7_lS5_lT8_i
    .private_segment_fixed_size: 20
    .sgpr_count:     34
    .sgpr_spill_count: 0
    .symbol:         _ZL26rocblas_hemvn_kernel_upperILb0ELi64ELi4ELi33ELi32ELi16El19rocblas_complex_numIdEPKS1_PS1_EviT6_lT7_lT5_lS6_lS7_lS5_lT8_i.kd
    .uniform_work_group_size: 1
    .uses_dynamic_stack: false
    .vgpr_count:     256
    .vgpr_spill_count: 4
    .wavefront_size: 32
    .workgroup_processor_mode: 1
  - .args:
      - .offset:         0
        .size:           4
        .value_kind:     by_value
      - .offset:         8
        .size:           16
        .value_kind:     by_value
      - .offset:         24
        .size:           8
        .value_kind:     by_value
      - .address_space:  global
        .offset:         32
        .size:           8
        .value_kind:     global_buffer
      - .offset:         40
        .size:           8
        .value_kind:     by_value
      - .offset:         48
        .size:           4
        .value_kind:     by_value
      - .offset:         56
        .size:           8
        .value_kind:     by_value
      - .address_space:  global
        .offset:         64
        .size:           8
        .value_kind:     global_buffer
      - .offset:         72
        .size:           8
        .value_kind:     by_value
      - .offset:         80
        .size:           4
        .value_kind:     by_value
      - .offset:         88
        .size:           8
        .value_kind:     by_value
      - .offset:         96
        .size:           16
        .value_kind:     by_value
      - .offset:         112
        .size:           8
        .value_kind:     by_value
      - .address_space:  global
        .offset:         120
        .size:           8
        .value_kind:     global_buffer
      - .offset:         128
        .size:           4
        .value_kind:     by_value
      - .offset:         136
        .size:           4
        .value_kind:     hidden_block_count_x
      - .offset:         140
        .size:           4
        .value_kind:     hidden_block_count_y
      - .offset:         144
        .size:           4
        .value_kind:     hidden_block_count_z
      - .offset:         148
        .size:           2
        .value_kind:     hidden_group_size_x
      - .offset:         150
        .size:           2
        .value_kind:     hidden_group_size_y
      - .offset:         152
        .size:           2
        .value_kind:     hidden_group_size_z
      - .offset:         154
        .size:           2
        .value_kind:     hidden_remainder_x
      - .offset:         156
        .size:           2
        .value_kind:     hidden_remainder_y
      - .offset:         158
        .size:           2
        .value_kind:     hidden_remainder_z
      - .offset:         176
        .size:           8
        .value_kind:     hidden_global_offset_x
      - .offset:         184
        .size:           8
        .value_kind:     hidden_global_offset_y
      - .offset:         192
        .size:           8
        .value_kind:     hidden_global_offset_z
      - .offset:         200
        .size:           2
        .value_kind:     hidden_grid_dims
    .group_segment_fixed_size: 19200
    .kernarg_segment_align: 8
    .kernarg_segment_size: 392
    .language:       OpenCL C
    .language_version:
      - 2
      - 0
    .max_flat_workgroup_size: 256
    .name:           _ZL26rocblas_hemvn_kernel_upperILb0ELi64ELi4ELi33ELi32ELi16Ei19rocblas_complex_numIdEPKS1_PS1_EviT6_lT7_lT5_lS6_lS7_lS5_lT8_i
    .private_segment_fixed_size: 24
    .sgpr_count:     38
    .sgpr_spill_count: 0
    .symbol:         _ZL26rocblas_hemvn_kernel_upperILb0ELi64ELi4ELi33ELi32ELi16Ei19rocblas_complex_numIdEPKS1_PS1_EviT6_lT7_lT5_lS6_lS7_lS5_lT8_i.kd
    .uniform_work_group_size: 1
    .uses_dynamic_stack: false
    .vgpr_count:     256
    .vgpr_spill_count: 5
    .wavefront_size: 32
    .workgroup_processor_mode: 1
  - .args:
      - .offset:         0
        .size:           4
        .value_kind:     by_value
      - .address_space:  global
        .offset:         8
        .size:           8
        .value_kind:     global_buffer
      - .offset:         16
        .size:           8
        .value_kind:     by_value
      - .address_space:  global
        .offset:         24
        .size:           8
        .value_kind:     global_buffer
      - .offset:         32
        .size:           8
        .value_kind:     by_value
      - .offset:         40
        .size:           8
        .value_kind:     by_value
      - .offset:         48
        .size:           8
        .value_kind:     by_value
      - .address_space:  global
        .offset:         56
        .size:           8
        .value_kind:     global_buffer
      - .offset:         64
        .size:           8
        .value_kind:     by_value
      - .offset:         72
        .size:           8
        .value_kind:     by_value
      - .offset:         80
        .size:           8
        .value_kind:     by_value
      - .address_space:  global
        .offset:         88
        .size:           8
        .value_kind:     global_buffer
      - .offset:         96
        .size:           8
        .value_kind:     by_value
      - .address_space:  global
        .offset:         104
        .size:           8
        .value_kind:     global_buffer
      - .offset:         112
        .size:           4
        .value_kind:     by_value
      - .offset:         120
        .size:           4
        .value_kind:     hidden_block_count_x
      - .offset:         124
        .size:           4
        .value_kind:     hidden_block_count_y
      - .offset:         128
        .size:           4
        .value_kind:     hidden_block_count_z
      - .offset:         132
        .size:           2
        .value_kind:     hidden_group_size_x
      - .offset:         134
        .size:           2
        .value_kind:     hidden_group_size_y
      - .offset:         136
        .size:           2
        .value_kind:     hidden_group_size_z
      - .offset:         138
        .size:           2
        .value_kind:     hidden_remainder_x
      - .offset:         140
        .size:           2
        .value_kind:     hidden_remainder_y
      - .offset:         142
        .size:           2
        .value_kind:     hidden_remainder_z
      - .offset:         160
        .size:           8
        .value_kind:     hidden_global_offset_x
      - .offset:         168
        .size:           8
        .value_kind:     hidden_global_offset_y
      - .offset:         176
        .size:           8
        .value_kind:     hidden_global_offset_z
      - .offset:         184
        .size:           2
        .value_kind:     hidden_grid_dims
    .group_segment_fixed_size: 19200
    .kernarg_segment_align: 8
    .kernarg_segment_size: 376
    .language:       OpenCL C
    .language_version:
      - 2
      - 0
    .max_flat_workgroup_size: 256
    .name:           _ZL26rocblas_hemvn_kernel_lowerILb0ELi64ELi4ELi33ELi32ELi16ElPK19rocblas_complex_numIdES3_PS1_EviT6_lT7_lT5_lS6_lS7_lS5_lT8_i
    .private_segment_fixed_size: 0
    .sgpr_count:     46
    .sgpr_spill_count: 0
    .symbol:         _ZL26rocblas_hemvn_kernel_lowerILb0ELi64ELi4ELi33ELi32ELi16ElPK19rocblas_complex_numIdES3_PS1_EviT6_lT7_lT5_lS6_lS7_lS5_lT8_i.kd
    .uniform_work_group_size: 1
    .uses_dynamic_stack: false
    .vgpr_count:     183
    .vgpr_spill_count: 0
    .wavefront_size: 32
    .workgroup_processor_mode: 1
  - .args:
      - .offset:         0
        .size:           4
        .value_kind:     by_value
      - .address_space:  global
        .offset:         8
        .size:           8
        .value_kind:     global_buffer
      - .offset:         16
        .size:           8
        .value_kind:     by_value
      - .address_space:  global
        .offset:         24
        .size:           8
        .value_kind:     global_buffer
      - .offset:         32
        .size:           8
        .value_kind:     by_value
      - .offset:         40
        .size:           4
        .value_kind:     by_value
      - .offset:         48
        .size:           8
        .value_kind:     by_value
      - .address_space:  global
        .offset:         56
        .size:           8
        .value_kind:     global_buffer
      - .offset:         64
        .size:           8
        .value_kind:     by_value
      - .offset:         72
        .size:           4
        .value_kind:     by_value
      - .offset:         80
        .size:           8
        .value_kind:     by_value
      - .address_space:  global
        .offset:         88
        .size:           8
        .value_kind:     global_buffer
      - .offset:         96
        .size:           8
        .value_kind:     by_value
      - .address_space:  global
        .offset:         104
        .size:           8
        .value_kind:     global_buffer
      - .offset:         112
        .size:           4
        .value_kind:     by_value
      - .offset:         120
        .size:           4
        .value_kind:     hidden_block_count_x
      - .offset:         124
        .size:           4
        .value_kind:     hidden_block_count_y
      - .offset:         128
        .size:           4
        .value_kind:     hidden_block_count_z
      - .offset:         132
        .size:           2
        .value_kind:     hidden_group_size_x
      - .offset:         134
        .size:           2
        .value_kind:     hidden_group_size_y
      - .offset:         136
        .size:           2
        .value_kind:     hidden_group_size_z
      - .offset:         138
        .size:           2
        .value_kind:     hidden_remainder_x
      - .offset:         140
        .size:           2
        .value_kind:     hidden_remainder_y
      - .offset:         142
        .size:           2
        .value_kind:     hidden_remainder_z
      - .offset:         160
        .size:           8
        .value_kind:     hidden_global_offset_x
      - .offset:         168
        .size:           8
        .value_kind:     hidden_global_offset_y
      - .offset:         176
        .size:           8
        .value_kind:     hidden_global_offset_z
      - .offset:         184
        .size:           2
        .value_kind:     hidden_grid_dims
    .group_segment_fixed_size: 19200
    .kernarg_segment_align: 8
    .kernarg_segment_size: 376
    .language:       OpenCL C
    .language_version:
      - 2
      - 0
    .max_flat_workgroup_size: 256
    .name:           _ZL26rocblas_hemvn_kernel_lowerILb0ELi64ELi4ELi33ELi32ELi16EiPK19rocblas_complex_numIdES3_PS1_EviT6_lT7_lT5_lS6_lS7_lS5_lT8_i
    .private_segment_fixed_size: 0
    .sgpr_count:     32
    .sgpr_spill_count: 0
    .symbol:         _ZL26rocblas_hemvn_kernel_lowerILb0ELi64ELi4ELi33ELi32ELi16EiPK19rocblas_complex_numIdES3_PS1_EviT6_lT7_lT5_lS6_lS7_lS5_lT8_i.kd
    .uniform_work_group_size: 1
    .uses_dynamic_stack: false
    .vgpr_count:     209
    .vgpr_spill_count: 0
    .wavefront_size: 32
    .workgroup_processor_mode: 1
  - .args:
      - .offset:         0
        .size:           4
        .value_kind:     by_value
      - .offset:         8
        .size:           16
        .value_kind:     by_value
      - .offset:         24
        .size:           8
        .value_kind:     by_value
      - .address_space:  global
        .offset:         32
        .size:           8
        .value_kind:     global_buffer
      - .offset:         40
        .size:           8
        .value_kind:     by_value
      - .offset:         48
        .size:           8
        .value_kind:     by_value
      - .offset:         56
        .size:           8
        .value_kind:     by_value
      - .address_space:  global
        .offset:         64
        .size:           8
        .value_kind:     global_buffer
      - .offset:         72
        .size:           8
        .value_kind:     by_value
      - .offset:         80
        .size:           8
        .value_kind:     by_value
      - .offset:         88
        .size:           8
        .value_kind:     by_value
      - .offset:         96
        .size:           16
        .value_kind:     by_value
      - .offset:         112
        .size:           8
        .value_kind:     by_value
      - .address_space:  global
        .offset:         120
        .size:           8
        .value_kind:     global_buffer
      - .offset:         128
        .size:           4
        .value_kind:     by_value
      - .offset:         136
        .size:           4
        .value_kind:     hidden_block_count_x
      - .offset:         140
        .size:           4
        .value_kind:     hidden_block_count_y
      - .offset:         144
        .size:           4
        .value_kind:     hidden_block_count_z
      - .offset:         148
        .size:           2
        .value_kind:     hidden_group_size_x
      - .offset:         150
        .size:           2
        .value_kind:     hidden_group_size_y
      - .offset:         152
        .size:           2
        .value_kind:     hidden_group_size_z
      - .offset:         154
        .size:           2
        .value_kind:     hidden_remainder_x
      - .offset:         156
        .size:           2
        .value_kind:     hidden_remainder_y
      - .offset:         158
        .size:           2
        .value_kind:     hidden_remainder_z
      - .offset:         176
        .size:           8
        .value_kind:     hidden_global_offset_x
      - .offset:         184
        .size:           8
        .value_kind:     hidden_global_offset_y
      - .offset:         192
        .size:           8
        .value_kind:     hidden_global_offset_z
      - .offset:         200
        .size:           2
        .value_kind:     hidden_grid_dims
    .group_segment_fixed_size: 19200
    .kernarg_segment_align: 8
    .kernarg_segment_size: 392
    .language:       OpenCL C
    .language_version:
      - 2
      - 0
    .max_flat_workgroup_size: 256
    .name:           _ZL26rocblas_hemvn_kernel_lowerILb0ELi64ELi4ELi33ELi32ELi16El19rocblas_complex_numIdEPKS1_PS1_EviT6_lT7_lT5_lS6_lS7_lS5_lT8_i
    .private_segment_fixed_size: 0
    .sgpr_count:     34
    .sgpr_spill_count: 0
    .symbol:         _ZL26rocblas_hemvn_kernel_lowerILb0ELi64ELi4ELi33ELi32ELi16El19rocblas_complex_numIdEPKS1_PS1_EviT6_lT7_lT5_lS6_lS7_lS5_lT8_i.kd
    .uniform_work_group_size: 1
    .uses_dynamic_stack: false
    .vgpr_count:     183
    .vgpr_spill_count: 0
    .wavefront_size: 32
    .workgroup_processor_mode: 1
  - .args:
      - .offset:         0
        .size:           4
        .value_kind:     by_value
      - .offset:         8
        .size:           16
        .value_kind:     by_value
      - .offset:         24
        .size:           8
        .value_kind:     by_value
      - .address_space:  global
        .offset:         32
        .size:           8
        .value_kind:     global_buffer
      - .offset:         40
        .size:           8
        .value_kind:     by_value
      - .offset:         48
        .size:           4
        .value_kind:     by_value
      - .offset:         56
        .size:           8
        .value_kind:     by_value
      - .address_space:  global
        .offset:         64
        .size:           8
        .value_kind:     global_buffer
      - .offset:         72
        .size:           8
        .value_kind:     by_value
      - .offset:         80
        .size:           4
        .value_kind:     by_value
      - .offset:         88
        .size:           8
        .value_kind:     by_value
      - .offset:         96
        .size:           16
        .value_kind:     by_value
      - .offset:         112
        .size:           8
        .value_kind:     by_value
      - .address_space:  global
        .offset:         120
        .size:           8
        .value_kind:     global_buffer
      - .offset:         128
        .size:           4
        .value_kind:     by_value
      - .offset:         136
        .size:           4
        .value_kind:     hidden_block_count_x
      - .offset:         140
        .size:           4
        .value_kind:     hidden_block_count_y
      - .offset:         144
        .size:           4
        .value_kind:     hidden_block_count_z
      - .offset:         148
        .size:           2
        .value_kind:     hidden_group_size_x
      - .offset:         150
        .size:           2
        .value_kind:     hidden_group_size_y
      - .offset:         152
        .size:           2
        .value_kind:     hidden_group_size_z
      - .offset:         154
        .size:           2
        .value_kind:     hidden_remainder_x
      - .offset:         156
        .size:           2
        .value_kind:     hidden_remainder_y
      - .offset:         158
        .size:           2
        .value_kind:     hidden_remainder_z
      - .offset:         176
        .size:           8
        .value_kind:     hidden_global_offset_x
      - .offset:         184
        .size:           8
        .value_kind:     hidden_global_offset_y
      - .offset:         192
        .size:           8
        .value_kind:     hidden_global_offset_z
      - .offset:         200
        .size:           2
        .value_kind:     hidden_grid_dims
    .group_segment_fixed_size: 19200
    .kernarg_segment_align: 8
    .kernarg_segment_size: 392
    .language:       OpenCL C
    .language_version:
      - 2
      - 0
    .max_flat_workgroup_size: 256
    .name:           _ZL26rocblas_hemvn_kernel_lowerILb0ELi64ELi4ELi33ELi32ELi16Ei19rocblas_complex_numIdEPKS1_PS1_EviT6_lT7_lT5_lS6_lS7_lS5_lT8_i
    .private_segment_fixed_size: 0
    .sgpr_count:     32
    .sgpr_spill_count: 0
    .symbol:         _ZL26rocblas_hemvn_kernel_lowerILb0ELi64ELi4ELi33ELi32ELi16Ei19rocblas_complex_numIdEPKS1_PS1_EviT6_lT7_lT5_lS6_lS7_lS5_lT8_i.kd
    .uniform_work_group_size: 1
    .uses_dynamic_stack: false
    .vgpr_count:     209
    .vgpr_spill_count: 0
    .wavefront_size: 32
    .workgroup_processor_mode: 1
  - .args:
      - .offset:         0
        .size:           1
        .value_kind:     by_value
      - .offset:         4
        .size:           4
        .value_kind:     by_value
      - .offset:         8
        .size:           8
        .value_kind:     by_value
      - .offset:         16
        .size:           8
        .value_kind:     by_value
      - .address_space:  global
        .offset:         24
        .size:           8
        .value_kind:     global_buffer
      - .offset:         32
        .size:           8
        .value_kind:     by_value
      - .offset:         40
        .size:           8
        .value_kind:     by_value
      - .offset:         48
        .size:           8
        .value_kind:     by_value
      - .address_space:  global
        .offset:         56
        .size:           8
        .value_kind:     global_buffer
      - .offset:         64
        .size:           8
        .value_kind:     by_value
      - .offset:         72
        .size:           8
        .value_kind:     by_value
      - .offset:         80
        .size:           8
        .value_kind:     by_value
      - .offset:         88
        .size:           8
        .value_kind:     by_value
      - .offset:         96
        .size:           8
        .value_kind:     by_value
      - .actual_access:  read_only
        .address_space:  global
        .offset:         104
        .size:           8
        .value_kind:     global_buffer
      - .offset:         112
        .size:           8
        .value_kind:     by_value
      - .offset:         120
        .size:           8
        .value_kind:     by_value
      - .offset:         128
        .size:           8
        .value_kind:     by_value
      - .offset:         136
        .size:           4
        .value_kind:     by_value
    .group_segment_fixed_size: 5248
    .kernarg_segment_align: 8
    .kernarg_segment_size: 140
    .language:       OpenCL C
    .language_version:
      - 2
      - 0
    .max_flat_workgroup_size: 128
    .name:           _ZL50rocblas_symv_kernel_upper_double_buffered_diagonalILi32ELi4E24rocblas_internal_val_ptrIfEPKPKfPKPfEvbiT1_lT2_lllSA_lllS9_lT3_llli
    .private_segment_fixed_size: 0
    .sgpr_count:     25
    .sgpr_spill_count: 0
    .symbol:         _ZL50rocblas_symv_kernel_upper_double_buffered_diagonalILi32ELi4E24rocblas_internal_val_ptrIfEPKPKfPKPfEvbiT1_lT2_lllSA_lllS9_lT3_llli.kd
    .uniform_work_group_size: 1
    .uses_dynamic_stack: false
    .vgpr_count:     20
    .vgpr_spill_count: 0
    .wavefront_size: 32
    .workgroup_processor_mode: 1
  - .args:
      - .offset:         0
        .size:           1
        .value_kind:     by_value
      - .offset:         4
        .size:           4
        .value_kind:     by_value
      - .offset:         8
        .size:           8
        .value_kind:     by_value
      - .offset:         16
        .size:           8
        .value_kind:     by_value
      - .address_space:  global
        .offset:         24
        .size:           8
        .value_kind:     global_buffer
      - .offset:         32
        .size:           8
        .value_kind:     by_value
      - .offset:         40
        .size:           8
        .value_kind:     by_value
      - .offset:         48
        .size:           8
        .value_kind:     by_value
      - .address_space:  global
        .offset:         56
        .size:           8
        .value_kind:     global_buffer
      - .offset:         64
        .size:           8
        .value_kind:     by_value
      - .offset:         72
        .size:           8
        .value_kind:     by_value
      - .offset:         80
        .size:           8
        .value_kind:     by_value
      - .actual_access:  read_only
        .address_space:  global
        .offset:         88
        .size:           8
        .value_kind:     global_buffer
      - .offset:         96
        .size:           8
        .value_kind:     by_value
      - .offset:         104
        .size:           8
        .value_kind:     by_value
      - .offset:         112
        .size:           8
        .value_kind:     by_value
      - .offset:         120
        .size:           4
        .value_kind:     by_value
      - .offset:         128
        .size:           4
        .value_kind:     hidden_block_count_x
      - .offset:         132
        .size:           4
        .value_kind:     hidden_block_count_y
      - .offset:         136
        .size:           4
        .value_kind:     hidden_block_count_z
      - .offset:         140
        .size:           2
        .value_kind:     hidden_group_size_x
      - .offset:         142
        .size:           2
        .value_kind:     hidden_group_size_y
      - .offset:         144
        .size:           2
        .value_kind:     hidden_group_size_z
      - .offset:         146
        .size:           2
        .value_kind:     hidden_remainder_x
      - .offset:         148
        .size:           2
        .value_kind:     hidden_remainder_y
      - .offset:         150
        .size:           2
        .value_kind:     hidden_remainder_z
      - .offset:         168
        .size:           8
        .value_kind:     hidden_global_offset_x
      - .offset:         176
        .size:           8
        .value_kind:     hidden_global_offset_y
      - .offset:         184
        .size:           8
        .value_kind:     hidden_global_offset_z
      - .offset:         192
        .size:           2
        .value_kind:     hidden_grid_dims
    .group_segment_fixed_size: 3200
    .kernarg_segment_align: 8
    .kernarg_segment_size: 384
    .language:       OpenCL C
    .language_version:
      - 2
      - 0
    .max_flat_workgroup_size: 128
    .name:           _ZL54rocblas_symv_kernel_upper_double_buffered_non_diagonalILi32ELi4ELi4E24rocblas_internal_val_ptrIfEPKPKfPKPfEvbiT2_lT3_lllSA_lllT4_llli
    .private_segment_fixed_size: 0
    .sgpr_count:     31
    .sgpr_spill_count: 0
    .symbol:         _ZL54rocblas_symv_kernel_upper_double_buffered_non_diagonalILi32ELi4ELi4E24rocblas_internal_val_ptrIfEPKPKfPKPfEvbiT2_lT3_lllSA_lllT4_llli.kd
    .uniform_work_group_size: 1
    .uses_dynamic_stack: false
    .vgpr_count:     50
    .vgpr_spill_count: 0
    .wavefront_size: 32
    .workgroup_processor_mode: 1
  - .args:
      - .offset:         0
        .size:           1
        .value_kind:     by_value
      - .offset:         4
        .size:           4
        .value_kind:     by_value
      - .offset:         8
        .size:           8
        .value_kind:     by_value
      - .offset:         16
        .size:           8
        .value_kind:     by_value
      - .address_space:  global
        .offset:         24
        .size:           8
        .value_kind:     global_buffer
      - .offset:         32
        .size:           8
        .value_kind:     by_value
      - .offset:         40
        .size:           8
        .value_kind:     by_value
      - .offset:         48
        .size:           8
        .value_kind:     by_value
      - .address_space:  global
        .offset:         56
        .size:           8
        .value_kind:     global_buffer
      - .offset:         64
        .size:           8
        .value_kind:     by_value
      - .offset:         72
        .size:           8
        .value_kind:     by_value
      - .offset:         80
        .size:           8
        .value_kind:     by_value
      - .offset:         88
        .size:           8
        .value_kind:     by_value
      - .offset:         96
        .size:           8
        .value_kind:     by_value
      - .actual_access:  read_only
        .address_space:  global
        .offset:         104
        .size:           8
        .value_kind:     global_buffer
      - .offset:         112
        .size:           8
        .value_kind:     by_value
      - .offset:         120
        .size:           8
        .value_kind:     by_value
      - .offset:         128
        .size:           8
        .value_kind:     by_value
      - .offset:         136
        .size:           4
        .value_kind:     by_value
      - .offset:         140
        .size:           4
        .value_kind:     by_value
      - .offset:         144
        .size:           4
        .value_kind:     hidden_block_count_x
      - .offset:         148
        .size:           4
        .value_kind:     hidden_block_count_y
      - .offset:         152
        .size:           4
        .value_kind:     hidden_block_count_z
      - .offset:         156
        .size:           2
        .value_kind:     hidden_group_size_x
      - .offset:         158
        .size:           2
        .value_kind:     hidden_group_size_y
      - .offset:         160
        .size:           2
        .value_kind:     hidden_group_size_z
      - .offset:         162
        .size:           2
        .value_kind:     hidden_remainder_x
      - .offset:         164
        .size:           2
        .value_kind:     hidden_remainder_y
      - .offset:         166
        .size:           2
        .value_kind:     hidden_remainder_z
      - .offset:         184
        .size:           8
        .value_kind:     hidden_global_offset_x
      - .offset:         192
        .size:           8
        .value_kind:     hidden_global_offset_y
      - .offset:         200
        .size:           8
        .value_kind:     hidden_global_offset_z
      - .offset:         208
        .size:           2
        .value_kind:     hidden_grid_dims
    .group_segment_fixed_size: 6272
    .kernarg_segment_align: 8
    .kernarg_segment_size: 400
    .language:       OpenCL C
    .language_version:
      - 2
      - 0
    .max_flat_workgroup_size: 256
    .name:           _ZL58rocblas_symv_kernel_upper_double_buffered_diagonal_genericILi32ELi8E24rocblas_internal_val_ptrIfEPKPKfPKPfEvbiT1_lT2_lllSA_lllS9_lT3_lllii
    .private_segment_fixed_size: 0
    .sgpr_count:     30
    .sgpr_spill_count: 0
    .symbol:         _ZL58rocblas_symv_kernel_upper_double_buffered_diagonal_genericILi32ELi8E24rocblas_internal_val_ptrIfEPKPKfPKPfEvbiT1_lT2_lllSA_lllS9_lT3_lllii.kd
    .uniform_work_group_size: 1
    .uses_dynamic_stack: false
    .vgpr_count:     22
    .vgpr_spill_count: 0
    .wavefront_size: 32
    .workgroup_processor_mode: 1
  - .args:
      - .offset:         0
        .size:           1
        .value_kind:     by_value
      - .offset:         4
        .size:           4
        .value_kind:     by_value
      - .offset:         8
        .size:           8
        .value_kind:     by_value
      - .offset:         16
        .size:           8
        .value_kind:     by_value
      - .address_space:  global
        .offset:         24
        .size:           8
        .value_kind:     global_buffer
      - .offset:         32
        .size:           8
        .value_kind:     by_value
      - .offset:         40
        .size:           8
        .value_kind:     by_value
      - .offset:         48
        .size:           8
        .value_kind:     by_value
      - .address_space:  global
        .offset:         56
        .size:           8
        .value_kind:     global_buffer
      - .offset:         64
        .size:           8
        .value_kind:     by_value
      - .offset:         72
        .size:           8
        .value_kind:     by_value
      - .offset:         80
        .size:           8
        .value_kind:     by_value
      - .actual_access:  read_only
        .address_space:  global
        .offset:         88
        .size:           8
        .value_kind:     global_buffer
      - .offset:         96
        .size:           8
        .value_kind:     by_value
      - .offset:         104
        .size:           8
        .value_kind:     by_value
      - .offset:         112
        .size:           8
        .value_kind:     by_value
      - .offset:         120
        .size:           4
        .value_kind:     by_value
      - .offset:         124
        .size:           4
        .value_kind:     by_value
      - .offset:         128
        .size:           4
        .value_kind:     hidden_block_count_x
      - .offset:         132
        .size:           4
        .value_kind:     hidden_block_count_y
      - .offset:         136
        .size:           4
        .value_kind:     hidden_block_count_z
      - .offset:         140
        .size:           2
        .value_kind:     hidden_group_size_x
      - .offset:         142
        .size:           2
        .value_kind:     hidden_group_size_y
      - .offset:         144
        .size:           2
        .value_kind:     hidden_group_size_z
      - .offset:         146
        .size:           2
        .value_kind:     hidden_remainder_x
      - .offset:         148
        .size:           2
        .value_kind:     hidden_remainder_y
      - .offset:         150
        .size:           2
        .value_kind:     hidden_remainder_z
      - .offset:         168
        .size:           8
        .value_kind:     hidden_global_offset_x
      - .offset:         176
        .size:           8
        .value_kind:     hidden_global_offset_y
      - .offset:         184
        .size:           8
        .value_kind:     hidden_global_offset_z
      - .offset:         192
        .size:           2
        .value_kind:     hidden_grid_dims
    .group_segment_fixed_size: 4224
    .kernarg_segment_align: 8
    .kernarg_segment_size: 384
    .language:       OpenCL C
    .language_version:
      - 2
      - 0
    .max_flat_workgroup_size: 256
    .name:           _ZL62rocblas_symv_kernel_upper_double_buffered_non_diagonal_genericILi32ELi8ELi2ELi0E24rocblas_internal_val_ptrIfEPKPKfPKPfEvbiT3_lT4_lllSA_lllT5_lllii
    .private_segment_fixed_size: 0
    .sgpr_count:     31
    .sgpr_spill_count: 0
    .symbol:         _ZL62rocblas_symv_kernel_upper_double_buffered_non_diagonal_genericILi32ELi8ELi2ELi0E24rocblas_internal_val_ptrIfEPKPKfPKPfEvbiT3_lT4_lllSA_lllT5_lllii.kd
    .uniform_work_group_size: 1
    .uses_dynamic_stack: false
    .vgpr_count:     41
    .vgpr_spill_count: 0
    .wavefront_size: 32
    .workgroup_processor_mode: 1
  - .args:
      - .offset:         0
        .size:           1
        .value_kind:     by_value
      - .offset:         4
        .size:           4
        .value_kind:     by_value
      - .offset:         8
        .size:           8
        .value_kind:     by_value
      - .offset:         16
        .size:           8
        .value_kind:     by_value
      - .address_space:  global
        .offset:         24
        .size:           8
        .value_kind:     global_buffer
      - .offset:         32
        .size:           8
        .value_kind:     by_value
      - .offset:         40
        .size:           8
        .value_kind:     by_value
      - .offset:         48
        .size:           8
        .value_kind:     by_value
      - .address_space:  global
        .offset:         56
        .size:           8
        .value_kind:     global_buffer
      - .offset:         64
        .size:           8
        .value_kind:     by_value
      - .offset:         72
        .size:           8
        .value_kind:     by_value
      - .offset:         80
        .size:           8
        .value_kind:     by_value
      - .actual_access:  read_only
        .address_space:  global
        .offset:         88
        .size:           8
        .value_kind:     global_buffer
      - .offset:         96
        .size:           8
        .value_kind:     by_value
      - .offset:         104
        .size:           8
        .value_kind:     by_value
      - .offset:         112
        .size:           8
        .value_kind:     by_value
      - .offset:         120
        .size:           4
        .value_kind:     by_value
      - .offset:         124
        .size:           4
        .value_kind:     by_value
      - .offset:         128
        .size:           4
        .value_kind:     hidden_block_count_x
      - .offset:         132
        .size:           4
        .value_kind:     hidden_block_count_y
      - .offset:         136
        .size:           4
        .value_kind:     hidden_block_count_z
      - .offset:         140
        .size:           2
        .value_kind:     hidden_group_size_x
      - .offset:         142
        .size:           2
        .value_kind:     hidden_group_size_y
      - .offset:         144
        .size:           2
        .value_kind:     hidden_group_size_z
      - .offset:         146
        .size:           2
        .value_kind:     hidden_remainder_x
      - .offset:         148
        .size:           2
        .value_kind:     hidden_remainder_y
      - .offset:         150
        .size:           2
        .value_kind:     hidden_remainder_z
      - .offset:         168
        .size:           8
        .value_kind:     hidden_global_offset_x
      - .offset:         176
        .size:           8
        .value_kind:     hidden_global_offset_y
      - .offset:         184
        .size:           8
        .value_kind:     hidden_global_offset_z
      - .offset:         192
        .size:           2
        .value_kind:     hidden_grid_dims
    .group_segment_fixed_size: 4224
    .kernarg_segment_align: 8
    .kernarg_segment_size: 384
    .language:       OpenCL C
    .language_version:
      - 2
      - 0
    .max_flat_workgroup_size: 256
    .name:           _ZL62rocblas_symv_kernel_upper_double_buffered_non_diagonal_genericILi32ELi8ELi2ELi1E24rocblas_internal_val_ptrIfEPKPKfPKPfEvbiT3_lT4_lllSA_lllT5_lllii
    .private_segment_fixed_size: 0
    .sgpr_count:     31
    .sgpr_spill_count: 0
    .symbol:         _ZL62rocblas_symv_kernel_upper_double_buffered_non_diagonal_genericILi32ELi8ELi2ELi1E24rocblas_internal_val_ptrIfEPKPKfPKPfEvbiT3_lT4_lllSA_lllT5_lllii.kd
    .uniform_work_group_size: 1
    .uses_dynamic_stack: false
    .vgpr_count:     40
    .vgpr_spill_count: 0
    .wavefront_size: 32
    .workgroup_processor_mode: 1
  - .args:
      - .offset:         0
        .size:           4
        .value_kind:     by_value
      - .address_space:  global
        .offset:         8
        .size:           8
        .value_kind:     global_buffer
      - .offset:         16
        .size:           8
        .value_kind:     by_value
      - .address_space:  global
        .offset:         24
        .size:           8
        .value_kind:     global_buffer
      - .offset:         32
        .size:           8
        .value_kind:     by_value
      - .offset:         40
        .size:           8
        .value_kind:     by_value
      - .offset:         48
        .size:           8
        .value_kind:     by_value
      - .address_space:  global
        .offset:         56
        .size:           8
        .value_kind:     global_buffer
      - .offset:         64
        .size:           8
        .value_kind:     by_value
      - .offset:         72
        .size:           8
        .value_kind:     by_value
      - .offset:         80
        .size:           8
        .value_kind:     by_value
      - .address_space:  global
        .offset:         88
        .size:           8
        .value_kind:     global_buffer
      - .offset:         96
        .size:           8
        .value_kind:     by_value
      - .address_space:  global
        .offset:         104
        .size:           8
        .value_kind:     global_buffer
      - .offset:         112
        .size:           4
        .value_kind:     by_value
      - .offset:         120
        .size:           4
        .value_kind:     hidden_block_count_x
      - .offset:         124
        .size:           4
        .value_kind:     hidden_block_count_y
      - .offset:         128
        .size:           4
        .value_kind:     hidden_block_count_z
      - .offset:         132
        .size:           2
        .value_kind:     hidden_group_size_x
      - .offset:         134
        .size:           2
        .value_kind:     hidden_group_size_y
      - .offset:         136
        .size:           2
        .value_kind:     hidden_group_size_z
      - .offset:         138
        .size:           2
        .value_kind:     hidden_remainder_x
      - .offset:         140
        .size:           2
        .value_kind:     hidden_remainder_y
      - .offset:         142
        .size:           2
        .value_kind:     hidden_remainder_z
      - .offset:         160
        .size:           8
        .value_kind:     hidden_global_offset_x
      - .offset:         168
        .size:           8
        .value_kind:     hidden_global_offset_y
      - .offset:         176
        .size:           8
        .value_kind:     hidden_global_offset_z
      - .offset:         184
        .size:           2
        .value_kind:     hidden_grid_dims
    .group_segment_fixed_size: 4800
    .kernarg_segment_align: 8
    .kernarg_segment_size: 376
    .language:       OpenCL C
    .language_version:
      - 2
      - 0
    .max_flat_workgroup_size: 256
    .name:           _ZL26rocblas_hemvn_kernel_upperILb0ELi64ELi4ELi33ELi32ELi16ElPKfPKS1_PfEviT6_lT7_lT5_lS6_lS7_lS5_lT8_i
    .private_segment_fixed_size: 0
    .sgpr_count:     34
    .sgpr_spill_count: 0
    .symbol:         _ZL26rocblas_hemvn_kernel_upperILb0ELi64ELi4ELi33ELi32ELi16ElPKfPKS1_PfEviT6_lT7_lT5_lS6_lS7_lS5_lT8_i.kd
    .uniform_work_group_size: 1
    .uses_dynamic_stack: false
    .vgpr_count:     113
    .vgpr_spill_count: 0
    .wavefront_size: 32
    .workgroup_processor_mode: 1
  - .args:
      - .offset:         0
        .size:           4
        .value_kind:     by_value
      - .address_space:  global
        .offset:         8
        .size:           8
        .value_kind:     global_buffer
      - .offset:         16
        .size:           8
        .value_kind:     by_value
      - .address_space:  global
        .offset:         24
        .size:           8
        .value_kind:     global_buffer
      - .offset:         32
        .size:           8
        .value_kind:     by_value
      - .actual_access:  read_only
        .address_space:  global
        .offset:         40
        .size:           8
        .value_kind:     global_buffer
      - .offset:         48
        .size:           8
        .value_kind:     by_value
      - .offset:         56
        .size:           8
        .value_kind:     by_value
      - .offset:         64
        .size:           8
        .value_kind:     by_value
      - .address_space:  global
        .offset:         72
        .size:           8
        .value_kind:     global_buffer
      - .offset:         80
        .size:           4
        .value_kind:     by_value
      - .offset:         88
        .size:           4
        .value_kind:     hidden_block_count_x
      - .offset:         92
        .size:           4
        .value_kind:     hidden_block_count_y
      - .offset:         96
        .size:           4
        .value_kind:     hidden_block_count_z
      - .offset:         100
        .size:           2
        .value_kind:     hidden_group_size_x
      - .offset:         102
        .size:           2
        .value_kind:     hidden_group_size_y
      - .offset:         104
        .size:           2
        .value_kind:     hidden_group_size_z
      - .offset:         106
        .size:           2
        .value_kind:     hidden_remainder_x
      - .offset:         108
        .size:           2
        .value_kind:     hidden_remainder_y
      - .offset:         110
        .size:           2
        .value_kind:     hidden_remainder_z
      - .offset:         128
        .size:           8
        .value_kind:     hidden_global_offset_x
      - .offset:         136
        .size:           8
        .value_kind:     hidden_global_offset_y
      - .offset:         144
        .size:           8
        .value_kind:     hidden_global_offset_z
      - .offset:         152
        .size:           2
        .value_kind:     hidden_grid_dims
    .group_segment_fixed_size: 0
    .kernarg_segment_align: 8
    .kernarg_segment_size: 344
    .language:       OpenCL C
    .language_version:
      - 2
      - 0
    .max_flat_workgroup_size: 64
    .name:           _ZL36rocblas_hemvn_kernel_upper_block_sumILi64ElPKfPKPffEviT1_lS5_lT2_lT0_lPT3_i
    .private_segment_fixed_size: 0
    .sgpr_count:     26
    .sgpr_spill_count: 0
    .symbol:         _ZL36rocblas_hemvn_kernel_upper_block_sumILi64ElPKfPKPffEviT1_lS5_lT2_lT0_lPT3_i.kd
    .uniform_work_group_size: 1
    .uses_dynamic_stack: false
    .vgpr_count:     7
    .vgpr_spill_count: 0
    .wavefront_size: 32
    .workgroup_processor_mode: 1
  - .args:
      - .offset:         0
        .size:           4
        .value_kind:     by_value
      - .address_space:  global
        .offset:         8
        .size:           8
        .value_kind:     global_buffer
      - .offset:         16
        .size:           8
        .value_kind:     by_value
      - .address_space:  global
        .offset:         24
        .size:           8
        .value_kind:     global_buffer
      - .offset:         32
        .size:           8
        .value_kind:     by_value
      - .offset:         40
        .size:           4
        .value_kind:     by_value
      - .offset:         48
        .size:           8
        .value_kind:     by_value
      - .address_space:  global
        .offset:         56
        .size:           8
        .value_kind:     global_buffer
      - .offset:         64
        .size:           8
        .value_kind:     by_value
      - .offset:         72
        .size:           4
        .value_kind:     by_value
      - .offset:         80
        .size:           8
        .value_kind:     by_value
      - .address_space:  global
        .offset:         88
        .size:           8
        .value_kind:     global_buffer
      - .offset:         96
        .size:           8
        .value_kind:     by_value
      - .address_space:  global
        .offset:         104
        .size:           8
        .value_kind:     global_buffer
      - .offset:         112
        .size:           4
        .value_kind:     by_value
      - .offset:         120
        .size:           4
        .value_kind:     hidden_block_count_x
      - .offset:         124
        .size:           4
        .value_kind:     hidden_block_count_y
      - .offset:         128
        .size:           4
        .value_kind:     hidden_block_count_z
      - .offset:         132
        .size:           2
        .value_kind:     hidden_group_size_x
      - .offset:         134
        .size:           2
        .value_kind:     hidden_group_size_y
      - .offset:         136
        .size:           2
        .value_kind:     hidden_group_size_z
      - .offset:         138
        .size:           2
        .value_kind:     hidden_remainder_x
      - .offset:         140
        .size:           2
        .value_kind:     hidden_remainder_y
      - .offset:         142
        .size:           2
        .value_kind:     hidden_remainder_z
      - .offset:         160
        .size:           8
        .value_kind:     hidden_global_offset_x
      - .offset:         168
        .size:           8
        .value_kind:     hidden_global_offset_y
      - .offset:         176
        .size:           8
        .value_kind:     hidden_global_offset_z
      - .offset:         184
        .size:           2
        .value_kind:     hidden_grid_dims
    .group_segment_fixed_size: 4800
    .kernarg_segment_align: 8
    .kernarg_segment_size: 376
    .language:       OpenCL C
    .language_version:
      - 2
      - 0
    .max_flat_workgroup_size: 256
    .name:           _ZL26rocblas_hemvn_kernel_upperILb0ELi64ELi4ELi33ELi32ELi16EiPKfPKS1_PfEviT6_lT7_lT5_lS6_lS7_lS5_lT8_i
    .private_segment_fixed_size: 0
    .sgpr_count:     47
    .sgpr_spill_count: 0
    .symbol:         _ZL26rocblas_hemvn_kernel_upperILb0ELi64ELi4ELi33ELi32ELi16EiPKfPKS1_PfEviT6_lT7_lT5_lS6_lS7_lS5_lT8_i.kd
    .uniform_work_group_size: 1
    .uses_dynamic_stack: false
    .vgpr_count:     132
    .vgpr_spill_count: 0
    .wavefront_size: 32
    .workgroup_processor_mode: 1
  - .args:
      - .offset:         0
        .size:           4
        .value_kind:     by_value
      - .address_space:  global
        .offset:         8
        .size:           8
        .value_kind:     global_buffer
      - .offset:         16
        .size:           8
        .value_kind:     by_value
      - .address_space:  global
        .offset:         24
        .size:           8
        .value_kind:     global_buffer
      - .offset:         32
        .size:           8
        .value_kind:     by_value
      - .actual_access:  read_only
        .address_space:  global
        .offset:         40
        .size:           8
        .value_kind:     global_buffer
      - .offset:         48
        .size:           8
        .value_kind:     by_value
      - .offset:         56
        .size:           4
        .value_kind:     by_value
      - .offset:         64
        .size:           8
        .value_kind:     by_value
      - .address_space:  global
        .offset:         72
        .size:           8
        .value_kind:     global_buffer
      - .offset:         80
        .size:           4
        .value_kind:     by_value
      - .offset:         88
        .size:           4
        .value_kind:     hidden_block_count_x
      - .offset:         92
        .size:           4
        .value_kind:     hidden_block_count_y
      - .offset:         96
        .size:           4
        .value_kind:     hidden_block_count_z
      - .offset:         100
        .size:           2
        .value_kind:     hidden_group_size_x
      - .offset:         102
        .size:           2
        .value_kind:     hidden_group_size_y
      - .offset:         104
        .size:           2
        .value_kind:     hidden_group_size_z
      - .offset:         106
        .size:           2
        .value_kind:     hidden_remainder_x
      - .offset:         108
        .size:           2
        .value_kind:     hidden_remainder_y
      - .offset:         110
        .size:           2
        .value_kind:     hidden_remainder_z
      - .offset:         128
        .size:           8
        .value_kind:     hidden_global_offset_x
      - .offset:         136
        .size:           8
        .value_kind:     hidden_global_offset_y
      - .offset:         144
        .size:           8
        .value_kind:     hidden_global_offset_z
      - .offset:         152
        .size:           2
        .value_kind:     hidden_grid_dims
    .group_segment_fixed_size: 0
    .kernarg_segment_align: 8
    .kernarg_segment_size: 344
    .language:       OpenCL C
    .language_version:
      - 2
      - 0
    .max_flat_workgroup_size: 64
    .name:           _ZL36rocblas_hemvn_kernel_upper_block_sumILi64EiPKfPKPffEviT1_lS5_lT2_lT0_lPT3_i
    .private_segment_fixed_size: 0
    .sgpr_count:     26
    .sgpr_spill_count: 0
    .symbol:         _ZL36rocblas_hemvn_kernel_upper_block_sumILi64EiPKfPKPffEviT1_lS5_lT2_lT0_lPT3_i.kd
    .uniform_work_group_size: 1
    .uses_dynamic_stack: false
    .vgpr_count:     6
    .vgpr_spill_count: 0
    .wavefront_size: 32
    .workgroup_processor_mode: 1
  - .args:
      - .offset:         0
        .size:           4
        .value_kind:     by_value
      - .offset:         4
        .size:           4
        .value_kind:     by_value
      - .offset:         8
        .size:           8
        .value_kind:     by_value
      - .address_space:  global
        .offset:         16
        .size:           8
        .value_kind:     global_buffer
      - .offset:         24
        .size:           8
        .value_kind:     by_value
      - .offset:         32
        .size:           8
        .value_kind:     by_value
      - .offset:         40
        .size:           8
        .value_kind:     by_value
      - .address_space:  global
        .offset:         48
        .size:           8
        .value_kind:     global_buffer
      - .offset:         56
        .size:           8
        .value_kind:     by_value
      - .offset:         64
        .size:           8
        .value_kind:     by_value
      - .offset:         72
        .size:           8
        .value_kind:     by_value
      - .offset:         80
        .size:           4
        .value_kind:     by_value
      - .offset:         88
        .size:           8
        .value_kind:     by_value
      - .address_space:  global
        .offset:         96
        .size:           8
        .value_kind:     global_buffer
      - .offset:         104
        .size:           4
        .value_kind:     by_value
      - .offset:         112
        .size:           4
        .value_kind:     hidden_block_count_x
      - .offset:         116
        .size:           4
        .value_kind:     hidden_block_count_y
      - .offset:         120
        .size:           4
        .value_kind:     hidden_block_count_z
      - .offset:         124
        .size:           2
        .value_kind:     hidden_group_size_x
      - .offset:         126
        .size:           2
        .value_kind:     hidden_group_size_y
      - .offset:         128
        .size:           2
        .value_kind:     hidden_group_size_z
      - .offset:         130
        .size:           2
        .value_kind:     hidden_remainder_x
      - .offset:         132
        .size:           2
        .value_kind:     hidden_remainder_y
      - .offset:         134
        .size:           2
        .value_kind:     hidden_remainder_z
      - .offset:         152
        .size:           8
        .value_kind:     hidden_global_offset_x
      - .offset:         160
        .size:           8
        .value_kind:     hidden_global_offset_y
      - .offset:         168
        .size:           8
        .value_kind:     hidden_global_offset_z
      - .offset:         176
        .size:           2
        .value_kind:     hidden_grid_dims
    .group_segment_fixed_size: 4800
    .kernarg_segment_align: 8
    .kernarg_segment_size: 368
    .language:       OpenCL C
    .language_version:
      - 2
      - 0
    .max_flat_workgroup_size: 256
    .name:           _ZL26rocblas_hemvn_kernel_upperILb0ELi64ELi4ELi33ELi32ELi16ElfPKPKfPfEviT6_lT7_lT5_lS6_lS7_lS5_lT8_i
    .private_segment_fixed_size: 0
    .sgpr_count:     34
    .sgpr_spill_count: 0
    .symbol:         _ZL26rocblas_hemvn_kernel_upperILb0ELi64ELi4ELi33ELi32ELi16ElfPKPKfPfEviT6_lT7_lT5_lS6_lS7_lS5_lT8_i.kd
    .uniform_work_group_size: 1
    .uses_dynamic_stack: false
    .vgpr_count:     113
    .vgpr_spill_count: 0
    .wavefront_size: 32
    .workgroup_processor_mode: 1
  - .args:
      - .offset:         0
        .size:           4
        .value_kind:     by_value
      - .offset:         4
        .size:           4
        .value_kind:     by_value
      - .offset:         8
        .size:           8
        .value_kind:     by_value
      - .offset:         16
        .size:           4
        .value_kind:     by_value
      - .offset:         24
        .size:           8
        .value_kind:     by_value
      - .actual_access:  read_only
        .address_space:  global
        .offset:         32
        .size:           8
        .value_kind:     global_buffer
      - .offset:         40
        .size:           8
        .value_kind:     by_value
      - .offset:         48
        .size:           8
        .value_kind:     by_value
      - .offset:         56
        .size:           8
        .value_kind:     by_value
      - .address_space:  global
        .offset:         64
        .size:           8
        .value_kind:     global_buffer
      - .offset:         72
        .size:           4
        .value_kind:     by_value
      - .offset:         80
        .size:           4
        .value_kind:     hidden_block_count_x
      - .offset:         84
        .size:           4
        .value_kind:     hidden_block_count_y
      - .offset:         88
        .size:           4
        .value_kind:     hidden_block_count_z
      - .offset:         92
        .size:           2
        .value_kind:     hidden_group_size_x
      - .offset:         94
        .size:           2
        .value_kind:     hidden_group_size_y
      - .offset:         96
        .size:           2
        .value_kind:     hidden_group_size_z
      - .offset:         98
        .size:           2
        .value_kind:     hidden_remainder_x
      - .offset:         100
        .size:           2
        .value_kind:     hidden_remainder_y
      - .offset:         102
        .size:           2
        .value_kind:     hidden_remainder_z
      - .offset:         120
        .size:           8
        .value_kind:     hidden_global_offset_x
      - .offset:         128
        .size:           8
        .value_kind:     hidden_global_offset_y
      - .offset:         136
        .size:           8
        .value_kind:     hidden_global_offset_z
      - .offset:         144
        .size:           2
        .value_kind:     hidden_grid_dims
    .group_segment_fixed_size: 0
    .kernarg_segment_align: 8
    .kernarg_segment_size: 336
    .language:       OpenCL C
    .language_version:
      - 2
      - 0
    .max_flat_workgroup_size: 64
    .name:           _ZL36rocblas_hemvn_kernel_upper_block_sumILi64ElfPKPffEviT1_lS3_lT2_lT0_lPT3_i
    .private_segment_fixed_size: 0
    .sgpr_count:     22
    .sgpr_spill_count: 0
    .symbol:         _ZL36rocblas_hemvn_kernel_upper_block_sumILi64ElfPKPffEviT1_lS3_lT2_lT0_lPT3_i.kd
    .uniform_work_group_size: 1
    .uses_dynamic_stack: false
    .vgpr_count:     7
    .vgpr_spill_count: 0
    .wavefront_size: 32
    .workgroup_processor_mode: 1
  - .args:
      - .offset:         0
        .size:           4
        .value_kind:     by_value
      - .offset:         4
        .size:           4
        .value_kind:     by_value
      - .offset:         8
        .size:           8
        .value_kind:     by_value
      - .address_space:  global
        .offset:         16
        .size:           8
        .value_kind:     global_buffer
      - .offset:         24
        .size:           8
        .value_kind:     by_value
      - .offset:         32
        .size:           4
        .value_kind:     by_value
      - .offset:         40
        .size:           8
        .value_kind:     by_value
      - .address_space:  global
        .offset:         48
        .size:           8
        .value_kind:     global_buffer
      - .offset:         56
        .size:           8
        .value_kind:     by_value
      - .offset:         64
        .size:           4
        .value_kind:     by_value
      - .offset:         72
        .size:           8
        .value_kind:     by_value
      - .offset:         80
        .size:           4
        .value_kind:     by_value
      - .offset:         88
        .size:           8
        .value_kind:     by_value
      - .address_space:  global
        .offset:         96
        .size:           8
        .value_kind:     global_buffer
      - .offset:         104
        .size:           4
        .value_kind:     by_value
      - .offset:         112
        .size:           4
        .value_kind:     hidden_block_count_x
      - .offset:         116
        .size:           4
        .value_kind:     hidden_block_count_y
      - .offset:         120
        .size:           4
        .value_kind:     hidden_block_count_z
      - .offset:         124
        .size:           2
        .value_kind:     hidden_group_size_x
      - .offset:         126
        .size:           2
        .value_kind:     hidden_group_size_y
      - .offset:         128
        .size:           2
        .value_kind:     hidden_group_size_z
      - .offset:         130
        .size:           2
        .value_kind:     hidden_remainder_x
      - .offset:         132
        .size:           2
        .value_kind:     hidden_remainder_y
      - .offset:         134
        .size:           2
        .value_kind:     hidden_remainder_z
      - .offset:         152
        .size:           8
        .value_kind:     hidden_global_offset_x
      - .offset:         160
        .size:           8
        .value_kind:     hidden_global_offset_y
      - .offset:         168
        .size:           8
        .value_kind:     hidden_global_offset_z
      - .offset:         176
        .size:           2
        .value_kind:     hidden_grid_dims
    .group_segment_fixed_size: 4800
    .kernarg_segment_align: 8
    .kernarg_segment_size: 368
    .language:       OpenCL C
    .language_version:
      - 2
      - 0
    .max_flat_workgroup_size: 256
    .name:           _ZL26rocblas_hemvn_kernel_upperILb0ELi64ELi4ELi33ELi32ELi16EifPKPKfPfEviT6_lT7_lT5_lS6_lS7_lS5_lT8_i
    .private_segment_fixed_size: 0
    .sgpr_count:     47
    .sgpr_spill_count: 0
    .symbol:         _ZL26rocblas_hemvn_kernel_upperILb0ELi64ELi4ELi33ELi32ELi16EifPKPKfPfEviT6_lT7_lT5_lS6_lS7_lS5_lT8_i.kd
    .uniform_work_group_size: 1
    .uses_dynamic_stack: false
    .vgpr_count:     132
    .vgpr_spill_count: 0
    .wavefront_size: 32
    .workgroup_processor_mode: 1
  - .args:
      - .offset:         0
        .size:           4
        .value_kind:     by_value
      - .offset:         4
        .size:           4
        .value_kind:     by_value
      - .offset:         8
        .size:           8
        .value_kind:     by_value
      - .offset:         16
        .size:           4
        .value_kind:     by_value
      - .offset:         24
        .size:           8
        .value_kind:     by_value
      - .actual_access:  read_only
        .address_space:  global
        .offset:         32
        .size:           8
        .value_kind:     global_buffer
      - .offset:         40
        .size:           8
        .value_kind:     by_value
      - .offset:         48
        .size:           4
        .value_kind:     by_value
      - .offset:         56
        .size:           8
        .value_kind:     by_value
      - .address_space:  global
        .offset:         64
        .size:           8
        .value_kind:     global_buffer
      - .offset:         72
        .size:           4
        .value_kind:     by_value
      - .offset:         80
        .size:           4
        .value_kind:     hidden_block_count_x
      - .offset:         84
        .size:           4
        .value_kind:     hidden_block_count_y
      - .offset:         88
        .size:           4
        .value_kind:     hidden_block_count_z
      - .offset:         92
        .size:           2
        .value_kind:     hidden_group_size_x
      - .offset:         94
        .size:           2
        .value_kind:     hidden_group_size_y
      - .offset:         96
        .size:           2
        .value_kind:     hidden_group_size_z
      - .offset:         98
        .size:           2
        .value_kind:     hidden_remainder_x
      - .offset:         100
        .size:           2
        .value_kind:     hidden_remainder_y
      - .offset:         102
        .size:           2
        .value_kind:     hidden_remainder_z
      - .offset:         120
        .size:           8
        .value_kind:     hidden_global_offset_x
      - .offset:         128
        .size:           8
        .value_kind:     hidden_global_offset_y
      - .offset:         136
        .size:           8
        .value_kind:     hidden_global_offset_z
      - .offset:         144
        .size:           2
        .value_kind:     hidden_grid_dims
    .group_segment_fixed_size: 0
    .kernarg_segment_align: 8
    .kernarg_segment_size: 336
    .language:       OpenCL C
    .language_version:
      - 2
      - 0
    .max_flat_workgroup_size: 64
    .name:           _ZL36rocblas_hemvn_kernel_upper_block_sumILi64EifPKPffEviT1_lS3_lT2_lT0_lPT3_i
    .private_segment_fixed_size: 0
    .sgpr_count:     22
    .sgpr_spill_count: 0
    .symbol:         _ZL36rocblas_hemvn_kernel_upper_block_sumILi64EifPKPffEviT1_lS3_lT2_lT0_lPT3_i.kd
    .uniform_work_group_size: 1
    .uses_dynamic_stack: false
    .vgpr_count:     6
    .vgpr_spill_count: 0
    .wavefront_size: 32
    .workgroup_processor_mode: 1
  - .args:
      - .offset:         0
        .size:           1
        .value_kind:     by_value
      - .offset:         4
        .size:           4
        .value_kind:     by_value
      - .offset:         8
        .size:           8
        .value_kind:     by_value
      - .offset:         16
        .size:           8
        .value_kind:     by_value
      - .address_space:  global
        .offset:         24
        .size:           8
        .value_kind:     global_buffer
      - .offset:         32
        .size:           8
        .value_kind:     by_value
      - .offset:         40
        .size:           8
        .value_kind:     by_value
      - .offset:         48
        .size:           8
        .value_kind:     by_value
      - .address_space:  global
        .offset:         56
        .size:           8
        .value_kind:     global_buffer
      - .offset:         64
        .size:           8
        .value_kind:     by_value
      - .offset:         72
        .size:           8
        .value_kind:     by_value
      - .offset:         80
        .size:           8
        .value_kind:     by_value
      - .offset:         88
        .size:           8
        .value_kind:     by_value
      - .offset:         96
        .size:           8
        .value_kind:     by_value
      - .actual_access:  read_only
        .address_space:  global
        .offset:         104
        .size:           8
        .value_kind:     global_buffer
      - .offset:         112
        .size:           8
        .value_kind:     by_value
      - .offset:         120
        .size:           8
        .value_kind:     by_value
      - .offset:         128
        .size:           8
        .value_kind:     by_value
      - .offset:         136
        .size:           4
        .value_kind:     by_value
    .group_segment_fixed_size: 5248
    .kernarg_segment_align: 8
    .kernarg_segment_size: 140
    .language:       OpenCL C
    .language_version:
      - 2
      - 0
    .max_flat_workgroup_size: 128
    .name:           _ZL50rocblas_symv_kernel_lower_double_buffered_diagonalILi32ELi4E24rocblas_internal_val_ptrIfEPKPKfPKPfEvbiT1_lT2_lllSA_lllS9_lT3_llli
    .private_segment_fixed_size: 0
    .sgpr_count:     25
    .sgpr_spill_count: 0
    .symbol:         _ZL50rocblas_symv_kernel_lower_double_buffered_diagonalILi32ELi4E24rocblas_internal_val_ptrIfEPKPKfPKPfEvbiT1_lT2_lllSA_lllS9_lT3_llli.kd
    .uniform_work_group_size: 1
    .uses_dynamic_stack: false
    .vgpr_count:     22
    .vgpr_spill_count: 0
    .wavefront_size: 32
    .workgroup_processor_mode: 1
  - .args:
      - .offset:         0
        .size:           1
        .value_kind:     by_value
      - .offset:         4
        .size:           4
        .value_kind:     by_value
      - .offset:         8
        .size:           8
        .value_kind:     by_value
      - .offset:         16
        .size:           8
        .value_kind:     by_value
      - .address_space:  global
        .offset:         24
        .size:           8
        .value_kind:     global_buffer
      - .offset:         32
        .size:           8
        .value_kind:     by_value
      - .offset:         40
        .size:           8
        .value_kind:     by_value
      - .offset:         48
        .size:           8
        .value_kind:     by_value
      - .address_space:  global
        .offset:         56
        .size:           8
        .value_kind:     global_buffer
      - .offset:         64
        .size:           8
        .value_kind:     by_value
      - .offset:         72
        .size:           8
        .value_kind:     by_value
      - .offset:         80
        .size:           8
        .value_kind:     by_value
      - .actual_access:  read_only
        .address_space:  global
        .offset:         88
        .size:           8
        .value_kind:     global_buffer
      - .offset:         96
        .size:           8
        .value_kind:     by_value
      - .offset:         104
        .size:           8
        .value_kind:     by_value
      - .offset:         112
        .size:           8
        .value_kind:     by_value
      - .offset:         120
        .size:           4
        .value_kind:     by_value
      - .offset:         128
        .size:           4
        .value_kind:     hidden_block_count_x
      - .offset:         132
        .size:           4
        .value_kind:     hidden_block_count_y
      - .offset:         136
        .size:           4
        .value_kind:     hidden_block_count_z
      - .offset:         140
        .size:           2
        .value_kind:     hidden_group_size_x
      - .offset:         142
        .size:           2
        .value_kind:     hidden_group_size_y
      - .offset:         144
        .size:           2
        .value_kind:     hidden_group_size_z
      - .offset:         146
        .size:           2
        .value_kind:     hidden_remainder_x
      - .offset:         148
        .size:           2
        .value_kind:     hidden_remainder_y
      - .offset:         150
        .size:           2
        .value_kind:     hidden_remainder_z
      - .offset:         168
        .size:           8
        .value_kind:     hidden_global_offset_x
      - .offset:         176
        .size:           8
        .value_kind:     hidden_global_offset_y
      - .offset:         184
        .size:           8
        .value_kind:     hidden_global_offset_z
      - .offset:         192
        .size:           2
        .value_kind:     hidden_grid_dims
    .group_segment_fixed_size: 3200
    .kernarg_segment_align: 8
    .kernarg_segment_size: 384
    .language:       OpenCL C
    .language_version:
      - 2
      - 0
    .max_flat_workgroup_size: 128
    .name:           _ZL54rocblas_symv_kernel_lower_double_buffered_non_diagonalILi32ELi4ELi4E24rocblas_internal_val_ptrIfEPKPKfPKPfEvbiT2_lT3_lllSA_lllT4_llli
    .private_segment_fixed_size: 0
    .sgpr_count:     30
    .sgpr_spill_count: 0
    .symbol:         _ZL54rocblas_symv_kernel_lower_double_buffered_non_diagonalILi32ELi4ELi4E24rocblas_internal_val_ptrIfEPKPKfPKPfEvbiT2_lT3_lllSA_lllT4_llli.kd
    .uniform_work_group_size: 1
    .uses_dynamic_stack: false
    .vgpr_count:     47
    .vgpr_spill_count: 0
    .wavefront_size: 32
    .workgroup_processor_mode: 1
  - .args:
      - .offset:         0
        .size:           1
        .value_kind:     by_value
      - .offset:         4
        .size:           4
        .value_kind:     by_value
      - .offset:         8
        .size:           8
        .value_kind:     by_value
      - .offset:         16
        .size:           8
        .value_kind:     by_value
      - .address_space:  global
        .offset:         24
        .size:           8
        .value_kind:     global_buffer
      - .offset:         32
        .size:           8
        .value_kind:     by_value
      - .offset:         40
        .size:           8
        .value_kind:     by_value
      - .offset:         48
        .size:           8
        .value_kind:     by_value
      - .address_space:  global
        .offset:         56
        .size:           8
        .value_kind:     global_buffer
      - .offset:         64
        .size:           8
        .value_kind:     by_value
      - .offset:         72
        .size:           8
        .value_kind:     by_value
      - .offset:         80
        .size:           8
        .value_kind:     by_value
      - .offset:         88
        .size:           8
        .value_kind:     by_value
      - .offset:         96
        .size:           8
        .value_kind:     by_value
      - .actual_access:  read_only
        .address_space:  global
        .offset:         104
        .size:           8
        .value_kind:     global_buffer
      - .offset:         112
        .size:           8
        .value_kind:     by_value
      - .offset:         120
        .size:           8
        .value_kind:     by_value
      - .offset:         128
        .size:           8
        .value_kind:     by_value
      - .offset:         136
        .size:           4
        .value_kind:     by_value
      - .offset:         140
        .size:           4
        .value_kind:     by_value
      - .offset:         144
        .size:           4
        .value_kind:     hidden_block_count_x
      - .offset:         148
        .size:           4
        .value_kind:     hidden_block_count_y
      - .offset:         152
        .size:           4
        .value_kind:     hidden_block_count_z
      - .offset:         156
        .size:           2
        .value_kind:     hidden_group_size_x
      - .offset:         158
        .size:           2
        .value_kind:     hidden_group_size_y
      - .offset:         160
        .size:           2
        .value_kind:     hidden_group_size_z
      - .offset:         162
        .size:           2
        .value_kind:     hidden_remainder_x
      - .offset:         164
        .size:           2
        .value_kind:     hidden_remainder_y
      - .offset:         166
        .size:           2
        .value_kind:     hidden_remainder_z
      - .offset:         184
        .size:           8
        .value_kind:     hidden_global_offset_x
      - .offset:         192
        .size:           8
        .value_kind:     hidden_global_offset_y
      - .offset:         200
        .size:           8
        .value_kind:     hidden_global_offset_z
      - .offset:         208
        .size:           2
        .value_kind:     hidden_grid_dims
    .group_segment_fixed_size: 5248
    .kernarg_segment_align: 8
    .kernarg_segment_size: 400
    .language:       OpenCL C
    .language_version:
      - 2
      - 0
    .max_flat_workgroup_size: 128
    .name:           _ZL58rocblas_symv_kernel_lower_double_buffered_diagonal_genericILi32ELi4E24rocblas_internal_val_ptrIfEPKPKfPKPfEvbiT1_lT2_lllSA_lllS9_lT3_lllii
    .private_segment_fixed_size: 0
    .sgpr_count:     27
    .sgpr_spill_count: 0
    .symbol:         _ZL58rocblas_symv_kernel_lower_double_buffered_diagonal_genericILi32ELi4E24rocblas_internal_val_ptrIfEPKPKfPKPfEvbiT1_lT2_lllSA_lllS9_lT3_lllii.kd
    .uniform_work_group_size: 1
    .uses_dynamic_stack: false
    .vgpr_count:     21
    .vgpr_spill_count: 0
    .wavefront_size: 32
    .workgroup_processor_mode: 1
  - .args:
      - .offset:         0
        .size:           1
        .value_kind:     by_value
      - .offset:         4
        .size:           4
        .value_kind:     by_value
      - .offset:         8
        .size:           8
        .value_kind:     by_value
      - .offset:         16
        .size:           8
        .value_kind:     by_value
      - .address_space:  global
        .offset:         24
        .size:           8
        .value_kind:     global_buffer
      - .offset:         32
        .size:           8
        .value_kind:     by_value
      - .offset:         40
        .size:           8
        .value_kind:     by_value
      - .offset:         48
        .size:           8
        .value_kind:     by_value
      - .address_space:  global
        .offset:         56
        .size:           8
        .value_kind:     global_buffer
      - .offset:         64
        .size:           8
        .value_kind:     by_value
      - .offset:         72
        .size:           8
        .value_kind:     by_value
      - .offset:         80
        .size:           8
        .value_kind:     by_value
      - .actual_access:  read_only
        .address_space:  global
        .offset:         88
        .size:           8
        .value_kind:     global_buffer
      - .offset:         96
        .size:           8
        .value_kind:     by_value
      - .offset:         104
        .size:           8
        .value_kind:     by_value
      - .offset:         112
        .size:           8
        .value_kind:     by_value
      - .offset:         120
        .size:           4
        .value_kind:     by_value
      - .offset:         124
        .size:           4
        .value_kind:     by_value
      - .offset:         128
        .size:           4
        .value_kind:     hidden_block_count_x
      - .offset:         132
        .size:           4
        .value_kind:     hidden_block_count_y
      - .offset:         136
        .size:           4
        .value_kind:     hidden_block_count_z
      - .offset:         140
        .size:           2
        .value_kind:     hidden_group_size_x
      - .offset:         142
        .size:           2
        .value_kind:     hidden_group_size_y
      - .offset:         144
        .size:           2
        .value_kind:     hidden_group_size_z
      - .offset:         146
        .size:           2
        .value_kind:     hidden_remainder_x
      - .offset:         148
        .size:           2
        .value_kind:     hidden_remainder_y
      - .offset:         150
        .size:           2
        .value_kind:     hidden_remainder_z
      - .offset:         168
        .size:           8
        .value_kind:     hidden_global_offset_x
      - .offset:         176
        .size:           8
        .value_kind:     hidden_global_offset_y
      - .offset:         184
        .size:           8
        .value_kind:     hidden_global_offset_z
      - .offset:         192
        .size:           2
        .value_kind:     hidden_grid_dims
    .group_segment_fixed_size: 3200
    .kernarg_segment_align: 8
    .kernarg_segment_size: 384
    .language:       OpenCL C
    .language_version:
      - 2
      - 0
    .max_flat_workgroup_size: 128
    .name:           _ZL62rocblas_symv_kernel_lower_double_buffered_non_diagonal_genericILi32ELi4ELi4E24rocblas_internal_val_ptrIfEPKPKfPKPfEvbiT2_lT3_lllSA_lllT4_lllii
    .private_segment_fixed_size: 0
    .sgpr_count:     34
    .sgpr_spill_count: 0
    .symbol:         _ZL62rocblas_symv_kernel_lower_double_buffered_non_diagonal_genericILi32ELi4ELi4E24rocblas_internal_val_ptrIfEPKPKfPKPfEvbiT2_lT3_lllSA_lllT4_lllii.kd
    .uniform_work_group_size: 1
    .uses_dynamic_stack: false
    .vgpr_count:     52
    .vgpr_spill_count: 0
    .wavefront_size: 32
    .workgroup_processor_mode: 1
  - .args:
      - .offset:         0
        .size:           4
        .value_kind:     by_value
      - .address_space:  global
        .offset:         8
        .size:           8
        .value_kind:     global_buffer
      - .offset:         16
        .size:           8
        .value_kind:     by_value
      - .address_space:  global
        .offset:         24
        .size:           8
        .value_kind:     global_buffer
      - .offset:         32
        .size:           8
        .value_kind:     by_value
      - .offset:         40
        .size:           8
        .value_kind:     by_value
      - .offset:         48
        .size:           8
        .value_kind:     by_value
      - .address_space:  global
        .offset:         56
        .size:           8
        .value_kind:     global_buffer
      - .offset:         64
        .size:           8
        .value_kind:     by_value
      - .offset:         72
        .size:           8
        .value_kind:     by_value
      - .offset:         80
        .size:           8
        .value_kind:     by_value
      - .address_space:  global
        .offset:         88
        .size:           8
        .value_kind:     global_buffer
      - .offset:         96
        .size:           8
        .value_kind:     by_value
      - .address_space:  global
        .offset:         104
        .size:           8
        .value_kind:     global_buffer
      - .offset:         112
        .size:           4
        .value_kind:     by_value
      - .offset:         120
        .size:           4
        .value_kind:     hidden_block_count_x
      - .offset:         124
        .size:           4
        .value_kind:     hidden_block_count_y
      - .offset:         128
        .size:           4
        .value_kind:     hidden_block_count_z
      - .offset:         132
        .size:           2
        .value_kind:     hidden_group_size_x
      - .offset:         134
        .size:           2
        .value_kind:     hidden_group_size_y
      - .offset:         136
        .size:           2
        .value_kind:     hidden_group_size_z
      - .offset:         138
        .size:           2
        .value_kind:     hidden_remainder_x
      - .offset:         140
        .size:           2
        .value_kind:     hidden_remainder_y
      - .offset:         142
        .size:           2
        .value_kind:     hidden_remainder_z
      - .offset:         160
        .size:           8
        .value_kind:     hidden_global_offset_x
      - .offset:         168
        .size:           8
        .value_kind:     hidden_global_offset_y
      - .offset:         176
        .size:           8
        .value_kind:     hidden_global_offset_z
      - .offset:         184
        .size:           2
        .value_kind:     hidden_grid_dims
    .group_segment_fixed_size: 4800
    .kernarg_segment_align: 8
    .kernarg_segment_size: 376
    .language:       OpenCL C
    .language_version:
      - 2
      - 0
    .max_flat_workgroup_size: 256
    .name:           _ZL26rocblas_hemvn_kernel_lowerILb0ELi64ELi4ELi33ELi32ELi16ElPKfPKS1_PfEviT6_lT7_lT5_lS6_lS7_lS5_lT8_i
    .private_segment_fixed_size: 0
    .sgpr_count:     48
    .sgpr_spill_count: 0
    .symbol:         _ZL26rocblas_hemvn_kernel_lowerILb0ELi64ELi4ELi33ELi32ELi16ElPKfPKS1_PfEviT6_lT7_lT5_lS6_lS7_lS5_lT8_i.kd
    .uniform_work_group_size: 1
    .uses_dynamic_stack: false
    .vgpr_count:     68
    .vgpr_spill_count: 0
    .wavefront_size: 32
    .workgroup_processor_mode: 1
  - .args:
      - .offset:         0
        .size:           4
        .value_kind:     by_value
      - .address_space:  global
        .offset:         8
        .size:           8
        .value_kind:     global_buffer
      - .offset:         16
        .size:           8
        .value_kind:     by_value
      - .address_space:  global
        .offset:         24
        .size:           8
        .value_kind:     global_buffer
      - .offset:         32
        .size:           8
        .value_kind:     by_value
      - .actual_access:  read_only
        .address_space:  global
        .offset:         40
        .size:           8
        .value_kind:     global_buffer
      - .offset:         48
        .size:           8
        .value_kind:     by_value
      - .offset:         56
        .size:           8
        .value_kind:     by_value
      - .offset:         64
        .size:           8
        .value_kind:     by_value
      - .actual_access:  read_only
        .address_space:  global
        .offset:         72
        .size:           8
        .value_kind:     global_buffer
      - .offset:         80
        .size:           4
        .value_kind:     by_value
      - .offset:         88
        .size:           4
        .value_kind:     hidden_block_count_x
      - .offset:         92
        .size:           4
        .value_kind:     hidden_block_count_y
      - .offset:         96
        .size:           4
        .value_kind:     hidden_block_count_z
      - .offset:         100
        .size:           2
        .value_kind:     hidden_group_size_x
      - .offset:         102
        .size:           2
        .value_kind:     hidden_group_size_y
      - .offset:         104
        .size:           2
        .value_kind:     hidden_group_size_z
      - .offset:         106
        .size:           2
        .value_kind:     hidden_remainder_x
      - .offset:         108
        .size:           2
        .value_kind:     hidden_remainder_y
      - .offset:         110
        .size:           2
        .value_kind:     hidden_remainder_z
      - .offset:         128
        .size:           8
        .value_kind:     hidden_global_offset_x
      - .offset:         136
        .size:           8
        .value_kind:     hidden_global_offset_y
      - .offset:         144
        .size:           8
        .value_kind:     hidden_global_offset_z
      - .offset:         152
        .size:           2
        .value_kind:     hidden_grid_dims
    .group_segment_fixed_size: 0
    .kernarg_segment_align: 8
    .kernarg_segment_size: 344
    .language:       OpenCL C
    .language_version:
      - 2
      - 0
    .max_flat_workgroup_size: 64
    .name:           _ZL36rocblas_hemvn_kernel_lower_block_sumILi64ElPKfPKPffEviT1_lS5_lT2_lT0_lPT3_i
    .private_segment_fixed_size: 0
    .sgpr_count:     26
    .sgpr_spill_count: 0
    .symbol:         _ZL36rocblas_hemvn_kernel_lower_block_sumILi64ElPKfPKPffEviT1_lS5_lT2_lT0_lPT3_i.kd
    .uniform_work_group_size: 1
    .uses_dynamic_stack: false
    .vgpr_count:     7
    .vgpr_spill_count: 0
    .wavefront_size: 32
    .workgroup_processor_mode: 1
  - .args:
      - .offset:         0
        .size:           4
        .value_kind:     by_value
      - .address_space:  global
        .offset:         8
        .size:           8
        .value_kind:     global_buffer
      - .offset:         16
        .size:           8
        .value_kind:     by_value
      - .address_space:  global
        .offset:         24
        .size:           8
        .value_kind:     global_buffer
      - .offset:         32
        .size:           8
        .value_kind:     by_value
      - .offset:         40
        .size:           4
        .value_kind:     by_value
      - .offset:         48
        .size:           8
        .value_kind:     by_value
      - .address_space:  global
        .offset:         56
        .size:           8
        .value_kind:     global_buffer
      - .offset:         64
        .size:           8
        .value_kind:     by_value
      - .offset:         72
        .size:           4
        .value_kind:     by_value
      - .offset:         80
        .size:           8
        .value_kind:     by_value
      - .address_space:  global
        .offset:         88
        .size:           8
        .value_kind:     global_buffer
      - .offset:         96
        .size:           8
        .value_kind:     by_value
      - .address_space:  global
        .offset:         104
        .size:           8
        .value_kind:     global_buffer
      - .offset:         112
        .size:           4
        .value_kind:     by_value
      - .offset:         120
        .size:           4
        .value_kind:     hidden_block_count_x
      - .offset:         124
        .size:           4
        .value_kind:     hidden_block_count_y
      - .offset:         128
        .size:           4
        .value_kind:     hidden_block_count_z
      - .offset:         132
        .size:           2
        .value_kind:     hidden_group_size_x
      - .offset:         134
        .size:           2
        .value_kind:     hidden_group_size_y
      - .offset:         136
        .size:           2
        .value_kind:     hidden_group_size_z
      - .offset:         138
        .size:           2
        .value_kind:     hidden_remainder_x
      - .offset:         140
        .size:           2
        .value_kind:     hidden_remainder_y
      - .offset:         142
        .size:           2
        .value_kind:     hidden_remainder_z
      - .offset:         160
        .size:           8
        .value_kind:     hidden_global_offset_x
      - .offset:         168
        .size:           8
        .value_kind:     hidden_global_offset_y
      - .offset:         176
        .size:           8
        .value_kind:     hidden_global_offset_z
      - .offset:         184
        .size:           2
        .value_kind:     hidden_grid_dims
    .group_segment_fixed_size: 4800
    .kernarg_segment_align: 8
    .kernarg_segment_size: 376
    .language:       OpenCL C
    .language_version:
      - 2
      - 0
    .max_flat_workgroup_size: 256
    .name:           _ZL26rocblas_hemvn_kernel_lowerILb0ELi64ELi4ELi33ELi32ELi16EiPKfPKS1_PfEviT6_lT7_lT5_lS6_lS7_lS5_lT8_i
    .private_segment_fixed_size: 0
    .sgpr_count:     48
    .sgpr_spill_count: 0
    .symbol:         _ZL26rocblas_hemvn_kernel_lowerILb0ELi64ELi4ELi33ELi32ELi16EiPKfPKS1_PfEviT6_lT7_lT5_lS6_lS7_lS5_lT8_i.kd
    .uniform_work_group_size: 1
    .uses_dynamic_stack: false
    .vgpr_count:     66
    .vgpr_spill_count: 0
    .wavefront_size: 32
    .workgroup_processor_mode: 1
  - .args:
      - .offset:         0
        .size:           4
        .value_kind:     by_value
      - .address_space:  global
        .offset:         8
        .size:           8
        .value_kind:     global_buffer
      - .offset:         16
        .size:           8
        .value_kind:     by_value
      - .address_space:  global
        .offset:         24
        .size:           8
        .value_kind:     global_buffer
      - .offset:         32
        .size:           8
        .value_kind:     by_value
      - .actual_access:  read_only
        .address_space:  global
        .offset:         40
        .size:           8
        .value_kind:     global_buffer
      - .offset:         48
        .size:           8
        .value_kind:     by_value
      - .offset:         56
        .size:           4
        .value_kind:     by_value
      - .offset:         64
        .size:           8
        .value_kind:     by_value
      - .actual_access:  read_only
        .address_space:  global
        .offset:         72
        .size:           8
        .value_kind:     global_buffer
      - .offset:         80
        .size:           4
        .value_kind:     by_value
      - .offset:         88
        .size:           4
        .value_kind:     hidden_block_count_x
      - .offset:         92
        .size:           4
        .value_kind:     hidden_block_count_y
      - .offset:         96
        .size:           4
        .value_kind:     hidden_block_count_z
      - .offset:         100
        .size:           2
        .value_kind:     hidden_group_size_x
      - .offset:         102
        .size:           2
        .value_kind:     hidden_group_size_y
      - .offset:         104
        .size:           2
        .value_kind:     hidden_group_size_z
      - .offset:         106
        .size:           2
        .value_kind:     hidden_remainder_x
      - .offset:         108
        .size:           2
        .value_kind:     hidden_remainder_y
      - .offset:         110
        .size:           2
        .value_kind:     hidden_remainder_z
      - .offset:         128
        .size:           8
        .value_kind:     hidden_global_offset_x
      - .offset:         136
        .size:           8
        .value_kind:     hidden_global_offset_y
      - .offset:         144
        .size:           8
        .value_kind:     hidden_global_offset_z
      - .offset:         152
        .size:           2
        .value_kind:     hidden_grid_dims
    .group_segment_fixed_size: 0
    .kernarg_segment_align: 8
    .kernarg_segment_size: 344
    .language:       OpenCL C
    .language_version:
      - 2
      - 0
    .max_flat_workgroup_size: 64
    .name:           _ZL36rocblas_hemvn_kernel_lower_block_sumILi64EiPKfPKPffEviT1_lS5_lT2_lT0_lPT3_i
    .private_segment_fixed_size: 0
    .sgpr_count:     26
    .sgpr_spill_count: 0
    .symbol:         _ZL36rocblas_hemvn_kernel_lower_block_sumILi64EiPKfPKPffEviT1_lS5_lT2_lT0_lPT3_i.kd
    .uniform_work_group_size: 1
    .uses_dynamic_stack: false
    .vgpr_count:     7
    .vgpr_spill_count: 0
    .wavefront_size: 32
    .workgroup_processor_mode: 1
  - .args:
      - .offset:         0
        .size:           4
        .value_kind:     by_value
      - .offset:         4
        .size:           4
        .value_kind:     by_value
      - .offset:         8
        .size:           8
        .value_kind:     by_value
      - .address_space:  global
        .offset:         16
        .size:           8
        .value_kind:     global_buffer
      - .offset:         24
        .size:           8
        .value_kind:     by_value
      - .offset:         32
        .size:           8
        .value_kind:     by_value
      - .offset:         40
        .size:           8
        .value_kind:     by_value
      - .address_space:  global
        .offset:         48
        .size:           8
        .value_kind:     global_buffer
      - .offset:         56
        .size:           8
        .value_kind:     by_value
      - .offset:         64
        .size:           8
        .value_kind:     by_value
      - .offset:         72
        .size:           8
        .value_kind:     by_value
      - .offset:         80
        .size:           4
        .value_kind:     by_value
      - .offset:         88
        .size:           8
        .value_kind:     by_value
      - .address_space:  global
        .offset:         96
        .size:           8
        .value_kind:     global_buffer
      - .offset:         104
        .size:           4
        .value_kind:     by_value
      - .offset:         112
        .size:           4
        .value_kind:     hidden_block_count_x
      - .offset:         116
        .size:           4
        .value_kind:     hidden_block_count_y
      - .offset:         120
        .size:           4
        .value_kind:     hidden_block_count_z
      - .offset:         124
        .size:           2
        .value_kind:     hidden_group_size_x
      - .offset:         126
        .size:           2
        .value_kind:     hidden_group_size_y
      - .offset:         128
        .size:           2
        .value_kind:     hidden_group_size_z
      - .offset:         130
        .size:           2
        .value_kind:     hidden_remainder_x
      - .offset:         132
        .size:           2
        .value_kind:     hidden_remainder_y
      - .offset:         134
        .size:           2
        .value_kind:     hidden_remainder_z
      - .offset:         152
        .size:           8
        .value_kind:     hidden_global_offset_x
      - .offset:         160
        .size:           8
        .value_kind:     hidden_global_offset_y
      - .offset:         168
        .size:           8
        .value_kind:     hidden_global_offset_z
      - .offset:         176
        .size:           2
        .value_kind:     hidden_grid_dims
    .group_segment_fixed_size: 4800
    .kernarg_segment_align: 8
    .kernarg_segment_size: 368
    .language:       OpenCL C
    .language_version:
      - 2
      - 0
    .max_flat_workgroup_size: 256
    .name:           _ZL26rocblas_hemvn_kernel_lowerILb0ELi64ELi4ELi33ELi32ELi16ElfPKPKfPfEviT6_lT7_lT5_lS6_lS7_lS5_lT8_i
    .private_segment_fixed_size: 0
    .sgpr_count:     48
    .sgpr_spill_count: 0
    .symbol:         _ZL26rocblas_hemvn_kernel_lowerILb0ELi64ELi4ELi33ELi32ELi16ElfPKPKfPfEviT6_lT7_lT5_lS6_lS7_lS5_lT8_i.kd
    .uniform_work_group_size: 1
    .uses_dynamic_stack: false
    .vgpr_count:     68
    .vgpr_spill_count: 0
    .wavefront_size: 32
    .workgroup_processor_mode: 1
  - .args:
      - .offset:         0
        .size:           4
        .value_kind:     by_value
      - .offset:         4
        .size:           4
        .value_kind:     by_value
      - .offset:         8
        .size:           8
        .value_kind:     by_value
      - .offset:         16
        .size:           4
        .value_kind:     by_value
      - .offset:         24
        .size:           8
        .value_kind:     by_value
      - .actual_access:  read_only
        .address_space:  global
        .offset:         32
        .size:           8
        .value_kind:     global_buffer
      - .offset:         40
        .size:           8
        .value_kind:     by_value
      - .offset:         48
        .size:           8
        .value_kind:     by_value
      - .offset:         56
        .size:           8
        .value_kind:     by_value
      - .actual_access:  read_only
        .address_space:  global
        .offset:         64
        .size:           8
        .value_kind:     global_buffer
      - .offset:         72
        .size:           4
        .value_kind:     by_value
      - .offset:         80
        .size:           4
        .value_kind:     hidden_block_count_x
      - .offset:         84
        .size:           4
        .value_kind:     hidden_block_count_y
      - .offset:         88
        .size:           4
        .value_kind:     hidden_block_count_z
      - .offset:         92
        .size:           2
        .value_kind:     hidden_group_size_x
      - .offset:         94
        .size:           2
        .value_kind:     hidden_group_size_y
      - .offset:         96
        .size:           2
        .value_kind:     hidden_group_size_z
      - .offset:         98
        .size:           2
        .value_kind:     hidden_remainder_x
      - .offset:         100
        .size:           2
        .value_kind:     hidden_remainder_y
      - .offset:         102
        .size:           2
        .value_kind:     hidden_remainder_z
      - .offset:         120
        .size:           8
        .value_kind:     hidden_global_offset_x
      - .offset:         128
        .size:           8
        .value_kind:     hidden_global_offset_y
      - .offset:         136
        .size:           8
        .value_kind:     hidden_global_offset_z
      - .offset:         144
        .size:           2
        .value_kind:     hidden_grid_dims
    .group_segment_fixed_size: 0
    .kernarg_segment_align: 8
    .kernarg_segment_size: 336
    .language:       OpenCL C
    .language_version:
      - 2
      - 0
    .max_flat_workgroup_size: 64
    .name:           _ZL36rocblas_hemvn_kernel_lower_block_sumILi64ElfPKPffEviT1_lS3_lT2_lT0_lPT3_i
    .private_segment_fixed_size: 0
    .sgpr_count:     22
    .sgpr_spill_count: 0
    .symbol:         _ZL36rocblas_hemvn_kernel_lower_block_sumILi64ElfPKPffEviT1_lS3_lT2_lT0_lPT3_i.kd
    .uniform_work_group_size: 1
    .uses_dynamic_stack: false
    .vgpr_count:     7
    .vgpr_spill_count: 0
    .wavefront_size: 32
    .workgroup_processor_mode: 1
  - .args:
      - .offset:         0
        .size:           4
        .value_kind:     by_value
      - .offset:         4
        .size:           4
        .value_kind:     by_value
      - .offset:         8
        .size:           8
        .value_kind:     by_value
      - .address_space:  global
        .offset:         16
        .size:           8
        .value_kind:     global_buffer
      - .offset:         24
        .size:           8
        .value_kind:     by_value
      - .offset:         32
        .size:           4
        .value_kind:     by_value
      - .offset:         40
        .size:           8
        .value_kind:     by_value
      - .address_space:  global
        .offset:         48
        .size:           8
        .value_kind:     global_buffer
      - .offset:         56
        .size:           8
        .value_kind:     by_value
      - .offset:         64
        .size:           4
        .value_kind:     by_value
      - .offset:         72
        .size:           8
        .value_kind:     by_value
      - .offset:         80
        .size:           4
        .value_kind:     by_value
      - .offset:         88
        .size:           8
        .value_kind:     by_value
      - .address_space:  global
        .offset:         96
        .size:           8
        .value_kind:     global_buffer
      - .offset:         104
        .size:           4
        .value_kind:     by_value
      - .offset:         112
        .size:           4
        .value_kind:     hidden_block_count_x
      - .offset:         116
        .size:           4
        .value_kind:     hidden_block_count_y
      - .offset:         120
        .size:           4
        .value_kind:     hidden_block_count_z
      - .offset:         124
        .size:           2
        .value_kind:     hidden_group_size_x
      - .offset:         126
        .size:           2
        .value_kind:     hidden_group_size_y
      - .offset:         128
        .size:           2
        .value_kind:     hidden_group_size_z
      - .offset:         130
        .size:           2
        .value_kind:     hidden_remainder_x
      - .offset:         132
        .size:           2
        .value_kind:     hidden_remainder_y
      - .offset:         134
        .size:           2
        .value_kind:     hidden_remainder_z
      - .offset:         152
        .size:           8
        .value_kind:     hidden_global_offset_x
      - .offset:         160
        .size:           8
        .value_kind:     hidden_global_offset_y
      - .offset:         168
        .size:           8
        .value_kind:     hidden_global_offset_z
      - .offset:         176
        .size:           2
        .value_kind:     hidden_grid_dims
    .group_segment_fixed_size: 4800
    .kernarg_segment_align: 8
    .kernarg_segment_size: 368
    .language:       OpenCL C
    .language_version:
      - 2
      - 0
    .max_flat_workgroup_size: 256
    .name:           _ZL26rocblas_hemvn_kernel_lowerILb0ELi64ELi4ELi33ELi32ELi16EifPKPKfPfEviT6_lT7_lT5_lS6_lS7_lS5_lT8_i
    .private_segment_fixed_size: 0
    .sgpr_count:     48
    .sgpr_spill_count: 0
    .symbol:         _ZL26rocblas_hemvn_kernel_lowerILb0ELi64ELi4ELi33ELi32ELi16EifPKPKfPfEviT6_lT7_lT5_lS6_lS7_lS5_lT8_i.kd
    .uniform_work_group_size: 1
    .uses_dynamic_stack: false
    .vgpr_count:     66
    .vgpr_spill_count: 0
    .wavefront_size: 32
    .workgroup_processor_mode: 1
  - .args:
      - .offset:         0
        .size:           4
        .value_kind:     by_value
      - .offset:         4
        .size:           4
        .value_kind:     by_value
      - .offset:         8
        .size:           8
        .value_kind:     by_value
      - .offset:         16
        .size:           4
        .value_kind:     by_value
      - .offset:         24
        .size:           8
        .value_kind:     by_value
      - .actual_access:  read_only
        .address_space:  global
        .offset:         32
        .size:           8
        .value_kind:     global_buffer
      - .offset:         40
        .size:           8
        .value_kind:     by_value
      - .offset:         48
        .size:           4
        .value_kind:     by_value
      - .offset:         56
        .size:           8
        .value_kind:     by_value
      - .actual_access:  read_only
        .address_space:  global
        .offset:         64
        .size:           8
        .value_kind:     global_buffer
      - .offset:         72
        .size:           4
        .value_kind:     by_value
      - .offset:         80
        .size:           4
        .value_kind:     hidden_block_count_x
      - .offset:         84
        .size:           4
        .value_kind:     hidden_block_count_y
      - .offset:         88
        .size:           4
        .value_kind:     hidden_block_count_z
      - .offset:         92
        .size:           2
        .value_kind:     hidden_group_size_x
      - .offset:         94
        .size:           2
        .value_kind:     hidden_group_size_y
      - .offset:         96
        .size:           2
        .value_kind:     hidden_group_size_z
      - .offset:         98
        .size:           2
        .value_kind:     hidden_remainder_x
      - .offset:         100
        .size:           2
        .value_kind:     hidden_remainder_y
      - .offset:         102
        .size:           2
        .value_kind:     hidden_remainder_z
      - .offset:         120
        .size:           8
        .value_kind:     hidden_global_offset_x
      - .offset:         128
        .size:           8
        .value_kind:     hidden_global_offset_y
      - .offset:         136
        .size:           8
        .value_kind:     hidden_global_offset_z
      - .offset:         144
        .size:           2
        .value_kind:     hidden_grid_dims
    .group_segment_fixed_size: 0
    .kernarg_segment_align: 8
    .kernarg_segment_size: 336
    .language:       OpenCL C
    .language_version:
      - 2
      - 0
    .max_flat_workgroup_size: 64
    .name:           _ZL36rocblas_hemvn_kernel_lower_block_sumILi64EifPKPffEviT1_lS3_lT2_lT0_lPT3_i
    .private_segment_fixed_size: 0
    .sgpr_count:     22
    .sgpr_spill_count: 0
    .symbol:         _ZL36rocblas_hemvn_kernel_lower_block_sumILi64EifPKPffEviT1_lS3_lT2_lT0_lPT3_i.kd
    .uniform_work_group_size: 1
    .uses_dynamic_stack: false
    .vgpr_count:     7
    .vgpr_spill_count: 0
    .wavefront_size: 32
    .workgroup_processor_mode: 1
  - .args:
      - .offset:         0
        .size:           1
        .value_kind:     by_value
      - .offset:         4
        .size:           4
        .value_kind:     by_value
      - .offset:         8
        .size:           8
        .value_kind:     by_value
      - .offset:         16
        .size:           8
        .value_kind:     by_value
      - .address_space:  global
        .offset:         24
        .size:           8
        .value_kind:     global_buffer
      - .offset:         32
        .size:           8
        .value_kind:     by_value
      - .offset:         40
        .size:           8
        .value_kind:     by_value
      - .offset:         48
        .size:           8
        .value_kind:     by_value
      - .address_space:  global
        .offset:         56
        .size:           8
        .value_kind:     global_buffer
      - .offset:         64
        .size:           8
        .value_kind:     by_value
      - .offset:         72
        .size:           8
        .value_kind:     by_value
      - .offset:         80
        .size:           8
        .value_kind:     by_value
      - .offset:         88
        .size:           8
        .value_kind:     by_value
      - .offset:         96
        .size:           8
        .value_kind:     by_value
      - .actual_access:  read_only
        .address_space:  global
        .offset:         104
        .size:           8
        .value_kind:     global_buffer
      - .offset:         112
        .size:           8
        .value_kind:     by_value
      - .offset:         120
        .size:           8
        .value_kind:     by_value
      - .offset:         128
        .size:           8
        .value_kind:     by_value
      - .offset:         136
        .size:           4
        .value_kind:     by_value
    .group_segment_fixed_size: 10496
    .kernarg_segment_align: 8
    .kernarg_segment_size: 140
    .language:       OpenCL C
    .language_version:
      - 2
      - 0
    .max_flat_workgroup_size: 128
    .name:           _ZL50rocblas_symv_kernel_upper_double_buffered_diagonalILi32ELi4E24rocblas_internal_val_ptrIdEPKPKdPKPdEvbiT1_lT2_lllSA_lllS9_lT3_llli
    .private_segment_fixed_size: 0
    .sgpr_count:     24
    .sgpr_spill_count: 0
    .symbol:         _ZL50rocblas_symv_kernel_upper_double_buffered_diagonalILi32ELi4E24rocblas_internal_val_ptrIdEPKPKdPKPdEvbiT1_lT2_lllSA_lllS9_lT3_llli.kd
    .uniform_work_group_size: 1
    .uses_dynamic_stack: false
    .vgpr_count:     29
    .vgpr_spill_count: 0
    .wavefront_size: 32
    .workgroup_processor_mode: 1
  - .args:
      - .offset:         0
        .size:           1
        .value_kind:     by_value
      - .offset:         4
        .size:           4
        .value_kind:     by_value
      - .offset:         8
        .size:           8
        .value_kind:     by_value
      - .offset:         16
        .size:           8
        .value_kind:     by_value
      - .address_space:  global
        .offset:         24
        .size:           8
        .value_kind:     global_buffer
      - .offset:         32
        .size:           8
        .value_kind:     by_value
      - .offset:         40
        .size:           8
        .value_kind:     by_value
      - .offset:         48
        .size:           8
        .value_kind:     by_value
      - .address_space:  global
        .offset:         56
        .size:           8
        .value_kind:     global_buffer
      - .offset:         64
        .size:           8
        .value_kind:     by_value
      - .offset:         72
        .size:           8
        .value_kind:     by_value
      - .offset:         80
        .size:           8
        .value_kind:     by_value
      - .actual_access:  read_only
        .address_space:  global
        .offset:         88
        .size:           8
        .value_kind:     global_buffer
      - .offset:         96
        .size:           8
        .value_kind:     by_value
      - .offset:         104
        .size:           8
        .value_kind:     by_value
      - .offset:         112
        .size:           8
        .value_kind:     by_value
      - .offset:         120
        .size:           4
        .value_kind:     by_value
      - .offset:         128
        .size:           4
        .value_kind:     hidden_block_count_x
      - .offset:         132
        .size:           4
        .value_kind:     hidden_block_count_y
      - .offset:         136
        .size:           4
        .value_kind:     hidden_block_count_z
      - .offset:         140
        .size:           2
        .value_kind:     hidden_group_size_x
      - .offset:         142
        .size:           2
        .value_kind:     hidden_group_size_y
      - .offset:         144
        .size:           2
        .value_kind:     hidden_group_size_z
      - .offset:         146
        .size:           2
        .value_kind:     hidden_remainder_x
      - .offset:         148
        .size:           2
        .value_kind:     hidden_remainder_y
      - .offset:         150
        .size:           2
        .value_kind:     hidden_remainder_z
      - .offset:         168
        .size:           8
        .value_kind:     hidden_global_offset_x
      - .offset:         176
        .size:           8
        .value_kind:     hidden_global_offset_y
      - .offset:         184
        .size:           8
        .value_kind:     hidden_global_offset_z
      - .offset:         192
        .size:           2
        .value_kind:     hidden_grid_dims
    .group_segment_fixed_size: 6400
    .kernarg_segment_align: 8
    .kernarg_segment_size: 384
    .language:       OpenCL C
    .language_version:
      - 2
      - 0
    .max_flat_workgroup_size: 128
    .name:           _ZL54rocblas_symv_kernel_upper_double_buffered_non_diagonalILi32ELi4ELi4E24rocblas_internal_val_ptrIdEPKPKdPKPdEvbiT2_lT3_lllSA_lllT4_llli
    .private_segment_fixed_size: 0
    .sgpr_count:     30
    .sgpr_spill_count: 0
    .symbol:         _ZL54rocblas_symv_kernel_upper_double_buffered_non_diagonalILi32ELi4ELi4E24rocblas_internal_val_ptrIdEPKPKdPKPdEvbiT2_lT3_lllSA_lllT4_llli.kd
    .uniform_work_group_size: 1
    .uses_dynamic_stack: false
    .vgpr_count:     72
    .vgpr_spill_count: 0
    .wavefront_size: 32
    .workgroup_processor_mode: 1
  - .args:
      - .offset:         0
        .size:           1
        .value_kind:     by_value
      - .offset:         4
        .size:           4
        .value_kind:     by_value
      - .offset:         8
        .size:           8
        .value_kind:     by_value
      - .offset:         16
        .size:           8
        .value_kind:     by_value
      - .address_space:  global
        .offset:         24
        .size:           8
        .value_kind:     global_buffer
      - .offset:         32
        .size:           8
        .value_kind:     by_value
      - .offset:         40
        .size:           8
        .value_kind:     by_value
      - .offset:         48
        .size:           8
        .value_kind:     by_value
      - .address_space:  global
        .offset:         56
        .size:           8
        .value_kind:     global_buffer
      - .offset:         64
        .size:           8
        .value_kind:     by_value
      - .offset:         72
        .size:           8
        .value_kind:     by_value
      - .offset:         80
        .size:           8
        .value_kind:     by_value
      - .offset:         88
        .size:           8
        .value_kind:     by_value
      - .offset:         96
        .size:           8
        .value_kind:     by_value
      - .actual_access:  read_only
        .address_space:  global
        .offset:         104
        .size:           8
        .value_kind:     global_buffer
      - .offset:         112
        .size:           8
        .value_kind:     by_value
      - .offset:         120
        .size:           8
        .value_kind:     by_value
      - .offset:         128
        .size:           8
        .value_kind:     by_value
      - .offset:         136
        .size:           4
        .value_kind:     by_value
      - .offset:         140
        .size:           4
        .value_kind:     by_value
      - .offset:         144
        .size:           4
        .value_kind:     hidden_block_count_x
      - .offset:         148
        .size:           4
        .value_kind:     hidden_block_count_y
      - .offset:         152
        .size:           4
        .value_kind:     hidden_block_count_z
      - .offset:         156
        .size:           2
        .value_kind:     hidden_group_size_x
      - .offset:         158
        .size:           2
        .value_kind:     hidden_group_size_y
      - .offset:         160
        .size:           2
        .value_kind:     hidden_group_size_z
      - .offset:         162
        .size:           2
        .value_kind:     hidden_remainder_x
      - .offset:         164
        .size:           2
        .value_kind:     hidden_remainder_y
      - .offset:         166
        .size:           2
        .value_kind:     hidden_remainder_z
      - .offset:         184
        .size:           8
        .value_kind:     hidden_global_offset_x
      - .offset:         192
        .size:           8
        .value_kind:     hidden_global_offset_y
      - .offset:         200
        .size:           8
        .value_kind:     hidden_global_offset_z
      - .offset:         208
        .size:           2
        .value_kind:     hidden_grid_dims
    .group_segment_fixed_size: 12544
    .kernarg_segment_align: 8
    .kernarg_segment_size: 400
    .language:       OpenCL C
    .language_version:
      - 2
      - 0
    .max_flat_workgroup_size: 256
    .name:           _ZL58rocblas_symv_kernel_upper_double_buffered_diagonal_genericILi32ELi8E24rocblas_internal_val_ptrIdEPKPKdPKPdEvbiT1_lT2_lllSA_lllS9_lT3_lllii
    .private_segment_fixed_size: 0
    .sgpr_count:     24
    .sgpr_spill_count: 0
    .symbol:         _ZL58rocblas_symv_kernel_upper_double_buffered_diagonal_genericILi32ELi8E24rocblas_internal_val_ptrIdEPKPKdPKPdEvbiT1_lT2_lllSA_lllS9_lT3_lllii.kd
    .uniform_work_group_size: 1
    .uses_dynamic_stack: false
    .vgpr_count:     31
    .vgpr_spill_count: 0
    .wavefront_size: 32
    .workgroup_processor_mode: 1
  - .args:
      - .offset:         0
        .size:           1
        .value_kind:     by_value
      - .offset:         4
        .size:           4
        .value_kind:     by_value
      - .offset:         8
        .size:           8
        .value_kind:     by_value
      - .offset:         16
        .size:           8
        .value_kind:     by_value
      - .address_space:  global
        .offset:         24
        .size:           8
        .value_kind:     global_buffer
      - .offset:         32
        .size:           8
        .value_kind:     by_value
      - .offset:         40
        .size:           8
        .value_kind:     by_value
      - .offset:         48
        .size:           8
        .value_kind:     by_value
      - .address_space:  global
        .offset:         56
        .size:           8
        .value_kind:     global_buffer
      - .offset:         64
        .size:           8
        .value_kind:     by_value
      - .offset:         72
        .size:           8
        .value_kind:     by_value
      - .offset:         80
        .size:           8
        .value_kind:     by_value
      - .actual_access:  read_only
        .address_space:  global
        .offset:         88
        .size:           8
        .value_kind:     global_buffer
      - .offset:         96
        .size:           8
        .value_kind:     by_value
      - .offset:         104
        .size:           8
        .value_kind:     by_value
      - .offset:         112
        .size:           8
        .value_kind:     by_value
      - .offset:         120
        .size:           4
        .value_kind:     by_value
      - .offset:         124
        .size:           4
        .value_kind:     by_value
      - .offset:         128
        .size:           4
        .value_kind:     hidden_block_count_x
      - .offset:         132
        .size:           4
        .value_kind:     hidden_block_count_y
      - .offset:         136
        .size:           4
        .value_kind:     hidden_block_count_z
      - .offset:         140
        .size:           2
        .value_kind:     hidden_group_size_x
      - .offset:         142
        .size:           2
        .value_kind:     hidden_group_size_y
      - .offset:         144
        .size:           2
        .value_kind:     hidden_group_size_z
      - .offset:         146
        .size:           2
        .value_kind:     hidden_remainder_x
      - .offset:         148
        .size:           2
        .value_kind:     hidden_remainder_y
      - .offset:         150
        .size:           2
        .value_kind:     hidden_remainder_z
      - .offset:         168
        .size:           8
        .value_kind:     hidden_global_offset_x
      - .offset:         176
        .size:           8
        .value_kind:     hidden_global_offset_y
      - .offset:         184
        .size:           8
        .value_kind:     hidden_global_offset_z
      - .offset:         192
        .size:           2
        .value_kind:     hidden_grid_dims
    .group_segment_fixed_size: 8448
    .kernarg_segment_align: 8
    .kernarg_segment_size: 384
    .language:       OpenCL C
    .language_version:
      - 2
      - 0
    .max_flat_workgroup_size: 256
    .name:           _ZL62rocblas_symv_kernel_upper_double_buffered_non_diagonal_genericILi32ELi8ELi2ELi0E24rocblas_internal_val_ptrIdEPKPKdPKPdEvbiT3_lT4_lllSA_lllT5_lllii
    .private_segment_fixed_size: 0
    .sgpr_count:     30
    .sgpr_spill_count: 0
    .symbol:         _ZL62rocblas_symv_kernel_upper_double_buffered_non_diagonal_genericILi32ELi8ELi2ELi0E24rocblas_internal_val_ptrIdEPKPKdPKPdEvbiT3_lT4_lllSA_lllT5_lllii.kd
    .uniform_work_group_size: 1
    .uses_dynamic_stack: false
    .vgpr_count:     56
    .vgpr_spill_count: 0
    .wavefront_size: 32
    .workgroup_processor_mode: 1
  - .args:
      - .offset:         0
        .size:           1
        .value_kind:     by_value
      - .offset:         4
        .size:           4
        .value_kind:     by_value
      - .offset:         8
        .size:           8
        .value_kind:     by_value
      - .offset:         16
        .size:           8
        .value_kind:     by_value
      - .address_space:  global
        .offset:         24
        .size:           8
        .value_kind:     global_buffer
      - .offset:         32
        .size:           8
        .value_kind:     by_value
      - .offset:         40
        .size:           8
        .value_kind:     by_value
      - .offset:         48
        .size:           8
        .value_kind:     by_value
      - .address_space:  global
        .offset:         56
        .size:           8
        .value_kind:     global_buffer
      - .offset:         64
        .size:           8
        .value_kind:     by_value
      - .offset:         72
        .size:           8
        .value_kind:     by_value
      - .offset:         80
        .size:           8
        .value_kind:     by_value
      - .actual_access:  read_only
        .address_space:  global
        .offset:         88
        .size:           8
        .value_kind:     global_buffer
      - .offset:         96
        .size:           8
        .value_kind:     by_value
      - .offset:         104
        .size:           8
        .value_kind:     by_value
      - .offset:         112
        .size:           8
        .value_kind:     by_value
      - .offset:         120
        .size:           4
        .value_kind:     by_value
      - .offset:         124
        .size:           4
        .value_kind:     by_value
      - .offset:         128
        .size:           4
        .value_kind:     hidden_block_count_x
      - .offset:         132
        .size:           4
        .value_kind:     hidden_block_count_y
      - .offset:         136
        .size:           4
        .value_kind:     hidden_block_count_z
      - .offset:         140
        .size:           2
        .value_kind:     hidden_group_size_x
      - .offset:         142
        .size:           2
        .value_kind:     hidden_group_size_y
      - .offset:         144
        .size:           2
        .value_kind:     hidden_group_size_z
      - .offset:         146
        .size:           2
        .value_kind:     hidden_remainder_x
      - .offset:         148
        .size:           2
        .value_kind:     hidden_remainder_y
      - .offset:         150
        .size:           2
        .value_kind:     hidden_remainder_z
      - .offset:         168
        .size:           8
        .value_kind:     hidden_global_offset_x
      - .offset:         176
        .size:           8
        .value_kind:     hidden_global_offset_y
      - .offset:         184
        .size:           8
        .value_kind:     hidden_global_offset_z
      - .offset:         192
        .size:           2
        .value_kind:     hidden_grid_dims
    .group_segment_fixed_size: 8448
    .kernarg_segment_align: 8
    .kernarg_segment_size: 384
    .language:       OpenCL C
    .language_version:
      - 2
      - 0
    .max_flat_workgroup_size: 256
    .name:           _ZL62rocblas_symv_kernel_upper_double_buffered_non_diagonal_genericILi32ELi8ELi2ELi1E24rocblas_internal_val_ptrIdEPKPKdPKPdEvbiT3_lT4_lllSA_lllT5_lllii
    .private_segment_fixed_size: 0
    .sgpr_count:     30
    .sgpr_spill_count: 0
    .symbol:         _ZL62rocblas_symv_kernel_upper_double_buffered_non_diagonal_genericILi32ELi8ELi2ELi1E24rocblas_internal_val_ptrIdEPKPKdPKPdEvbiT3_lT4_lllSA_lllT5_lllii.kd
    .uniform_work_group_size: 1
    .uses_dynamic_stack: false
    .vgpr_count:     55
    .vgpr_spill_count: 0
    .wavefront_size: 32
    .workgroup_processor_mode: 1
  - .args:
      - .offset:         0
        .size:           4
        .value_kind:     by_value
      - .address_space:  global
        .offset:         8
        .size:           8
        .value_kind:     global_buffer
      - .offset:         16
        .size:           8
        .value_kind:     by_value
      - .address_space:  global
        .offset:         24
        .size:           8
        .value_kind:     global_buffer
      - .offset:         32
        .size:           8
        .value_kind:     by_value
      - .offset:         40
        .size:           8
        .value_kind:     by_value
      - .offset:         48
        .size:           8
        .value_kind:     by_value
      - .address_space:  global
        .offset:         56
        .size:           8
        .value_kind:     global_buffer
      - .offset:         64
        .size:           8
        .value_kind:     by_value
      - .offset:         72
        .size:           8
        .value_kind:     by_value
      - .offset:         80
        .size:           8
        .value_kind:     by_value
      - .address_space:  global
        .offset:         88
        .size:           8
        .value_kind:     global_buffer
      - .offset:         96
        .size:           8
        .value_kind:     by_value
      - .address_space:  global
        .offset:         104
        .size:           8
        .value_kind:     global_buffer
      - .offset:         112
        .size:           4
        .value_kind:     by_value
      - .offset:         120
        .size:           4
        .value_kind:     hidden_block_count_x
      - .offset:         124
        .size:           4
        .value_kind:     hidden_block_count_y
      - .offset:         128
        .size:           4
        .value_kind:     hidden_block_count_z
      - .offset:         132
        .size:           2
        .value_kind:     hidden_group_size_x
      - .offset:         134
        .size:           2
        .value_kind:     hidden_group_size_y
      - .offset:         136
        .size:           2
        .value_kind:     hidden_group_size_z
      - .offset:         138
        .size:           2
        .value_kind:     hidden_remainder_x
      - .offset:         140
        .size:           2
        .value_kind:     hidden_remainder_y
      - .offset:         142
        .size:           2
        .value_kind:     hidden_remainder_z
      - .offset:         160
        .size:           8
        .value_kind:     hidden_global_offset_x
      - .offset:         168
        .size:           8
        .value_kind:     hidden_global_offset_y
      - .offset:         176
        .size:           8
        .value_kind:     hidden_global_offset_z
      - .offset:         184
        .size:           2
        .value_kind:     hidden_grid_dims
    .group_segment_fixed_size: 9600
    .kernarg_segment_align: 8
    .kernarg_segment_size: 376
    .language:       OpenCL C
    .language_version:
      - 2
      - 0
    .max_flat_workgroup_size: 256
    .name:           _ZL26rocblas_hemvn_kernel_upperILb0ELi64ELi4ELi33ELi32ELi16ElPKdPKS1_PdEviT6_lT7_lT5_lS6_lS7_lS5_lT8_i
    .private_segment_fixed_size: 0
    .sgpr_count:     32
    .sgpr_spill_count: 0
    .symbol:         _ZL26rocblas_hemvn_kernel_upperILb0ELi64ELi4ELi33ELi32ELi16ElPKdPKS1_PdEviT6_lT7_lT5_lS6_lS7_lS5_lT8_i.kd
    .uniform_work_group_size: 1
    .uses_dynamic_stack: false
    .vgpr_count:     162
    .vgpr_spill_count: 0
    .wavefront_size: 32
    .workgroup_processor_mode: 1
  - .args:
      - .offset:         0
        .size:           4
        .value_kind:     by_value
      - .address_space:  global
        .offset:         8
        .size:           8
        .value_kind:     global_buffer
      - .offset:         16
        .size:           8
        .value_kind:     by_value
      - .address_space:  global
        .offset:         24
        .size:           8
        .value_kind:     global_buffer
      - .offset:         32
        .size:           8
        .value_kind:     by_value
      - .actual_access:  read_only
        .address_space:  global
        .offset:         40
        .size:           8
        .value_kind:     global_buffer
      - .offset:         48
        .size:           8
        .value_kind:     by_value
      - .offset:         56
        .size:           8
        .value_kind:     by_value
      - .offset:         64
        .size:           8
        .value_kind:     by_value
      - .address_space:  global
        .offset:         72
        .size:           8
        .value_kind:     global_buffer
      - .offset:         80
        .size:           4
        .value_kind:     by_value
      - .offset:         88
        .size:           4
        .value_kind:     hidden_block_count_x
      - .offset:         92
        .size:           4
        .value_kind:     hidden_block_count_y
      - .offset:         96
        .size:           4
        .value_kind:     hidden_block_count_z
      - .offset:         100
        .size:           2
        .value_kind:     hidden_group_size_x
      - .offset:         102
        .size:           2
        .value_kind:     hidden_group_size_y
      - .offset:         104
        .size:           2
        .value_kind:     hidden_group_size_z
      - .offset:         106
        .size:           2
        .value_kind:     hidden_remainder_x
      - .offset:         108
        .size:           2
        .value_kind:     hidden_remainder_y
      - .offset:         110
        .size:           2
        .value_kind:     hidden_remainder_z
      - .offset:         128
        .size:           8
        .value_kind:     hidden_global_offset_x
      - .offset:         136
        .size:           8
        .value_kind:     hidden_global_offset_y
      - .offset:         144
        .size:           8
        .value_kind:     hidden_global_offset_z
      - .offset:         152
        .size:           2
        .value_kind:     hidden_grid_dims
    .group_segment_fixed_size: 0
    .kernarg_segment_align: 8
    .kernarg_segment_size: 344
    .language:       OpenCL C
    .language_version:
      - 2
      - 0
    .max_flat_workgroup_size: 64
    .name:           _ZL36rocblas_hemvn_kernel_upper_block_sumILi64ElPKdPKPddEviT1_lS5_lT2_lT0_lPT3_i
    .private_segment_fixed_size: 0
    .sgpr_count:     26
    .sgpr_spill_count: 0
    .symbol:         _ZL36rocblas_hemvn_kernel_upper_block_sumILi64ElPKdPKPddEviT1_lS5_lT2_lT0_lPT3_i.kd
    .uniform_work_group_size: 1
    .uses_dynamic_stack: false
    .vgpr_count:     9
    .vgpr_spill_count: 0
    .wavefront_size: 32
    .workgroup_processor_mode: 1
  - .args:
      - .offset:         0
        .size:           4
        .value_kind:     by_value
      - .address_space:  global
        .offset:         8
        .size:           8
        .value_kind:     global_buffer
      - .offset:         16
        .size:           8
        .value_kind:     by_value
      - .address_space:  global
        .offset:         24
        .size:           8
        .value_kind:     global_buffer
      - .offset:         32
        .size:           8
        .value_kind:     by_value
      - .offset:         40
        .size:           4
        .value_kind:     by_value
      - .offset:         48
        .size:           8
        .value_kind:     by_value
      - .address_space:  global
        .offset:         56
        .size:           8
        .value_kind:     global_buffer
      - .offset:         64
        .size:           8
        .value_kind:     by_value
      - .offset:         72
        .size:           4
        .value_kind:     by_value
      - .offset:         80
        .size:           8
        .value_kind:     by_value
      - .address_space:  global
        .offset:         88
        .size:           8
        .value_kind:     global_buffer
      - .offset:         96
        .size:           8
        .value_kind:     by_value
      - .address_space:  global
        .offset:         104
        .size:           8
        .value_kind:     global_buffer
      - .offset:         112
        .size:           4
        .value_kind:     by_value
      - .offset:         120
        .size:           4
        .value_kind:     hidden_block_count_x
      - .offset:         124
        .size:           4
        .value_kind:     hidden_block_count_y
      - .offset:         128
        .size:           4
        .value_kind:     hidden_block_count_z
      - .offset:         132
        .size:           2
        .value_kind:     hidden_group_size_x
      - .offset:         134
        .size:           2
        .value_kind:     hidden_group_size_y
      - .offset:         136
        .size:           2
        .value_kind:     hidden_group_size_z
      - .offset:         138
        .size:           2
        .value_kind:     hidden_remainder_x
      - .offset:         140
        .size:           2
        .value_kind:     hidden_remainder_y
      - .offset:         142
        .size:           2
        .value_kind:     hidden_remainder_z
      - .offset:         160
        .size:           8
        .value_kind:     hidden_global_offset_x
      - .offset:         168
        .size:           8
        .value_kind:     hidden_global_offset_y
      - .offset:         176
        .size:           8
        .value_kind:     hidden_global_offset_z
      - .offset:         184
        .size:           2
        .value_kind:     hidden_grid_dims
    .group_segment_fixed_size: 9600
    .kernarg_segment_align: 8
    .kernarg_segment_size: 376
    .language:       OpenCL C
    .language_version:
      - 2
      - 0
    .max_flat_workgroup_size: 256
    .name:           _ZL26rocblas_hemvn_kernel_upperILb0ELi64ELi4ELi33ELi32ELi16EiPKdPKS1_PdEviT6_lT7_lT5_lS6_lS7_lS5_lT8_i
    .private_segment_fixed_size: 0
    .sgpr_count:     47
    .sgpr_spill_count: 0
    .symbol:         _ZL26rocblas_hemvn_kernel_upperILb0ELi64ELi4ELi33ELi32ELi16EiPKdPKS1_PdEviT6_lT7_lT5_lS6_lS7_lS5_lT8_i.kd
    .uniform_work_group_size: 1
    .uses_dynamic_stack: false
    .vgpr_count:     182
    .vgpr_spill_count: 0
    .wavefront_size: 32
    .workgroup_processor_mode: 1
  - .args:
      - .offset:         0
        .size:           4
        .value_kind:     by_value
      - .address_space:  global
        .offset:         8
        .size:           8
        .value_kind:     global_buffer
      - .offset:         16
        .size:           8
        .value_kind:     by_value
      - .address_space:  global
        .offset:         24
        .size:           8
        .value_kind:     global_buffer
      - .offset:         32
        .size:           8
        .value_kind:     by_value
      - .actual_access:  read_only
        .address_space:  global
        .offset:         40
        .size:           8
        .value_kind:     global_buffer
      - .offset:         48
        .size:           8
        .value_kind:     by_value
      - .offset:         56
        .size:           4
        .value_kind:     by_value
      - .offset:         64
        .size:           8
        .value_kind:     by_value
      - .address_space:  global
        .offset:         72
        .size:           8
        .value_kind:     global_buffer
      - .offset:         80
        .size:           4
        .value_kind:     by_value
      - .offset:         88
        .size:           4
        .value_kind:     hidden_block_count_x
      - .offset:         92
        .size:           4
        .value_kind:     hidden_block_count_y
      - .offset:         96
        .size:           4
        .value_kind:     hidden_block_count_z
      - .offset:         100
        .size:           2
        .value_kind:     hidden_group_size_x
      - .offset:         102
        .size:           2
        .value_kind:     hidden_group_size_y
      - .offset:         104
        .size:           2
        .value_kind:     hidden_group_size_z
      - .offset:         106
        .size:           2
        .value_kind:     hidden_remainder_x
      - .offset:         108
        .size:           2
        .value_kind:     hidden_remainder_y
      - .offset:         110
        .size:           2
        .value_kind:     hidden_remainder_z
      - .offset:         128
        .size:           8
        .value_kind:     hidden_global_offset_x
      - .offset:         136
        .size:           8
        .value_kind:     hidden_global_offset_y
      - .offset:         144
        .size:           8
        .value_kind:     hidden_global_offset_z
      - .offset:         152
        .size:           2
        .value_kind:     hidden_grid_dims
    .group_segment_fixed_size: 0
    .kernarg_segment_align: 8
    .kernarg_segment_size: 344
    .language:       OpenCL C
    .language_version:
      - 2
      - 0
    .max_flat_workgroup_size: 64
    .name:           _ZL36rocblas_hemvn_kernel_upper_block_sumILi64EiPKdPKPddEviT1_lS5_lT2_lT0_lPT3_i
    .private_segment_fixed_size: 0
    .sgpr_count:     26
    .sgpr_spill_count: 0
    .symbol:         _ZL36rocblas_hemvn_kernel_upper_block_sumILi64EiPKdPKPddEviT1_lS5_lT2_lT0_lPT3_i.kd
    .uniform_work_group_size: 1
    .uses_dynamic_stack: false
    .vgpr_count:     7
    .vgpr_spill_count: 0
    .wavefront_size: 32
    .workgroup_processor_mode: 1
  - .args:
      - .offset:         0
        .size:           4
        .value_kind:     by_value
      - .offset:         8
        .size:           8
        .value_kind:     by_value
      - .offset:         16
        .size:           8
        .value_kind:     by_value
      - .address_space:  global
        .offset:         24
        .size:           8
        .value_kind:     global_buffer
      - .offset:         32
        .size:           8
        .value_kind:     by_value
      - .offset:         40
        .size:           8
        .value_kind:     by_value
      - .offset:         48
        .size:           8
        .value_kind:     by_value
      - .address_space:  global
        .offset:         56
        .size:           8
        .value_kind:     global_buffer
      - .offset:         64
        .size:           8
        .value_kind:     by_value
      - .offset:         72
        .size:           8
        .value_kind:     by_value
      - .offset:         80
        .size:           8
        .value_kind:     by_value
      - .offset:         88
        .size:           8
        .value_kind:     by_value
      - .offset:         96
        .size:           8
        .value_kind:     by_value
      - .address_space:  global
        .offset:         104
        .size:           8
        .value_kind:     global_buffer
      - .offset:         112
        .size:           4
        .value_kind:     by_value
      - .offset:         120
        .size:           4
        .value_kind:     hidden_block_count_x
      - .offset:         124
        .size:           4
        .value_kind:     hidden_block_count_y
      - .offset:         128
        .size:           4
        .value_kind:     hidden_block_count_z
      - .offset:         132
        .size:           2
        .value_kind:     hidden_group_size_x
      - .offset:         134
        .size:           2
        .value_kind:     hidden_group_size_y
      - .offset:         136
        .size:           2
        .value_kind:     hidden_group_size_z
      - .offset:         138
        .size:           2
        .value_kind:     hidden_remainder_x
      - .offset:         140
        .size:           2
        .value_kind:     hidden_remainder_y
      - .offset:         142
        .size:           2
        .value_kind:     hidden_remainder_z
      - .offset:         160
        .size:           8
        .value_kind:     hidden_global_offset_x
      - .offset:         168
        .size:           8
        .value_kind:     hidden_global_offset_y
      - .offset:         176
        .size:           8
        .value_kind:     hidden_global_offset_z
      - .offset:         184
        .size:           2
        .value_kind:     hidden_grid_dims
    .group_segment_fixed_size: 9600
    .kernarg_segment_align: 8
    .kernarg_segment_size: 376
    .language:       OpenCL C
    .language_version:
      - 2
      - 0
    .max_flat_workgroup_size: 256
    .name:           _ZL26rocblas_hemvn_kernel_upperILb0ELi64ELi4ELi33ELi32ELi16EldPKPKdPdEviT6_lT7_lT5_lS6_lS7_lS5_lT8_i
    .private_segment_fixed_size: 0
    .sgpr_count:     32
    .sgpr_spill_count: 0
    .symbol:         _ZL26rocblas_hemvn_kernel_upperILb0ELi64ELi4ELi33ELi32ELi16EldPKPKdPdEviT6_lT7_lT5_lS6_lS7_lS5_lT8_i.kd
    .uniform_work_group_size: 1
    .uses_dynamic_stack: false
    .vgpr_count:     162
    .vgpr_spill_count: 0
    .wavefront_size: 32
    .workgroup_processor_mode: 1
  - .args:
      - .offset:         0
        .size:           4
        .value_kind:     by_value
      - .offset:         8
        .size:           8
        .value_kind:     by_value
      - .offset:         16
        .size:           8
        .value_kind:     by_value
      - .offset:         24
        .size:           8
        .value_kind:     by_value
      - .offset:         32
        .size:           8
        .value_kind:     by_value
      - .actual_access:  read_only
        .address_space:  global
        .offset:         40
        .size:           8
        .value_kind:     global_buffer
      - .offset:         48
        .size:           8
        .value_kind:     by_value
      - .offset:         56
        .size:           8
        .value_kind:     by_value
      - .offset:         64
        .size:           8
        .value_kind:     by_value
      - .address_space:  global
        .offset:         72
        .size:           8
        .value_kind:     global_buffer
      - .offset:         80
        .size:           4
        .value_kind:     by_value
      - .offset:         88
        .size:           4
        .value_kind:     hidden_block_count_x
      - .offset:         92
        .size:           4
        .value_kind:     hidden_block_count_y
      - .offset:         96
        .size:           4
        .value_kind:     hidden_block_count_z
      - .offset:         100
        .size:           2
        .value_kind:     hidden_group_size_x
      - .offset:         102
        .size:           2
        .value_kind:     hidden_group_size_y
      - .offset:         104
        .size:           2
        .value_kind:     hidden_group_size_z
      - .offset:         106
        .size:           2
        .value_kind:     hidden_remainder_x
      - .offset:         108
        .size:           2
        .value_kind:     hidden_remainder_y
      - .offset:         110
        .size:           2
        .value_kind:     hidden_remainder_z
      - .offset:         128
        .size:           8
        .value_kind:     hidden_global_offset_x
      - .offset:         136
        .size:           8
        .value_kind:     hidden_global_offset_y
      - .offset:         144
        .size:           8
        .value_kind:     hidden_global_offset_z
      - .offset:         152
        .size:           2
        .value_kind:     hidden_grid_dims
    .group_segment_fixed_size: 0
    .kernarg_segment_align: 8
    .kernarg_segment_size: 344
    .language:       OpenCL C
    .language_version:
      - 2
      - 0
    .max_flat_workgroup_size: 64
    .name:           _ZL36rocblas_hemvn_kernel_upper_block_sumILi64EldPKPddEviT1_lS3_lT2_lT0_lPT3_i
    .private_segment_fixed_size: 0
    .sgpr_count:     22
    .sgpr_spill_count: 0
    .symbol:         _ZL36rocblas_hemvn_kernel_upper_block_sumILi64EldPKPddEviT1_lS3_lT2_lT0_lPT3_i.kd
    .uniform_work_group_size: 1
    .uses_dynamic_stack: false
    .vgpr_count:     9
    .vgpr_spill_count: 0
    .wavefront_size: 32
    .workgroup_processor_mode: 1
  - .args:
      - .offset:         0
        .size:           4
        .value_kind:     by_value
      - .offset:         8
        .size:           8
        .value_kind:     by_value
      - .offset:         16
        .size:           8
        .value_kind:     by_value
      - .address_space:  global
        .offset:         24
        .size:           8
        .value_kind:     global_buffer
      - .offset:         32
        .size:           8
        .value_kind:     by_value
      - .offset:         40
        .size:           4
        .value_kind:     by_value
      - .offset:         48
        .size:           8
        .value_kind:     by_value
      - .address_space:  global
        .offset:         56
        .size:           8
        .value_kind:     global_buffer
      - .offset:         64
        .size:           8
        .value_kind:     by_value
      - .offset:         72
        .size:           4
        .value_kind:     by_value
      - .offset:         80
        .size:           8
        .value_kind:     by_value
      - .offset:         88
        .size:           8
        .value_kind:     by_value
      - .offset:         96
        .size:           8
        .value_kind:     by_value
      - .address_space:  global
        .offset:         104
        .size:           8
        .value_kind:     global_buffer
      - .offset:         112
        .size:           4
        .value_kind:     by_value
      - .offset:         120
        .size:           4
        .value_kind:     hidden_block_count_x
      - .offset:         124
        .size:           4
        .value_kind:     hidden_block_count_y
      - .offset:         128
        .size:           4
        .value_kind:     hidden_block_count_z
      - .offset:         132
        .size:           2
        .value_kind:     hidden_group_size_x
      - .offset:         134
        .size:           2
        .value_kind:     hidden_group_size_y
      - .offset:         136
        .size:           2
        .value_kind:     hidden_group_size_z
      - .offset:         138
        .size:           2
        .value_kind:     hidden_remainder_x
      - .offset:         140
        .size:           2
        .value_kind:     hidden_remainder_y
      - .offset:         142
        .size:           2
        .value_kind:     hidden_remainder_z
      - .offset:         160
        .size:           8
        .value_kind:     hidden_global_offset_x
      - .offset:         168
        .size:           8
        .value_kind:     hidden_global_offset_y
      - .offset:         176
        .size:           8
        .value_kind:     hidden_global_offset_z
      - .offset:         184
        .size:           2
        .value_kind:     hidden_grid_dims
    .group_segment_fixed_size: 9600
    .kernarg_segment_align: 8
    .kernarg_segment_size: 376
    .language:       OpenCL C
    .language_version:
      - 2
      - 0
    .max_flat_workgroup_size: 256
    .name:           _ZL26rocblas_hemvn_kernel_upperILb0ELi64ELi4ELi33ELi32ELi16EidPKPKdPdEviT6_lT7_lT5_lS6_lS7_lS5_lT8_i
    .private_segment_fixed_size: 0
    .sgpr_count:     47
    .sgpr_spill_count: 0
    .symbol:         _ZL26rocblas_hemvn_kernel_upperILb0ELi64ELi4ELi33ELi32ELi16EidPKPKdPdEviT6_lT7_lT5_lS6_lS7_lS5_lT8_i.kd
    .uniform_work_group_size: 1
    .uses_dynamic_stack: false
    .vgpr_count:     182
    .vgpr_spill_count: 0
    .wavefront_size: 32
    .workgroup_processor_mode: 1
  - .args:
      - .offset:         0
        .size:           4
        .value_kind:     by_value
      - .offset:         8
        .size:           8
        .value_kind:     by_value
      - .offset:         16
        .size:           8
        .value_kind:     by_value
      - .offset:         24
        .size:           8
        .value_kind:     by_value
      - .offset:         32
        .size:           8
        .value_kind:     by_value
      - .actual_access:  read_only
        .address_space:  global
        .offset:         40
        .size:           8
        .value_kind:     global_buffer
      - .offset:         48
        .size:           8
        .value_kind:     by_value
      - .offset:         56
        .size:           4
        .value_kind:     by_value
      - .offset:         64
        .size:           8
        .value_kind:     by_value
      - .address_space:  global
        .offset:         72
        .size:           8
        .value_kind:     global_buffer
      - .offset:         80
        .size:           4
        .value_kind:     by_value
      - .offset:         88
        .size:           4
        .value_kind:     hidden_block_count_x
      - .offset:         92
        .size:           4
        .value_kind:     hidden_block_count_y
      - .offset:         96
        .size:           4
        .value_kind:     hidden_block_count_z
      - .offset:         100
        .size:           2
        .value_kind:     hidden_group_size_x
      - .offset:         102
        .size:           2
        .value_kind:     hidden_group_size_y
      - .offset:         104
        .size:           2
        .value_kind:     hidden_group_size_z
      - .offset:         106
        .size:           2
        .value_kind:     hidden_remainder_x
      - .offset:         108
        .size:           2
        .value_kind:     hidden_remainder_y
      - .offset:         110
        .size:           2
        .value_kind:     hidden_remainder_z
      - .offset:         128
        .size:           8
        .value_kind:     hidden_global_offset_x
      - .offset:         136
        .size:           8
        .value_kind:     hidden_global_offset_y
      - .offset:         144
        .size:           8
        .value_kind:     hidden_global_offset_z
      - .offset:         152
        .size:           2
        .value_kind:     hidden_grid_dims
    .group_segment_fixed_size: 0
    .kernarg_segment_align: 8
    .kernarg_segment_size: 344
    .language:       OpenCL C
    .language_version:
      - 2
      - 0
    .max_flat_workgroup_size: 64
    .name:           _ZL36rocblas_hemvn_kernel_upper_block_sumILi64EidPKPddEviT1_lS3_lT2_lT0_lPT3_i
    .private_segment_fixed_size: 0
    .sgpr_count:     22
    .sgpr_spill_count: 0
    .symbol:         _ZL36rocblas_hemvn_kernel_upper_block_sumILi64EidPKPddEviT1_lS3_lT2_lT0_lPT3_i.kd
    .uniform_work_group_size: 1
    .uses_dynamic_stack: false
    .vgpr_count:     7
    .vgpr_spill_count: 0
    .wavefront_size: 32
    .workgroup_processor_mode: 1
  - .args:
      - .offset:         0
        .size:           1
        .value_kind:     by_value
      - .offset:         4
        .size:           4
        .value_kind:     by_value
      - .offset:         8
        .size:           8
        .value_kind:     by_value
      - .offset:         16
        .size:           8
        .value_kind:     by_value
      - .address_space:  global
        .offset:         24
        .size:           8
        .value_kind:     global_buffer
      - .offset:         32
        .size:           8
        .value_kind:     by_value
      - .offset:         40
        .size:           8
        .value_kind:     by_value
      - .offset:         48
        .size:           8
        .value_kind:     by_value
      - .address_space:  global
        .offset:         56
        .size:           8
        .value_kind:     global_buffer
      - .offset:         64
        .size:           8
        .value_kind:     by_value
      - .offset:         72
        .size:           8
        .value_kind:     by_value
      - .offset:         80
        .size:           8
        .value_kind:     by_value
      - .offset:         88
        .size:           8
        .value_kind:     by_value
      - .offset:         96
        .size:           8
        .value_kind:     by_value
      - .actual_access:  read_only
        .address_space:  global
        .offset:         104
        .size:           8
        .value_kind:     global_buffer
      - .offset:         112
        .size:           8
        .value_kind:     by_value
      - .offset:         120
        .size:           8
        .value_kind:     by_value
      - .offset:         128
        .size:           8
        .value_kind:     by_value
      - .offset:         136
        .size:           4
        .value_kind:     by_value
    .group_segment_fixed_size: 10496
    .kernarg_segment_align: 8
    .kernarg_segment_size: 140
    .language:       OpenCL C
    .language_version:
      - 2
      - 0
    .max_flat_workgroup_size: 128
    .name:           _ZL50rocblas_symv_kernel_lower_double_buffered_diagonalILi32ELi4E24rocblas_internal_val_ptrIdEPKPKdPKPdEvbiT1_lT2_lllSA_lllS9_lT3_llli
    .private_segment_fixed_size: 0
    .sgpr_count:     24
    .sgpr_spill_count: 0
    .symbol:         _ZL50rocblas_symv_kernel_lower_double_buffered_diagonalILi32ELi4E24rocblas_internal_val_ptrIdEPKPKdPKPdEvbiT1_lT2_lllSA_lllS9_lT3_llli.kd
    .uniform_work_group_size: 1
    .uses_dynamic_stack: false
    .vgpr_count:     33
    .vgpr_spill_count: 0
    .wavefront_size: 32
    .workgroup_processor_mode: 1
  - .args:
      - .offset:         0
        .size:           1
        .value_kind:     by_value
      - .offset:         4
        .size:           4
        .value_kind:     by_value
      - .offset:         8
        .size:           8
        .value_kind:     by_value
      - .offset:         16
        .size:           8
        .value_kind:     by_value
      - .address_space:  global
        .offset:         24
        .size:           8
        .value_kind:     global_buffer
      - .offset:         32
        .size:           8
        .value_kind:     by_value
      - .offset:         40
        .size:           8
        .value_kind:     by_value
      - .offset:         48
        .size:           8
        .value_kind:     by_value
      - .address_space:  global
        .offset:         56
        .size:           8
        .value_kind:     global_buffer
      - .offset:         64
        .size:           8
        .value_kind:     by_value
      - .offset:         72
        .size:           8
        .value_kind:     by_value
      - .offset:         80
        .size:           8
        .value_kind:     by_value
      - .actual_access:  read_only
        .address_space:  global
        .offset:         88
        .size:           8
        .value_kind:     global_buffer
      - .offset:         96
        .size:           8
        .value_kind:     by_value
      - .offset:         104
        .size:           8
        .value_kind:     by_value
      - .offset:         112
        .size:           8
        .value_kind:     by_value
      - .offset:         120
        .size:           4
        .value_kind:     by_value
      - .offset:         128
        .size:           4
        .value_kind:     hidden_block_count_x
      - .offset:         132
        .size:           4
        .value_kind:     hidden_block_count_y
      - .offset:         136
        .size:           4
        .value_kind:     hidden_block_count_z
      - .offset:         140
        .size:           2
        .value_kind:     hidden_group_size_x
      - .offset:         142
        .size:           2
        .value_kind:     hidden_group_size_y
      - .offset:         144
        .size:           2
        .value_kind:     hidden_group_size_z
      - .offset:         146
        .size:           2
        .value_kind:     hidden_remainder_x
      - .offset:         148
        .size:           2
        .value_kind:     hidden_remainder_y
      - .offset:         150
        .size:           2
        .value_kind:     hidden_remainder_z
      - .offset:         168
        .size:           8
        .value_kind:     hidden_global_offset_x
      - .offset:         176
        .size:           8
        .value_kind:     hidden_global_offset_y
      - .offset:         184
        .size:           8
        .value_kind:     hidden_global_offset_z
      - .offset:         192
        .size:           2
        .value_kind:     hidden_grid_dims
    .group_segment_fixed_size: 6400
    .kernarg_segment_align: 8
    .kernarg_segment_size: 384
    .language:       OpenCL C
    .language_version:
      - 2
      - 0
    .max_flat_workgroup_size: 128
    .name:           _ZL54rocblas_symv_kernel_lower_double_buffered_non_diagonalILi32ELi4ELi4E24rocblas_internal_val_ptrIdEPKPKdPKPdEvbiT2_lT3_lllSA_lllT4_llli
    .private_segment_fixed_size: 0
    .sgpr_count:     30
    .sgpr_spill_count: 0
    .symbol:         _ZL54rocblas_symv_kernel_lower_double_buffered_non_diagonalILi32ELi4ELi4E24rocblas_internal_val_ptrIdEPKPKdPKPdEvbiT2_lT3_lllSA_lllT4_llli.kd
    .uniform_work_group_size: 1
    .uses_dynamic_stack: false
    .vgpr_count:     70
    .vgpr_spill_count: 0
    .wavefront_size: 32
    .workgroup_processor_mode: 1
  - .args:
      - .offset:         0
        .size:           1
        .value_kind:     by_value
      - .offset:         4
        .size:           4
        .value_kind:     by_value
      - .offset:         8
        .size:           8
        .value_kind:     by_value
      - .offset:         16
        .size:           8
        .value_kind:     by_value
      - .address_space:  global
        .offset:         24
        .size:           8
        .value_kind:     global_buffer
      - .offset:         32
        .size:           8
        .value_kind:     by_value
      - .offset:         40
        .size:           8
        .value_kind:     by_value
      - .offset:         48
        .size:           8
        .value_kind:     by_value
      - .address_space:  global
        .offset:         56
        .size:           8
        .value_kind:     global_buffer
      - .offset:         64
        .size:           8
        .value_kind:     by_value
      - .offset:         72
        .size:           8
        .value_kind:     by_value
      - .offset:         80
        .size:           8
        .value_kind:     by_value
      - .offset:         88
        .size:           8
        .value_kind:     by_value
      - .offset:         96
        .size:           8
        .value_kind:     by_value
      - .actual_access:  read_only
        .address_space:  global
        .offset:         104
        .size:           8
        .value_kind:     global_buffer
      - .offset:         112
        .size:           8
        .value_kind:     by_value
      - .offset:         120
        .size:           8
        .value_kind:     by_value
      - .offset:         128
        .size:           8
        .value_kind:     by_value
      - .offset:         136
        .size:           4
        .value_kind:     by_value
      - .offset:         140
        .size:           4
        .value_kind:     by_value
      - .offset:         144
        .size:           4
        .value_kind:     hidden_block_count_x
      - .offset:         148
        .size:           4
        .value_kind:     hidden_block_count_y
      - .offset:         152
        .size:           4
        .value_kind:     hidden_block_count_z
      - .offset:         156
        .size:           2
        .value_kind:     hidden_group_size_x
      - .offset:         158
        .size:           2
        .value_kind:     hidden_group_size_y
      - .offset:         160
        .size:           2
        .value_kind:     hidden_group_size_z
      - .offset:         162
        .size:           2
        .value_kind:     hidden_remainder_x
      - .offset:         164
        .size:           2
        .value_kind:     hidden_remainder_y
      - .offset:         166
        .size:           2
        .value_kind:     hidden_remainder_z
      - .offset:         184
        .size:           8
        .value_kind:     hidden_global_offset_x
      - .offset:         192
        .size:           8
        .value_kind:     hidden_global_offset_y
      - .offset:         200
        .size:           8
        .value_kind:     hidden_global_offset_z
      - .offset:         208
        .size:           2
        .value_kind:     hidden_grid_dims
    .group_segment_fixed_size: 10496
    .kernarg_segment_align: 8
    .kernarg_segment_size: 400
    .language:       OpenCL C
    .language_version:
      - 2
      - 0
    .max_flat_workgroup_size: 128
    .name:           _ZL58rocblas_symv_kernel_lower_double_buffered_diagonal_genericILi32ELi4E24rocblas_internal_val_ptrIdEPKPKdPKPdEvbiT1_lT2_lllSA_lllS9_lT3_lllii
    .private_segment_fixed_size: 0
    .sgpr_count:     24
    .sgpr_spill_count: 0
    .symbol:         _ZL58rocblas_symv_kernel_lower_double_buffered_diagonal_genericILi32ELi4E24rocblas_internal_val_ptrIdEPKPKdPKPdEvbiT1_lT2_lllSA_lllS9_lT3_lllii.kd
    .uniform_work_group_size: 1
    .uses_dynamic_stack: false
    .vgpr_count:     30
    .vgpr_spill_count: 0
    .wavefront_size: 32
    .workgroup_processor_mode: 1
  - .args:
      - .offset:         0
        .size:           1
        .value_kind:     by_value
      - .offset:         4
        .size:           4
        .value_kind:     by_value
      - .offset:         8
        .size:           8
        .value_kind:     by_value
      - .offset:         16
        .size:           8
        .value_kind:     by_value
      - .address_space:  global
        .offset:         24
        .size:           8
        .value_kind:     global_buffer
      - .offset:         32
        .size:           8
        .value_kind:     by_value
      - .offset:         40
        .size:           8
        .value_kind:     by_value
      - .offset:         48
        .size:           8
        .value_kind:     by_value
      - .address_space:  global
        .offset:         56
        .size:           8
        .value_kind:     global_buffer
      - .offset:         64
        .size:           8
        .value_kind:     by_value
      - .offset:         72
        .size:           8
        .value_kind:     by_value
      - .offset:         80
        .size:           8
        .value_kind:     by_value
      - .actual_access:  read_only
        .address_space:  global
        .offset:         88
        .size:           8
        .value_kind:     global_buffer
      - .offset:         96
        .size:           8
        .value_kind:     by_value
      - .offset:         104
        .size:           8
        .value_kind:     by_value
      - .offset:         112
        .size:           8
        .value_kind:     by_value
      - .offset:         120
        .size:           4
        .value_kind:     by_value
      - .offset:         124
        .size:           4
        .value_kind:     by_value
      - .offset:         128
        .size:           4
        .value_kind:     hidden_block_count_x
      - .offset:         132
        .size:           4
        .value_kind:     hidden_block_count_y
      - .offset:         136
        .size:           4
        .value_kind:     hidden_block_count_z
      - .offset:         140
        .size:           2
        .value_kind:     hidden_group_size_x
      - .offset:         142
        .size:           2
        .value_kind:     hidden_group_size_y
      - .offset:         144
        .size:           2
        .value_kind:     hidden_group_size_z
      - .offset:         146
        .size:           2
        .value_kind:     hidden_remainder_x
      - .offset:         148
        .size:           2
        .value_kind:     hidden_remainder_y
      - .offset:         150
        .size:           2
        .value_kind:     hidden_remainder_z
      - .offset:         168
        .size:           8
        .value_kind:     hidden_global_offset_x
      - .offset:         176
        .size:           8
        .value_kind:     hidden_global_offset_y
      - .offset:         184
        .size:           8
        .value_kind:     hidden_global_offset_z
      - .offset:         192
        .size:           2
        .value_kind:     hidden_grid_dims
    .group_segment_fixed_size: 6400
    .kernarg_segment_align: 8
    .kernarg_segment_size: 384
    .language:       OpenCL C
    .language_version:
      - 2
      - 0
    .max_flat_workgroup_size: 128
    .name:           _ZL62rocblas_symv_kernel_lower_double_buffered_non_diagonal_genericILi32ELi4ELi4E24rocblas_internal_val_ptrIdEPKPKdPKPdEvbiT2_lT3_lllSA_lllT4_lllii
    .private_segment_fixed_size: 0
    .sgpr_count:     33
    .sgpr_spill_count: 0
    .symbol:         _ZL62rocblas_symv_kernel_lower_double_buffered_non_diagonal_genericILi32ELi4ELi4E24rocblas_internal_val_ptrIdEPKPKdPKPdEvbiT2_lT3_lllSA_lllT4_lllii.kd
    .uniform_work_group_size: 1
    .uses_dynamic_stack: false
    .vgpr_count:     73
    .vgpr_spill_count: 0
    .wavefront_size: 32
    .workgroup_processor_mode: 1
  - .args:
      - .offset:         0
        .size:           4
        .value_kind:     by_value
      - .address_space:  global
        .offset:         8
        .size:           8
        .value_kind:     global_buffer
      - .offset:         16
        .size:           8
        .value_kind:     by_value
      - .address_space:  global
        .offset:         24
        .size:           8
        .value_kind:     global_buffer
      - .offset:         32
        .size:           8
        .value_kind:     by_value
      - .offset:         40
        .size:           8
        .value_kind:     by_value
      - .offset:         48
        .size:           8
        .value_kind:     by_value
      - .address_space:  global
        .offset:         56
        .size:           8
        .value_kind:     global_buffer
      - .offset:         64
        .size:           8
        .value_kind:     by_value
      - .offset:         72
        .size:           8
        .value_kind:     by_value
      - .offset:         80
        .size:           8
        .value_kind:     by_value
      - .address_space:  global
        .offset:         88
        .size:           8
        .value_kind:     global_buffer
      - .offset:         96
        .size:           8
        .value_kind:     by_value
      - .address_space:  global
        .offset:         104
        .size:           8
        .value_kind:     global_buffer
      - .offset:         112
        .size:           4
        .value_kind:     by_value
      - .offset:         120
        .size:           4
        .value_kind:     hidden_block_count_x
      - .offset:         124
        .size:           4
        .value_kind:     hidden_block_count_y
      - .offset:         128
        .size:           4
        .value_kind:     hidden_block_count_z
      - .offset:         132
        .size:           2
        .value_kind:     hidden_group_size_x
      - .offset:         134
        .size:           2
        .value_kind:     hidden_group_size_y
      - .offset:         136
        .size:           2
        .value_kind:     hidden_group_size_z
      - .offset:         138
        .size:           2
        .value_kind:     hidden_remainder_x
      - .offset:         140
        .size:           2
        .value_kind:     hidden_remainder_y
      - .offset:         142
        .size:           2
        .value_kind:     hidden_remainder_z
      - .offset:         160
        .size:           8
        .value_kind:     hidden_global_offset_x
      - .offset:         168
        .size:           8
        .value_kind:     hidden_global_offset_y
      - .offset:         176
        .size:           8
        .value_kind:     hidden_global_offset_z
      - .offset:         184
        .size:           2
        .value_kind:     hidden_grid_dims
    .group_segment_fixed_size: 9600
    .kernarg_segment_align: 8
    .kernarg_segment_size: 376
    .language:       OpenCL C
    .language_version:
      - 2
      - 0
    .max_flat_workgroup_size: 256
    .name:           _ZL26rocblas_hemvn_kernel_lowerILb0ELi64ELi4ELi33ELi32ELi16ElPKdPKS1_PdEviT6_lT7_lT5_lS6_lS7_lS5_lT8_i
    .private_segment_fixed_size: 0
    .sgpr_count:     48
    .sgpr_spill_count: 0
    .symbol:         _ZL26rocblas_hemvn_kernel_lowerILb0ELi64ELi4ELi33ELi32ELi16ElPKdPKS1_PdEviT6_lT7_lT5_lS6_lS7_lS5_lT8_i.kd
    .uniform_work_group_size: 1
    .uses_dynamic_stack: false
    .vgpr_count:     117
    .vgpr_spill_count: 0
    .wavefront_size: 32
    .workgroup_processor_mode: 1
  - .args:
      - .offset:         0
        .size:           4
        .value_kind:     by_value
      - .address_space:  global
        .offset:         8
        .size:           8
        .value_kind:     global_buffer
      - .offset:         16
        .size:           8
        .value_kind:     by_value
      - .address_space:  global
        .offset:         24
        .size:           8
        .value_kind:     global_buffer
      - .offset:         32
        .size:           8
        .value_kind:     by_value
      - .actual_access:  read_only
        .address_space:  global
        .offset:         40
        .size:           8
        .value_kind:     global_buffer
      - .offset:         48
        .size:           8
        .value_kind:     by_value
      - .offset:         56
        .size:           8
        .value_kind:     by_value
      - .offset:         64
        .size:           8
        .value_kind:     by_value
      - .actual_access:  read_only
        .address_space:  global
        .offset:         72
        .size:           8
        .value_kind:     global_buffer
      - .offset:         80
        .size:           4
        .value_kind:     by_value
      - .offset:         88
        .size:           4
        .value_kind:     hidden_block_count_x
      - .offset:         92
        .size:           4
        .value_kind:     hidden_block_count_y
      - .offset:         96
        .size:           4
        .value_kind:     hidden_block_count_z
      - .offset:         100
        .size:           2
        .value_kind:     hidden_group_size_x
      - .offset:         102
        .size:           2
        .value_kind:     hidden_group_size_y
      - .offset:         104
        .size:           2
        .value_kind:     hidden_group_size_z
      - .offset:         106
        .size:           2
        .value_kind:     hidden_remainder_x
      - .offset:         108
        .size:           2
        .value_kind:     hidden_remainder_y
      - .offset:         110
        .size:           2
        .value_kind:     hidden_remainder_z
      - .offset:         128
        .size:           8
        .value_kind:     hidden_global_offset_x
      - .offset:         136
        .size:           8
        .value_kind:     hidden_global_offset_y
      - .offset:         144
        .size:           8
        .value_kind:     hidden_global_offset_z
      - .offset:         152
        .size:           2
        .value_kind:     hidden_grid_dims
    .group_segment_fixed_size: 0
    .kernarg_segment_align: 8
    .kernarg_segment_size: 344
    .language:       OpenCL C
    .language_version:
      - 2
      - 0
    .max_flat_workgroup_size: 64
    .name:           _ZL36rocblas_hemvn_kernel_lower_block_sumILi64ElPKdPKPddEviT1_lS5_lT2_lT0_lPT3_i
    .private_segment_fixed_size: 0
    .sgpr_count:     26
    .sgpr_spill_count: 0
    .symbol:         _ZL36rocblas_hemvn_kernel_lower_block_sumILi64ElPKdPKPddEviT1_lS5_lT2_lT0_lPT3_i.kd
    .uniform_work_group_size: 1
    .uses_dynamic_stack: false
    .vgpr_count:     9
    .vgpr_spill_count: 0
    .wavefront_size: 32
    .workgroup_processor_mode: 1
  - .args:
      - .offset:         0
        .size:           4
        .value_kind:     by_value
      - .address_space:  global
        .offset:         8
        .size:           8
        .value_kind:     global_buffer
      - .offset:         16
        .size:           8
        .value_kind:     by_value
      - .address_space:  global
        .offset:         24
        .size:           8
        .value_kind:     global_buffer
      - .offset:         32
        .size:           8
        .value_kind:     by_value
      - .offset:         40
        .size:           4
        .value_kind:     by_value
      - .offset:         48
        .size:           8
        .value_kind:     by_value
      - .address_space:  global
        .offset:         56
        .size:           8
        .value_kind:     global_buffer
      - .offset:         64
        .size:           8
        .value_kind:     by_value
      - .offset:         72
        .size:           4
        .value_kind:     by_value
      - .offset:         80
        .size:           8
        .value_kind:     by_value
      - .address_space:  global
        .offset:         88
        .size:           8
        .value_kind:     global_buffer
      - .offset:         96
        .size:           8
        .value_kind:     by_value
      - .address_space:  global
        .offset:         104
        .size:           8
        .value_kind:     global_buffer
      - .offset:         112
        .size:           4
        .value_kind:     by_value
      - .offset:         120
        .size:           4
        .value_kind:     hidden_block_count_x
      - .offset:         124
        .size:           4
        .value_kind:     hidden_block_count_y
      - .offset:         128
        .size:           4
        .value_kind:     hidden_block_count_z
      - .offset:         132
        .size:           2
        .value_kind:     hidden_group_size_x
      - .offset:         134
        .size:           2
        .value_kind:     hidden_group_size_y
      - .offset:         136
        .size:           2
        .value_kind:     hidden_group_size_z
      - .offset:         138
        .size:           2
        .value_kind:     hidden_remainder_x
      - .offset:         140
        .size:           2
        .value_kind:     hidden_remainder_y
      - .offset:         142
        .size:           2
        .value_kind:     hidden_remainder_z
      - .offset:         160
        .size:           8
        .value_kind:     hidden_global_offset_x
      - .offset:         168
        .size:           8
        .value_kind:     hidden_global_offset_y
      - .offset:         176
        .size:           8
        .value_kind:     hidden_global_offset_z
      - .offset:         184
        .size:           2
        .value_kind:     hidden_grid_dims
    .group_segment_fixed_size: 9600
    .kernarg_segment_align: 8
    .kernarg_segment_size: 376
    .language:       OpenCL C
    .language_version:
      - 2
      - 0
    .max_flat_workgroup_size: 256
    .name:           _ZL26rocblas_hemvn_kernel_lowerILb0ELi64ELi4ELi33ELi32ELi16EiPKdPKS1_PdEviT6_lT7_lT5_lS6_lS7_lS5_lT8_i
    .private_segment_fixed_size: 0
    .sgpr_count:     48
    .sgpr_spill_count: 0
    .symbol:         _ZL26rocblas_hemvn_kernel_lowerILb0ELi64ELi4ELi33ELi32ELi16EiPKdPKS1_PdEviT6_lT7_lT5_lS6_lS7_lS5_lT8_i.kd
    .uniform_work_group_size: 1
    .uses_dynamic_stack: false
    .vgpr_count:     115
    .vgpr_spill_count: 0
    .wavefront_size: 32
    .workgroup_processor_mode: 1
  - .args:
      - .offset:         0
        .size:           4
        .value_kind:     by_value
      - .address_space:  global
        .offset:         8
        .size:           8
        .value_kind:     global_buffer
      - .offset:         16
        .size:           8
        .value_kind:     by_value
      - .address_space:  global
        .offset:         24
        .size:           8
        .value_kind:     global_buffer
      - .offset:         32
        .size:           8
        .value_kind:     by_value
      - .actual_access:  read_only
        .address_space:  global
        .offset:         40
        .size:           8
        .value_kind:     global_buffer
      - .offset:         48
        .size:           8
        .value_kind:     by_value
      - .offset:         56
        .size:           4
        .value_kind:     by_value
      - .offset:         64
        .size:           8
        .value_kind:     by_value
      - .actual_access:  read_only
        .address_space:  global
        .offset:         72
        .size:           8
        .value_kind:     global_buffer
      - .offset:         80
        .size:           4
        .value_kind:     by_value
      - .offset:         88
        .size:           4
        .value_kind:     hidden_block_count_x
      - .offset:         92
        .size:           4
        .value_kind:     hidden_block_count_y
      - .offset:         96
        .size:           4
        .value_kind:     hidden_block_count_z
      - .offset:         100
        .size:           2
        .value_kind:     hidden_group_size_x
      - .offset:         102
        .size:           2
        .value_kind:     hidden_group_size_y
      - .offset:         104
        .size:           2
        .value_kind:     hidden_group_size_z
      - .offset:         106
        .size:           2
        .value_kind:     hidden_remainder_x
      - .offset:         108
        .size:           2
        .value_kind:     hidden_remainder_y
      - .offset:         110
        .size:           2
        .value_kind:     hidden_remainder_z
      - .offset:         128
        .size:           8
        .value_kind:     hidden_global_offset_x
      - .offset:         136
        .size:           8
        .value_kind:     hidden_global_offset_y
      - .offset:         144
        .size:           8
        .value_kind:     hidden_global_offset_z
      - .offset:         152
        .size:           2
        .value_kind:     hidden_grid_dims
    .group_segment_fixed_size: 0
    .kernarg_segment_align: 8
    .kernarg_segment_size: 344
    .language:       OpenCL C
    .language_version:
      - 2
      - 0
    .max_flat_workgroup_size: 64
    .name:           _ZL36rocblas_hemvn_kernel_lower_block_sumILi64EiPKdPKPddEviT1_lS5_lT2_lT0_lPT3_i
    .private_segment_fixed_size: 0
    .sgpr_count:     26
    .sgpr_spill_count: 0
    .symbol:         _ZL36rocblas_hemvn_kernel_lower_block_sumILi64EiPKdPKPddEviT1_lS5_lT2_lT0_lPT3_i.kd
    .uniform_work_group_size: 1
    .uses_dynamic_stack: false
    .vgpr_count:     7
    .vgpr_spill_count: 0
    .wavefront_size: 32
    .workgroup_processor_mode: 1
  - .args:
      - .offset:         0
        .size:           4
        .value_kind:     by_value
      - .offset:         8
        .size:           8
        .value_kind:     by_value
      - .offset:         16
        .size:           8
        .value_kind:     by_value
      - .address_space:  global
        .offset:         24
        .size:           8
        .value_kind:     global_buffer
      - .offset:         32
        .size:           8
        .value_kind:     by_value
      - .offset:         40
        .size:           8
        .value_kind:     by_value
      - .offset:         48
        .size:           8
        .value_kind:     by_value
      - .address_space:  global
        .offset:         56
        .size:           8
        .value_kind:     global_buffer
      - .offset:         64
        .size:           8
        .value_kind:     by_value
      - .offset:         72
        .size:           8
        .value_kind:     by_value
      - .offset:         80
        .size:           8
        .value_kind:     by_value
      - .offset:         88
        .size:           8
        .value_kind:     by_value
      - .offset:         96
        .size:           8
        .value_kind:     by_value
      - .address_space:  global
        .offset:         104
        .size:           8
        .value_kind:     global_buffer
      - .offset:         112
        .size:           4
        .value_kind:     by_value
      - .offset:         120
        .size:           4
        .value_kind:     hidden_block_count_x
      - .offset:         124
        .size:           4
        .value_kind:     hidden_block_count_y
      - .offset:         128
        .size:           4
        .value_kind:     hidden_block_count_z
      - .offset:         132
        .size:           2
        .value_kind:     hidden_group_size_x
      - .offset:         134
        .size:           2
        .value_kind:     hidden_group_size_y
      - .offset:         136
        .size:           2
        .value_kind:     hidden_group_size_z
      - .offset:         138
        .size:           2
        .value_kind:     hidden_remainder_x
      - .offset:         140
        .size:           2
        .value_kind:     hidden_remainder_y
      - .offset:         142
        .size:           2
        .value_kind:     hidden_remainder_z
      - .offset:         160
        .size:           8
        .value_kind:     hidden_global_offset_x
      - .offset:         168
        .size:           8
        .value_kind:     hidden_global_offset_y
      - .offset:         176
        .size:           8
        .value_kind:     hidden_global_offset_z
      - .offset:         184
        .size:           2
        .value_kind:     hidden_grid_dims
    .group_segment_fixed_size: 9600
    .kernarg_segment_align: 8
    .kernarg_segment_size: 376
    .language:       OpenCL C
    .language_version:
      - 2
      - 0
    .max_flat_workgroup_size: 256
    .name:           _ZL26rocblas_hemvn_kernel_lowerILb0ELi64ELi4ELi33ELi32ELi16EldPKPKdPdEviT6_lT7_lT5_lS6_lS7_lS5_lT8_i
    .private_segment_fixed_size: 0
    .sgpr_count:     48
    .sgpr_spill_count: 0
    .symbol:         _ZL26rocblas_hemvn_kernel_lowerILb0ELi64ELi4ELi33ELi32ELi16EldPKPKdPdEviT6_lT7_lT5_lS6_lS7_lS5_lT8_i.kd
    .uniform_work_group_size: 1
    .uses_dynamic_stack: false
    .vgpr_count:     117
    .vgpr_spill_count: 0
    .wavefront_size: 32
    .workgroup_processor_mode: 1
  - .args:
      - .offset:         0
        .size:           4
        .value_kind:     by_value
      - .offset:         8
        .size:           8
        .value_kind:     by_value
      - .offset:         16
        .size:           8
        .value_kind:     by_value
      - .offset:         24
        .size:           8
        .value_kind:     by_value
      - .offset:         32
        .size:           8
        .value_kind:     by_value
      - .actual_access:  read_only
        .address_space:  global
        .offset:         40
        .size:           8
        .value_kind:     global_buffer
      - .offset:         48
        .size:           8
        .value_kind:     by_value
      - .offset:         56
        .size:           8
        .value_kind:     by_value
      - .offset:         64
        .size:           8
        .value_kind:     by_value
      - .actual_access:  read_only
        .address_space:  global
        .offset:         72
        .size:           8
        .value_kind:     global_buffer
      - .offset:         80
        .size:           4
        .value_kind:     by_value
      - .offset:         88
        .size:           4
        .value_kind:     hidden_block_count_x
      - .offset:         92
        .size:           4
        .value_kind:     hidden_block_count_y
      - .offset:         96
        .size:           4
        .value_kind:     hidden_block_count_z
      - .offset:         100
        .size:           2
        .value_kind:     hidden_group_size_x
      - .offset:         102
        .size:           2
        .value_kind:     hidden_group_size_y
      - .offset:         104
        .size:           2
        .value_kind:     hidden_group_size_z
      - .offset:         106
        .size:           2
        .value_kind:     hidden_remainder_x
      - .offset:         108
        .size:           2
        .value_kind:     hidden_remainder_y
      - .offset:         110
        .size:           2
        .value_kind:     hidden_remainder_z
      - .offset:         128
        .size:           8
        .value_kind:     hidden_global_offset_x
      - .offset:         136
        .size:           8
        .value_kind:     hidden_global_offset_y
      - .offset:         144
        .size:           8
        .value_kind:     hidden_global_offset_z
      - .offset:         152
        .size:           2
        .value_kind:     hidden_grid_dims
    .group_segment_fixed_size: 0
    .kernarg_segment_align: 8
    .kernarg_segment_size: 344
    .language:       OpenCL C
    .language_version:
      - 2
      - 0
    .max_flat_workgroup_size: 64
    .name:           _ZL36rocblas_hemvn_kernel_lower_block_sumILi64EldPKPddEviT1_lS3_lT2_lT0_lPT3_i
    .private_segment_fixed_size: 0
    .sgpr_count:     22
    .sgpr_spill_count: 0
    .symbol:         _ZL36rocblas_hemvn_kernel_lower_block_sumILi64EldPKPddEviT1_lS3_lT2_lT0_lPT3_i.kd
    .uniform_work_group_size: 1
    .uses_dynamic_stack: false
    .vgpr_count:     9
    .vgpr_spill_count: 0
    .wavefront_size: 32
    .workgroup_processor_mode: 1
  - .args:
      - .offset:         0
        .size:           4
        .value_kind:     by_value
      - .offset:         8
        .size:           8
        .value_kind:     by_value
      - .offset:         16
        .size:           8
        .value_kind:     by_value
      - .address_space:  global
        .offset:         24
        .size:           8
        .value_kind:     global_buffer
      - .offset:         32
        .size:           8
        .value_kind:     by_value
      - .offset:         40
        .size:           4
        .value_kind:     by_value
      - .offset:         48
        .size:           8
        .value_kind:     by_value
      - .address_space:  global
        .offset:         56
        .size:           8
        .value_kind:     global_buffer
      - .offset:         64
        .size:           8
        .value_kind:     by_value
      - .offset:         72
        .size:           4
        .value_kind:     by_value
      - .offset:         80
        .size:           8
        .value_kind:     by_value
      - .offset:         88
        .size:           8
        .value_kind:     by_value
      - .offset:         96
        .size:           8
        .value_kind:     by_value
      - .address_space:  global
        .offset:         104
        .size:           8
        .value_kind:     global_buffer
      - .offset:         112
        .size:           4
        .value_kind:     by_value
      - .offset:         120
        .size:           4
        .value_kind:     hidden_block_count_x
      - .offset:         124
        .size:           4
        .value_kind:     hidden_block_count_y
      - .offset:         128
        .size:           4
        .value_kind:     hidden_block_count_z
      - .offset:         132
        .size:           2
        .value_kind:     hidden_group_size_x
      - .offset:         134
        .size:           2
        .value_kind:     hidden_group_size_y
      - .offset:         136
        .size:           2
        .value_kind:     hidden_group_size_z
      - .offset:         138
        .size:           2
        .value_kind:     hidden_remainder_x
      - .offset:         140
        .size:           2
        .value_kind:     hidden_remainder_y
      - .offset:         142
        .size:           2
        .value_kind:     hidden_remainder_z
      - .offset:         160
        .size:           8
        .value_kind:     hidden_global_offset_x
      - .offset:         168
        .size:           8
        .value_kind:     hidden_global_offset_y
      - .offset:         176
        .size:           8
        .value_kind:     hidden_global_offset_z
      - .offset:         184
        .size:           2
        .value_kind:     hidden_grid_dims
    .group_segment_fixed_size: 9600
    .kernarg_segment_align: 8
    .kernarg_segment_size: 376
    .language:       OpenCL C
    .language_version:
      - 2
      - 0
    .max_flat_workgroup_size: 256
    .name:           _ZL26rocblas_hemvn_kernel_lowerILb0ELi64ELi4ELi33ELi32ELi16EidPKPKdPdEviT6_lT7_lT5_lS6_lS7_lS5_lT8_i
    .private_segment_fixed_size: 0
    .sgpr_count:     48
    .sgpr_spill_count: 0
    .symbol:         _ZL26rocblas_hemvn_kernel_lowerILb0ELi64ELi4ELi33ELi32ELi16EidPKPKdPdEviT6_lT7_lT5_lS6_lS7_lS5_lT8_i.kd
    .uniform_work_group_size: 1
    .uses_dynamic_stack: false
    .vgpr_count:     115
    .vgpr_spill_count: 0
    .wavefront_size: 32
    .workgroup_processor_mode: 1
  - .args:
      - .offset:         0
        .size:           4
        .value_kind:     by_value
      - .offset:         8
        .size:           8
        .value_kind:     by_value
      - .offset:         16
        .size:           8
        .value_kind:     by_value
      - .offset:         24
        .size:           8
        .value_kind:     by_value
      - .offset:         32
        .size:           8
        .value_kind:     by_value
      - .actual_access:  read_only
        .address_space:  global
        .offset:         40
        .size:           8
        .value_kind:     global_buffer
      - .offset:         48
        .size:           8
        .value_kind:     by_value
      - .offset:         56
        .size:           4
        .value_kind:     by_value
      - .offset:         64
        .size:           8
        .value_kind:     by_value
      - .actual_access:  read_only
        .address_space:  global
        .offset:         72
        .size:           8
        .value_kind:     global_buffer
      - .offset:         80
        .size:           4
        .value_kind:     by_value
      - .offset:         88
        .size:           4
        .value_kind:     hidden_block_count_x
      - .offset:         92
        .size:           4
        .value_kind:     hidden_block_count_y
      - .offset:         96
        .size:           4
        .value_kind:     hidden_block_count_z
      - .offset:         100
        .size:           2
        .value_kind:     hidden_group_size_x
      - .offset:         102
        .size:           2
        .value_kind:     hidden_group_size_y
      - .offset:         104
        .size:           2
        .value_kind:     hidden_group_size_z
      - .offset:         106
        .size:           2
        .value_kind:     hidden_remainder_x
      - .offset:         108
        .size:           2
        .value_kind:     hidden_remainder_y
      - .offset:         110
        .size:           2
        .value_kind:     hidden_remainder_z
      - .offset:         128
        .size:           8
        .value_kind:     hidden_global_offset_x
      - .offset:         136
        .size:           8
        .value_kind:     hidden_global_offset_y
      - .offset:         144
        .size:           8
        .value_kind:     hidden_global_offset_z
      - .offset:         152
        .size:           2
        .value_kind:     hidden_grid_dims
    .group_segment_fixed_size: 0
    .kernarg_segment_align: 8
    .kernarg_segment_size: 344
    .language:       OpenCL C
    .language_version:
      - 2
      - 0
    .max_flat_workgroup_size: 64
    .name:           _ZL36rocblas_hemvn_kernel_lower_block_sumILi64EidPKPddEviT1_lS3_lT2_lT0_lPT3_i
    .private_segment_fixed_size: 0
    .sgpr_count:     22
    .sgpr_spill_count: 0
    .symbol:         _ZL36rocblas_hemvn_kernel_lower_block_sumILi64EidPKPddEviT1_lS3_lT2_lT0_lPT3_i.kd
    .uniform_work_group_size: 1
    .uses_dynamic_stack: false
    .vgpr_count:     7
    .vgpr_spill_count: 0
    .wavefront_size: 32
    .workgroup_processor_mode: 1
  - .args:
      - .offset:         0
        .size:           4
        .value_kind:     by_value
      - .address_space:  global
        .offset:         8
        .size:           8
        .value_kind:     global_buffer
      - .offset:         16
        .size:           8
        .value_kind:     by_value
      - .address_space:  global
        .offset:         24
        .size:           8
        .value_kind:     global_buffer
      - .offset:         32
        .size:           8
        .value_kind:     by_value
      - .offset:         40
        .size:           8
        .value_kind:     by_value
      - .offset:         48
        .size:           8
        .value_kind:     by_value
      - .address_space:  global
        .offset:         56
        .size:           8
        .value_kind:     global_buffer
      - .offset:         64
        .size:           8
        .value_kind:     by_value
      - .offset:         72
        .size:           8
        .value_kind:     by_value
      - .offset:         80
        .size:           8
        .value_kind:     by_value
      - .address_space:  global
        .offset:         88
        .size:           8
        .value_kind:     global_buffer
      - .offset:         96
        .size:           8
        .value_kind:     by_value
      - .address_space:  global
        .offset:         104
        .size:           8
        .value_kind:     global_buffer
      - .offset:         112
        .size:           4
        .value_kind:     by_value
      - .offset:         120
        .size:           4
        .value_kind:     hidden_block_count_x
      - .offset:         124
        .size:           4
        .value_kind:     hidden_block_count_y
      - .offset:         128
        .size:           4
        .value_kind:     hidden_block_count_z
      - .offset:         132
        .size:           2
        .value_kind:     hidden_group_size_x
      - .offset:         134
        .size:           2
        .value_kind:     hidden_group_size_y
      - .offset:         136
        .size:           2
        .value_kind:     hidden_group_size_z
      - .offset:         138
        .size:           2
        .value_kind:     hidden_remainder_x
      - .offset:         140
        .size:           2
        .value_kind:     hidden_remainder_y
      - .offset:         142
        .size:           2
        .value_kind:     hidden_remainder_z
      - .offset:         160
        .size:           8
        .value_kind:     hidden_global_offset_x
      - .offset:         168
        .size:           8
        .value_kind:     hidden_global_offset_y
      - .offset:         176
        .size:           8
        .value_kind:     hidden_global_offset_z
      - .offset:         184
        .size:           2
        .value_kind:     hidden_grid_dims
    .group_segment_fixed_size: 9600
    .kernarg_segment_align: 8
    .kernarg_segment_size: 376
    .language:       OpenCL C
    .language_version:
      - 2
      - 0
    .max_flat_workgroup_size: 256
    .name:           _ZL26rocblas_hemvn_kernel_upperILb0ELi64ELi4ELi33ELi32ELi16ElPK19rocblas_complex_numIfEPKS3_PS1_EviT6_lT7_lT5_lS8_lS9_lS7_lT8_i
    .private_segment_fixed_size: 0
    .sgpr_count:     32
    .sgpr_spill_count: 0
    .symbol:         _ZL26rocblas_hemvn_kernel_upperILb0ELi64ELi4ELi33ELi32ELi16ElPK19rocblas_complex_numIfEPKS3_PS1_EviT6_lT7_lT5_lS8_lS9_lS7_lT8_i.kd
    .uniform_work_group_size: 1
    .uses_dynamic_stack: false
    .vgpr_count:     161
    .vgpr_spill_count: 0
    .wavefront_size: 32
    .workgroup_processor_mode: 1
  - .args:
      - .offset:         0
        .size:           4
        .value_kind:     by_value
      - .address_space:  global
        .offset:         8
        .size:           8
        .value_kind:     global_buffer
      - .offset:         16
        .size:           8
        .value_kind:     by_value
      - .address_space:  global
        .offset:         24
        .size:           8
        .value_kind:     global_buffer
      - .offset:         32
        .size:           8
        .value_kind:     by_value
      - .offset:         40
        .size:           4
        .value_kind:     by_value
      - .offset:         48
        .size:           8
        .value_kind:     by_value
      - .address_space:  global
        .offset:         56
        .size:           8
        .value_kind:     global_buffer
      - .offset:         64
        .size:           8
        .value_kind:     by_value
      - .offset:         72
        .size:           4
        .value_kind:     by_value
      - .offset:         80
        .size:           8
        .value_kind:     by_value
      - .address_space:  global
        .offset:         88
        .size:           8
        .value_kind:     global_buffer
      - .offset:         96
        .size:           8
        .value_kind:     by_value
      - .address_space:  global
        .offset:         104
        .size:           8
        .value_kind:     global_buffer
      - .offset:         112
        .size:           4
        .value_kind:     by_value
      - .offset:         120
        .size:           4
        .value_kind:     hidden_block_count_x
      - .offset:         124
        .size:           4
        .value_kind:     hidden_block_count_y
      - .offset:         128
        .size:           4
        .value_kind:     hidden_block_count_z
      - .offset:         132
        .size:           2
        .value_kind:     hidden_group_size_x
      - .offset:         134
        .size:           2
        .value_kind:     hidden_group_size_y
      - .offset:         136
        .size:           2
        .value_kind:     hidden_group_size_z
      - .offset:         138
        .size:           2
        .value_kind:     hidden_remainder_x
      - .offset:         140
        .size:           2
        .value_kind:     hidden_remainder_y
      - .offset:         142
        .size:           2
        .value_kind:     hidden_remainder_z
      - .offset:         160
        .size:           8
        .value_kind:     hidden_global_offset_x
      - .offset:         168
        .size:           8
        .value_kind:     hidden_global_offset_y
      - .offset:         176
        .size:           8
        .value_kind:     hidden_global_offset_z
      - .offset:         184
        .size:           2
        .value_kind:     hidden_grid_dims
    .group_segment_fixed_size: 9600
    .kernarg_segment_align: 8
    .kernarg_segment_size: 376
    .language:       OpenCL C
    .language_version:
      - 2
      - 0
    .max_flat_workgroup_size: 256
    .name:           _ZL26rocblas_hemvn_kernel_upperILb0ELi64ELi4ELi33ELi32ELi16EiPK19rocblas_complex_numIfEPKS3_PS1_EviT6_lT7_lT5_lS8_lS9_lS7_lT8_i
    .private_segment_fixed_size: 0
    .sgpr_count:     40
    .sgpr_spill_count: 0
    .symbol:         _ZL26rocblas_hemvn_kernel_upperILb0ELi64ELi4ELi33ELi32ELi16EiPK19rocblas_complex_numIfEPKS3_PS1_EviT6_lT7_lT5_lS8_lS9_lS7_lT8_i.kd
    .uniform_work_group_size: 1
    .uses_dynamic_stack: false
    .vgpr_count:     171
    .vgpr_spill_count: 0
    .wavefront_size: 32
    .workgroup_processor_mode: 1
  - .args:
      - .offset:         0
        .size:           4
        .value_kind:     by_value
      - .offset:         4
        .size:           8
        .value_kind:     by_value
      - .offset:         16
        .size:           8
        .value_kind:     by_value
      - .address_space:  global
        .offset:         24
        .size:           8
        .value_kind:     global_buffer
      - .offset:         32
        .size:           8
        .value_kind:     by_value
      - .offset:         40
        .size:           8
        .value_kind:     by_value
      - .offset:         48
        .size:           8
        .value_kind:     by_value
      - .address_space:  global
        .offset:         56
        .size:           8
        .value_kind:     global_buffer
      - .offset:         64
        .size:           8
        .value_kind:     by_value
      - .offset:         72
        .size:           8
        .value_kind:     by_value
      - .offset:         80
        .size:           8
        .value_kind:     by_value
      - .offset:         88
        .size:           8
        .value_kind:     by_value
      - .offset:         96
        .size:           8
        .value_kind:     by_value
      - .address_space:  global
        .offset:         104
        .size:           8
        .value_kind:     global_buffer
      - .offset:         112
        .size:           4
        .value_kind:     by_value
      - .offset:         120
        .size:           4
        .value_kind:     hidden_block_count_x
      - .offset:         124
        .size:           4
        .value_kind:     hidden_block_count_y
      - .offset:         128
        .size:           4
        .value_kind:     hidden_block_count_z
      - .offset:         132
        .size:           2
        .value_kind:     hidden_group_size_x
      - .offset:         134
        .size:           2
        .value_kind:     hidden_group_size_y
      - .offset:         136
        .size:           2
        .value_kind:     hidden_group_size_z
      - .offset:         138
        .size:           2
        .value_kind:     hidden_remainder_x
      - .offset:         140
        .size:           2
        .value_kind:     hidden_remainder_y
      - .offset:         142
        .size:           2
        .value_kind:     hidden_remainder_z
      - .offset:         160
        .size:           8
        .value_kind:     hidden_global_offset_x
      - .offset:         168
        .size:           8
        .value_kind:     hidden_global_offset_y
      - .offset:         176
        .size:           8
        .value_kind:     hidden_global_offset_z
      - .offset:         184
        .size:           2
        .value_kind:     hidden_grid_dims
    .group_segment_fixed_size: 9600
    .kernarg_segment_align: 8
    .kernarg_segment_size: 376
    .language:       OpenCL C
    .language_version:
      - 2
      - 0
    .max_flat_workgroup_size: 256
    .name:           _ZL26rocblas_hemvn_kernel_upperILb0ELi64ELi4ELi33ELi32ELi16El19rocblas_complex_numIfEPKPKS1_PS1_EviT6_lT7_lT5_lS8_lS9_lS7_lT8_i
    .private_segment_fixed_size: 0
    .sgpr_count:     32
    .sgpr_spill_count: 0
    .symbol:         _ZL26rocblas_hemvn_kernel_upperILb0ELi64ELi4ELi33ELi32ELi16El19rocblas_complex_numIfEPKPKS1_PS1_EviT6_lT7_lT5_lS8_lS9_lS7_lT8_i.kd
    .uniform_work_group_size: 1
    .uses_dynamic_stack: false
    .vgpr_count:     161
    .vgpr_spill_count: 0
    .wavefront_size: 32
    .workgroup_processor_mode: 1
  - .args:
      - .offset:         0
        .size:           4
        .value_kind:     by_value
      - .offset:         4
        .size:           8
        .value_kind:     by_value
      - .offset:         16
        .size:           8
        .value_kind:     by_value
      - .address_space:  global
        .offset:         24
        .size:           8
        .value_kind:     global_buffer
      - .offset:         32
        .size:           8
        .value_kind:     by_value
      - .offset:         40
        .size:           4
        .value_kind:     by_value
      - .offset:         48
        .size:           8
        .value_kind:     by_value
      - .address_space:  global
        .offset:         56
        .size:           8
        .value_kind:     global_buffer
      - .offset:         64
        .size:           8
        .value_kind:     by_value
      - .offset:         72
        .size:           4
        .value_kind:     by_value
      - .offset:         80
        .size:           8
        .value_kind:     by_value
      - .offset:         88
        .size:           8
        .value_kind:     by_value
      - .offset:         96
        .size:           8
        .value_kind:     by_value
      - .address_space:  global
        .offset:         104
        .size:           8
        .value_kind:     global_buffer
      - .offset:         112
        .size:           4
        .value_kind:     by_value
      - .offset:         120
        .size:           4
        .value_kind:     hidden_block_count_x
      - .offset:         124
        .size:           4
        .value_kind:     hidden_block_count_y
      - .offset:         128
        .size:           4
        .value_kind:     hidden_block_count_z
      - .offset:         132
        .size:           2
        .value_kind:     hidden_group_size_x
      - .offset:         134
        .size:           2
        .value_kind:     hidden_group_size_y
      - .offset:         136
        .size:           2
        .value_kind:     hidden_group_size_z
      - .offset:         138
        .size:           2
        .value_kind:     hidden_remainder_x
      - .offset:         140
        .size:           2
        .value_kind:     hidden_remainder_y
      - .offset:         142
        .size:           2
        .value_kind:     hidden_remainder_z
      - .offset:         160
        .size:           8
        .value_kind:     hidden_global_offset_x
      - .offset:         168
        .size:           8
        .value_kind:     hidden_global_offset_y
      - .offset:         176
        .size:           8
        .value_kind:     hidden_global_offset_z
      - .offset:         184
        .size:           2
        .value_kind:     hidden_grid_dims
    .group_segment_fixed_size: 9600
    .kernarg_segment_align: 8
    .kernarg_segment_size: 376
    .language:       OpenCL C
    .language_version:
      - 2
      - 0
    .max_flat_workgroup_size: 256
    .name:           _ZL26rocblas_hemvn_kernel_upperILb0ELi64ELi4ELi33ELi32ELi16Ei19rocblas_complex_numIfEPKPKS1_PS1_EviT6_lT7_lT5_lS8_lS9_lS7_lT8_i
    .private_segment_fixed_size: 0
    .sgpr_count:     40
    .sgpr_spill_count: 0
    .symbol:         _ZL26rocblas_hemvn_kernel_upperILb0ELi64ELi4ELi33ELi32ELi16Ei19rocblas_complex_numIfEPKPKS1_PS1_EviT6_lT7_lT5_lS8_lS9_lS7_lT8_i.kd
    .uniform_work_group_size: 1
    .uses_dynamic_stack: false
    .vgpr_count:     171
    .vgpr_spill_count: 0
    .wavefront_size: 32
    .workgroup_processor_mode: 1
  - .args:
      - .offset:         0
        .size:           4
        .value_kind:     by_value
      - .address_space:  global
        .offset:         8
        .size:           8
        .value_kind:     global_buffer
      - .offset:         16
        .size:           8
        .value_kind:     by_value
      - .address_space:  global
        .offset:         24
        .size:           8
        .value_kind:     global_buffer
      - .offset:         32
        .size:           8
        .value_kind:     by_value
      - .offset:         40
        .size:           8
        .value_kind:     by_value
      - .offset:         48
        .size:           8
        .value_kind:     by_value
      - .address_space:  global
        .offset:         56
        .size:           8
        .value_kind:     global_buffer
      - .offset:         64
        .size:           8
        .value_kind:     by_value
      - .offset:         72
        .size:           8
        .value_kind:     by_value
      - .offset:         80
        .size:           8
        .value_kind:     by_value
      - .address_space:  global
        .offset:         88
        .size:           8
        .value_kind:     global_buffer
      - .offset:         96
        .size:           8
        .value_kind:     by_value
      - .address_space:  global
        .offset:         104
        .size:           8
        .value_kind:     global_buffer
      - .offset:         112
        .size:           4
        .value_kind:     by_value
      - .offset:         120
        .size:           4
        .value_kind:     hidden_block_count_x
      - .offset:         124
        .size:           4
        .value_kind:     hidden_block_count_y
      - .offset:         128
        .size:           4
        .value_kind:     hidden_block_count_z
      - .offset:         132
        .size:           2
        .value_kind:     hidden_group_size_x
      - .offset:         134
        .size:           2
        .value_kind:     hidden_group_size_y
      - .offset:         136
        .size:           2
        .value_kind:     hidden_group_size_z
      - .offset:         138
        .size:           2
        .value_kind:     hidden_remainder_x
      - .offset:         140
        .size:           2
        .value_kind:     hidden_remainder_y
      - .offset:         142
        .size:           2
        .value_kind:     hidden_remainder_z
      - .offset:         160
        .size:           8
        .value_kind:     hidden_global_offset_x
      - .offset:         168
        .size:           8
        .value_kind:     hidden_global_offset_y
      - .offset:         176
        .size:           8
        .value_kind:     hidden_global_offset_z
      - .offset:         184
        .size:           2
        .value_kind:     hidden_grid_dims
    .group_segment_fixed_size: 9600
    .kernarg_segment_align: 8
    .kernarg_segment_size: 376
    .language:       OpenCL C
    .language_version:
      - 2
      - 0
    .max_flat_workgroup_size: 256
    .name:           _ZL26rocblas_hemvn_kernel_lowerILb0ELi64ELi4ELi33ELi32ELi16ElPK19rocblas_complex_numIfEPKS3_PS1_EviT6_lT7_lT5_lS8_lS9_lS7_lT8_i
    .private_segment_fixed_size: 0
    .sgpr_count:     48
    .sgpr_spill_count: 0
    .symbol:         _ZL26rocblas_hemvn_kernel_lowerILb0ELi64ELi4ELi33ELi32ELi16ElPK19rocblas_complex_numIfEPKS3_PS1_EviT6_lT7_lT5_lS8_lS9_lS7_lT8_i.kd
    .uniform_work_group_size: 1
    .uses_dynamic_stack: false
    .vgpr_count:     114
    .vgpr_spill_count: 0
    .wavefront_size: 32
    .workgroup_processor_mode: 1
  - .args:
      - .offset:         0
        .size:           4
        .value_kind:     by_value
      - .address_space:  global
        .offset:         8
        .size:           8
        .value_kind:     global_buffer
      - .offset:         16
        .size:           8
        .value_kind:     by_value
      - .address_space:  global
        .offset:         24
        .size:           8
        .value_kind:     global_buffer
      - .offset:         32
        .size:           8
        .value_kind:     by_value
      - .offset:         40
        .size:           4
        .value_kind:     by_value
      - .offset:         48
        .size:           8
        .value_kind:     by_value
      - .address_space:  global
        .offset:         56
        .size:           8
        .value_kind:     global_buffer
      - .offset:         64
        .size:           8
        .value_kind:     by_value
      - .offset:         72
        .size:           4
        .value_kind:     by_value
      - .offset:         80
        .size:           8
        .value_kind:     by_value
      - .address_space:  global
        .offset:         88
        .size:           8
        .value_kind:     global_buffer
      - .offset:         96
        .size:           8
        .value_kind:     by_value
      - .address_space:  global
        .offset:         104
        .size:           8
        .value_kind:     global_buffer
      - .offset:         112
        .size:           4
        .value_kind:     by_value
      - .offset:         120
        .size:           4
        .value_kind:     hidden_block_count_x
      - .offset:         124
        .size:           4
        .value_kind:     hidden_block_count_y
      - .offset:         128
        .size:           4
        .value_kind:     hidden_block_count_z
      - .offset:         132
        .size:           2
        .value_kind:     hidden_group_size_x
      - .offset:         134
        .size:           2
        .value_kind:     hidden_group_size_y
      - .offset:         136
        .size:           2
        .value_kind:     hidden_group_size_z
      - .offset:         138
        .size:           2
        .value_kind:     hidden_remainder_x
      - .offset:         140
        .size:           2
        .value_kind:     hidden_remainder_y
      - .offset:         142
        .size:           2
        .value_kind:     hidden_remainder_z
      - .offset:         160
        .size:           8
        .value_kind:     hidden_global_offset_x
      - .offset:         168
        .size:           8
        .value_kind:     hidden_global_offset_y
      - .offset:         176
        .size:           8
        .value_kind:     hidden_global_offset_z
      - .offset:         184
        .size:           2
        .value_kind:     hidden_grid_dims
    .group_segment_fixed_size: 9600
    .kernarg_segment_align: 8
    .kernarg_segment_size: 376
    .language:       OpenCL C
    .language_version:
      - 2
      - 0
    .max_flat_workgroup_size: 256
    .name:           _ZL26rocblas_hemvn_kernel_lowerILb0ELi64ELi4ELi33ELi32ELi16EiPK19rocblas_complex_numIfEPKS3_PS1_EviT6_lT7_lT5_lS8_lS9_lS7_lT8_i
    .private_segment_fixed_size: 0
    .sgpr_count:     48
    .sgpr_spill_count: 0
    .symbol:         _ZL26rocblas_hemvn_kernel_lowerILb0ELi64ELi4ELi33ELi32ELi16EiPK19rocblas_complex_numIfEPKS3_PS1_EviT6_lT7_lT5_lS8_lS9_lS7_lT8_i.kd
    .uniform_work_group_size: 1
    .uses_dynamic_stack: false
    .vgpr_count:     113
    .vgpr_spill_count: 0
    .wavefront_size: 32
    .workgroup_processor_mode: 1
  - .args:
      - .offset:         0
        .size:           4
        .value_kind:     by_value
      - .offset:         4
        .size:           8
        .value_kind:     by_value
      - .offset:         16
        .size:           8
        .value_kind:     by_value
      - .address_space:  global
        .offset:         24
        .size:           8
        .value_kind:     global_buffer
      - .offset:         32
        .size:           8
        .value_kind:     by_value
      - .offset:         40
        .size:           8
        .value_kind:     by_value
      - .offset:         48
        .size:           8
        .value_kind:     by_value
      - .address_space:  global
        .offset:         56
        .size:           8
        .value_kind:     global_buffer
      - .offset:         64
        .size:           8
        .value_kind:     by_value
      - .offset:         72
        .size:           8
        .value_kind:     by_value
      - .offset:         80
        .size:           8
        .value_kind:     by_value
      - .offset:         88
        .size:           8
        .value_kind:     by_value
      - .offset:         96
        .size:           8
        .value_kind:     by_value
      - .address_space:  global
        .offset:         104
        .size:           8
        .value_kind:     global_buffer
      - .offset:         112
        .size:           4
        .value_kind:     by_value
      - .offset:         120
        .size:           4
        .value_kind:     hidden_block_count_x
      - .offset:         124
        .size:           4
        .value_kind:     hidden_block_count_y
      - .offset:         128
        .size:           4
        .value_kind:     hidden_block_count_z
      - .offset:         132
        .size:           2
        .value_kind:     hidden_group_size_x
      - .offset:         134
        .size:           2
        .value_kind:     hidden_group_size_y
      - .offset:         136
        .size:           2
        .value_kind:     hidden_group_size_z
      - .offset:         138
        .size:           2
        .value_kind:     hidden_remainder_x
      - .offset:         140
        .size:           2
        .value_kind:     hidden_remainder_y
      - .offset:         142
        .size:           2
        .value_kind:     hidden_remainder_z
      - .offset:         160
        .size:           8
        .value_kind:     hidden_global_offset_x
      - .offset:         168
        .size:           8
        .value_kind:     hidden_global_offset_y
      - .offset:         176
        .size:           8
        .value_kind:     hidden_global_offset_z
      - .offset:         184
        .size:           2
        .value_kind:     hidden_grid_dims
    .group_segment_fixed_size: 9600
    .kernarg_segment_align: 8
    .kernarg_segment_size: 376
    .language:       OpenCL C
    .language_version:
      - 2
      - 0
    .max_flat_workgroup_size: 256
    .name:           _ZL26rocblas_hemvn_kernel_lowerILb0ELi64ELi4ELi33ELi32ELi16El19rocblas_complex_numIfEPKPKS1_PS1_EviT6_lT7_lT5_lS8_lS9_lS7_lT8_i
    .private_segment_fixed_size: 0
    .sgpr_count:     48
    .sgpr_spill_count: 0
    .symbol:         _ZL26rocblas_hemvn_kernel_lowerILb0ELi64ELi4ELi33ELi32ELi16El19rocblas_complex_numIfEPKPKS1_PS1_EviT6_lT7_lT5_lS8_lS9_lS7_lT8_i.kd
    .uniform_work_group_size: 1
    .uses_dynamic_stack: false
    .vgpr_count:     114
    .vgpr_spill_count: 0
    .wavefront_size: 32
    .workgroup_processor_mode: 1
  - .args:
      - .offset:         0
        .size:           4
        .value_kind:     by_value
      - .offset:         4
        .size:           8
        .value_kind:     by_value
      - .offset:         16
        .size:           8
        .value_kind:     by_value
      - .address_space:  global
        .offset:         24
        .size:           8
        .value_kind:     global_buffer
      - .offset:         32
        .size:           8
        .value_kind:     by_value
      - .offset:         40
        .size:           4
        .value_kind:     by_value
      - .offset:         48
        .size:           8
        .value_kind:     by_value
      - .address_space:  global
        .offset:         56
        .size:           8
        .value_kind:     global_buffer
      - .offset:         64
        .size:           8
        .value_kind:     by_value
      - .offset:         72
        .size:           4
        .value_kind:     by_value
      - .offset:         80
        .size:           8
        .value_kind:     by_value
      - .offset:         88
        .size:           8
        .value_kind:     by_value
      - .offset:         96
        .size:           8
        .value_kind:     by_value
      - .address_space:  global
        .offset:         104
        .size:           8
        .value_kind:     global_buffer
      - .offset:         112
        .size:           4
        .value_kind:     by_value
      - .offset:         120
        .size:           4
        .value_kind:     hidden_block_count_x
      - .offset:         124
        .size:           4
        .value_kind:     hidden_block_count_y
      - .offset:         128
        .size:           4
        .value_kind:     hidden_block_count_z
      - .offset:         132
        .size:           2
        .value_kind:     hidden_group_size_x
      - .offset:         134
        .size:           2
        .value_kind:     hidden_group_size_y
      - .offset:         136
        .size:           2
        .value_kind:     hidden_group_size_z
      - .offset:         138
        .size:           2
        .value_kind:     hidden_remainder_x
      - .offset:         140
        .size:           2
        .value_kind:     hidden_remainder_y
      - .offset:         142
        .size:           2
        .value_kind:     hidden_remainder_z
      - .offset:         160
        .size:           8
        .value_kind:     hidden_global_offset_x
      - .offset:         168
        .size:           8
        .value_kind:     hidden_global_offset_y
      - .offset:         176
        .size:           8
        .value_kind:     hidden_global_offset_z
      - .offset:         184
        .size:           2
        .value_kind:     hidden_grid_dims
    .group_segment_fixed_size: 9600
    .kernarg_segment_align: 8
    .kernarg_segment_size: 376
    .language:       OpenCL C
    .language_version:
      - 2
      - 0
    .max_flat_workgroup_size: 256
    .name:           _ZL26rocblas_hemvn_kernel_lowerILb0ELi64ELi4ELi33ELi32ELi16Ei19rocblas_complex_numIfEPKPKS1_PS1_EviT6_lT7_lT5_lS8_lS9_lS7_lT8_i
    .private_segment_fixed_size: 0
    .sgpr_count:     48
    .sgpr_spill_count: 0
    .symbol:         _ZL26rocblas_hemvn_kernel_lowerILb0ELi64ELi4ELi33ELi32ELi16Ei19rocblas_complex_numIfEPKPKS1_PS1_EviT6_lT7_lT5_lS8_lS9_lS7_lT8_i.kd
    .uniform_work_group_size: 1
    .uses_dynamic_stack: false
    .vgpr_count:     113
    .vgpr_spill_count: 0
    .wavefront_size: 32
    .workgroup_processor_mode: 1
  - .args:
      - .offset:         0
        .size:           4
        .value_kind:     by_value
      - .address_space:  global
        .offset:         8
        .size:           8
        .value_kind:     global_buffer
      - .offset:         16
        .size:           8
        .value_kind:     by_value
      - .address_space:  global
        .offset:         24
        .size:           8
        .value_kind:     global_buffer
      - .offset:         32
        .size:           8
        .value_kind:     by_value
      - .offset:         40
        .size:           8
        .value_kind:     by_value
      - .offset:         48
        .size:           8
        .value_kind:     by_value
      - .address_space:  global
        .offset:         56
        .size:           8
        .value_kind:     global_buffer
      - .offset:         64
        .size:           8
        .value_kind:     by_value
      - .offset:         72
        .size:           8
        .value_kind:     by_value
      - .offset:         80
        .size:           8
        .value_kind:     by_value
      - .address_space:  global
        .offset:         88
        .size:           8
        .value_kind:     global_buffer
      - .offset:         96
        .size:           8
        .value_kind:     by_value
      - .address_space:  global
        .offset:         104
        .size:           8
        .value_kind:     global_buffer
      - .offset:         112
        .size:           4
        .value_kind:     by_value
      - .offset:         120
        .size:           4
        .value_kind:     hidden_block_count_x
      - .offset:         124
        .size:           4
        .value_kind:     hidden_block_count_y
      - .offset:         128
        .size:           4
        .value_kind:     hidden_block_count_z
      - .offset:         132
        .size:           2
        .value_kind:     hidden_group_size_x
      - .offset:         134
        .size:           2
        .value_kind:     hidden_group_size_y
      - .offset:         136
        .size:           2
        .value_kind:     hidden_group_size_z
      - .offset:         138
        .size:           2
        .value_kind:     hidden_remainder_x
      - .offset:         140
        .size:           2
        .value_kind:     hidden_remainder_y
      - .offset:         142
        .size:           2
        .value_kind:     hidden_remainder_z
      - .offset:         160
        .size:           8
        .value_kind:     hidden_global_offset_x
      - .offset:         168
        .size:           8
        .value_kind:     hidden_global_offset_y
      - .offset:         176
        .size:           8
        .value_kind:     hidden_global_offset_z
      - .offset:         184
        .size:           2
        .value_kind:     hidden_grid_dims
    .group_segment_fixed_size: 19200
    .kernarg_segment_align: 8
    .kernarg_segment_size: 376
    .language:       OpenCL C
    .language_version:
      - 2
      - 0
    .max_flat_workgroup_size: 256
    .name:           _ZL26rocblas_hemvn_kernel_upperILb0ELi64ELi4ELi33ELi32ELi16ElPK19rocblas_complex_numIdEPKS3_PS1_EviT6_lT7_lT5_lS8_lS9_lS7_lT8_i
    .private_segment_fixed_size: 20
    .sgpr_count:     32
    .sgpr_spill_count: 0
    .symbol:         _ZL26rocblas_hemvn_kernel_upperILb0ELi64ELi4ELi33ELi32ELi16ElPK19rocblas_complex_numIdEPKS3_PS1_EviT6_lT7_lT5_lS8_lS9_lS7_lT8_i.kd
    .uniform_work_group_size: 1
    .uses_dynamic_stack: false
    .vgpr_count:     256
    .vgpr_spill_count: 4
    .wavefront_size: 32
    .workgroup_processor_mode: 1
  - .args:
      - .offset:         0
        .size:           4
        .value_kind:     by_value
      - .address_space:  global
        .offset:         8
        .size:           8
        .value_kind:     global_buffer
      - .offset:         16
        .size:           8
        .value_kind:     by_value
      - .address_space:  global
        .offset:         24
        .size:           8
        .value_kind:     global_buffer
      - .offset:         32
        .size:           8
        .value_kind:     by_value
      - .offset:         40
        .size:           4
        .value_kind:     by_value
      - .offset:         48
        .size:           8
        .value_kind:     by_value
      - .address_space:  global
        .offset:         56
        .size:           8
        .value_kind:     global_buffer
      - .offset:         64
        .size:           8
        .value_kind:     by_value
      - .offset:         72
        .size:           4
        .value_kind:     by_value
      - .offset:         80
        .size:           8
        .value_kind:     by_value
      - .address_space:  global
        .offset:         88
        .size:           8
        .value_kind:     global_buffer
      - .offset:         96
        .size:           8
        .value_kind:     by_value
      - .address_space:  global
        .offset:         104
        .size:           8
        .value_kind:     global_buffer
      - .offset:         112
        .size:           4
        .value_kind:     by_value
      - .offset:         120
        .size:           4
        .value_kind:     hidden_block_count_x
      - .offset:         124
        .size:           4
        .value_kind:     hidden_block_count_y
      - .offset:         128
        .size:           4
        .value_kind:     hidden_block_count_z
      - .offset:         132
        .size:           2
        .value_kind:     hidden_group_size_x
      - .offset:         134
        .size:           2
        .value_kind:     hidden_group_size_y
      - .offset:         136
        .size:           2
        .value_kind:     hidden_group_size_z
      - .offset:         138
        .size:           2
        .value_kind:     hidden_remainder_x
      - .offset:         140
        .size:           2
        .value_kind:     hidden_remainder_y
      - .offset:         142
        .size:           2
        .value_kind:     hidden_remainder_z
      - .offset:         160
        .size:           8
        .value_kind:     hidden_global_offset_x
      - .offset:         168
        .size:           8
        .value_kind:     hidden_global_offset_y
      - .offset:         176
        .size:           8
        .value_kind:     hidden_global_offset_z
      - .offset:         184
        .size:           2
        .value_kind:     hidden_grid_dims
    .group_segment_fixed_size: 19200
    .kernarg_segment_align: 8
    .kernarg_segment_size: 376
    .language:       OpenCL C
    .language_version:
      - 2
      - 0
    .max_flat_workgroup_size: 256
    .name:           _ZL26rocblas_hemvn_kernel_upperILb0ELi64ELi4ELi33ELi32ELi16EiPK19rocblas_complex_numIdEPKS3_PS1_EviT6_lT7_lT5_lS8_lS9_lS7_lT8_i
    .private_segment_fixed_size: 24
    .sgpr_count:     39
    .sgpr_spill_count: 0
    .symbol:         _ZL26rocblas_hemvn_kernel_upperILb0ELi64ELi4ELi33ELi32ELi16EiPK19rocblas_complex_numIdEPKS3_PS1_EviT6_lT7_lT5_lS8_lS9_lS7_lT8_i.kd
    .uniform_work_group_size: 1
    .uses_dynamic_stack: false
    .vgpr_count:     256
    .vgpr_spill_count: 5
    .wavefront_size: 32
    .workgroup_processor_mode: 1
  - .args:
      - .offset:         0
        .size:           4
        .value_kind:     by_value
      - .offset:         8
        .size:           16
        .value_kind:     by_value
      - .offset:         24
        .size:           8
        .value_kind:     by_value
      - .address_space:  global
        .offset:         32
        .size:           8
        .value_kind:     global_buffer
      - .offset:         40
        .size:           8
        .value_kind:     by_value
      - .offset:         48
        .size:           8
        .value_kind:     by_value
      - .offset:         56
        .size:           8
        .value_kind:     by_value
      - .address_space:  global
        .offset:         64
        .size:           8
        .value_kind:     global_buffer
      - .offset:         72
        .size:           8
        .value_kind:     by_value
      - .offset:         80
        .size:           8
        .value_kind:     by_value
      - .offset:         88
        .size:           8
        .value_kind:     by_value
      - .offset:         96
        .size:           16
        .value_kind:     by_value
      - .offset:         112
        .size:           8
        .value_kind:     by_value
      - .address_space:  global
        .offset:         120
        .size:           8
        .value_kind:     global_buffer
      - .offset:         128
        .size:           4
        .value_kind:     by_value
      - .offset:         136
        .size:           4
        .value_kind:     hidden_block_count_x
      - .offset:         140
        .size:           4
        .value_kind:     hidden_block_count_y
      - .offset:         144
        .size:           4
        .value_kind:     hidden_block_count_z
      - .offset:         148
        .size:           2
        .value_kind:     hidden_group_size_x
      - .offset:         150
        .size:           2
        .value_kind:     hidden_group_size_y
      - .offset:         152
        .size:           2
        .value_kind:     hidden_group_size_z
      - .offset:         154
        .size:           2
        .value_kind:     hidden_remainder_x
      - .offset:         156
        .size:           2
        .value_kind:     hidden_remainder_y
      - .offset:         158
        .size:           2
        .value_kind:     hidden_remainder_z
      - .offset:         176
        .size:           8
        .value_kind:     hidden_global_offset_x
      - .offset:         184
        .size:           8
        .value_kind:     hidden_global_offset_y
      - .offset:         192
        .size:           8
        .value_kind:     hidden_global_offset_z
      - .offset:         200
        .size:           2
        .value_kind:     hidden_grid_dims
    .group_segment_fixed_size: 19200
    .kernarg_segment_align: 8
    .kernarg_segment_size: 392
    .language:       OpenCL C
    .language_version:
      - 2
      - 0
    .max_flat_workgroup_size: 256
    .name:           _ZL26rocblas_hemvn_kernel_upperILb0ELi64ELi4ELi33ELi32ELi16El19rocblas_complex_numIdEPKPKS1_PS1_EviT6_lT7_lT5_lS8_lS9_lS7_lT8_i
    .private_segment_fixed_size: 20
    .sgpr_count:     32
    .sgpr_spill_count: 0
    .symbol:         _ZL26rocblas_hemvn_kernel_upperILb0ELi64ELi4ELi33ELi32ELi16El19rocblas_complex_numIdEPKPKS1_PS1_EviT6_lT7_lT5_lS8_lS9_lS7_lT8_i.kd
    .uniform_work_group_size: 1
    .uses_dynamic_stack: false
    .vgpr_count:     256
    .vgpr_spill_count: 4
    .wavefront_size: 32
    .workgroup_processor_mode: 1
  - .args:
      - .offset:         0
        .size:           4
        .value_kind:     by_value
      - .offset:         8
        .size:           16
        .value_kind:     by_value
      - .offset:         24
        .size:           8
        .value_kind:     by_value
      - .address_space:  global
        .offset:         32
        .size:           8
        .value_kind:     global_buffer
      - .offset:         40
        .size:           8
        .value_kind:     by_value
      - .offset:         48
        .size:           4
        .value_kind:     by_value
      - .offset:         56
        .size:           8
        .value_kind:     by_value
      - .address_space:  global
        .offset:         64
        .size:           8
        .value_kind:     global_buffer
      - .offset:         72
        .size:           8
        .value_kind:     by_value
      - .offset:         80
        .size:           4
        .value_kind:     by_value
      - .offset:         88
        .size:           8
        .value_kind:     by_value
      - .offset:         96
        .size:           16
        .value_kind:     by_value
      - .offset:         112
        .size:           8
        .value_kind:     by_value
      - .address_space:  global
        .offset:         120
        .size:           8
        .value_kind:     global_buffer
      - .offset:         128
        .size:           4
        .value_kind:     by_value
      - .offset:         136
        .size:           4
        .value_kind:     hidden_block_count_x
      - .offset:         140
        .size:           4
        .value_kind:     hidden_block_count_y
      - .offset:         144
        .size:           4
        .value_kind:     hidden_block_count_z
      - .offset:         148
        .size:           2
        .value_kind:     hidden_group_size_x
      - .offset:         150
        .size:           2
        .value_kind:     hidden_group_size_y
      - .offset:         152
        .size:           2
        .value_kind:     hidden_group_size_z
      - .offset:         154
        .size:           2
        .value_kind:     hidden_remainder_x
      - .offset:         156
        .size:           2
        .value_kind:     hidden_remainder_y
      - .offset:         158
        .size:           2
        .value_kind:     hidden_remainder_z
      - .offset:         176
        .size:           8
        .value_kind:     hidden_global_offset_x
      - .offset:         184
        .size:           8
        .value_kind:     hidden_global_offset_y
      - .offset:         192
        .size:           8
        .value_kind:     hidden_global_offset_z
      - .offset:         200
        .size:           2
        .value_kind:     hidden_grid_dims
    .group_segment_fixed_size: 19200
    .kernarg_segment_align: 8
    .kernarg_segment_size: 392
    .language:       OpenCL C
    .language_version:
      - 2
      - 0
    .max_flat_workgroup_size: 256
    .name:           _ZL26rocblas_hemvn_kernel_upperILb0ELi64ELi4ELi33ELi32ELi16Ei19rocblas_complex_numIdEPKPKS1_PS1_EviT6_lT7_lT5_lS8_lS9_lS7_lT8_i
    .private_segment_fixed_size: 24
    .sgpr_count:     39
    .sgpr_spill_count: 0
    .symbol:         _ZL26rocblas_hemvn_kernel_upperILb0ELi64ELi4ELi33ELi32ELi16Ei19rocblas_complex_numIdEPKPKS1_PS1_EviT6_lT7_lT5_lS8_lS9_lS7_lT8_i.kd
    .uniform_work_group_size: 1
    .uses_dynamic_stack: false
    .vgpr_count:     256
    .vgpr_spill_count: 5
    .wavefront_size: 32
    .workgroup_processor_mode: 1
  - .args:
      - .offset:         0
        .size:           4
        .value_kind:     by_value
      - .address_space:  global
        .offset:         8
        .size:           8
        .value_kind:     global_buffer
      - .offset:         16
        .size:           8
        .value_kind:     by_value
      - .address_space:  global
        .offset:         24
        .size:           8
        .value_kind:     global_buffer
      - .offset:         32
        .size:           8
        .value_kind:     by_value
      - .offset:         40
        .size:           8
        .value_kind:     by_value
      - .offset:         48
        .size:           8
        .value_kind:     by_value
      - .address_space:  global
        .offset:         56
        .size:           8
        .value_kind:     global_buffer
      - .offset:         64
        .size:           8
        .value_kind:     by_value
      - .offset:         72
        .size:           8
        .value_kind:     by_value
      - .offset:         80
        .size:           8
        .value_kind:     by_value
      - .address_space:  global
        .offset:         88
        .size:           8
        .value_kind:     global_buffer
      - .offset:         96
        .size:           8
        .value_kind:     by_value
      - .address_space:  global
        .offset:         104
        .size:           8
        .value_kind:     global_buffer
      - .offset:         112
        .size:           4
        .value_kind:     by_value
      - .offset:         120
        .size:           4
        .value_kind:     hidden_block_count_x
      - .offset:         124
        .size:           4
        .value_kind:     hidden_block_count_y
      - .offset:         128
        .size:           4
        .value_kind:     hidden_block_count_z
      - .offset:         132
        .size:           2
        .value_kind:     hidden_group_size_x
      - .offset:         134
        .size:           2
        .value_kind:     hidden_group_size_y
      - .offset:         136
        .size:           2
        .value_kind:     hidden_group_size_z
      - .offset:         138
        .size:           2
        .value_kind:     hidden_remainder_x
      - .offset:         140
        .size:           2
        .value_kind:     hidden_remainder_y
      - .offset:         142
        .size:           2
        .value_kind:     hidden_remainder_z
      - .offset:         160
        .size:           8
        .value_kind:     hidden_global_offset_x
      - .offset:         168
        .size:           8
        .value_kind:     hidden_global_offset_y
      - .offset:         176
        .size:           8
        .value_kind:     hidden_global_offset_z
      - .offset:         184
        .size:           2
        .value_kind:     hidden_grid_dims
    .group_segment_fixed_size: 19200
    .kernarg_segment_align: 8
    .kernarg_segment_size: 376
    .language:       OpenCL C
    .language_version:
      - 2
      - 0
    .max_flat_workgroup_size: 256
    .name:           _ZL26rocblas_hemvn_kernel_lowerILb0ELi64ELi4ELi33ELi32ELi16ElPK19rocblas_complex_numIdEPKS3_PS1_EviT6_lT7_lT5_lS8_lS9_lS7_lT8_i
    .private_segment_fixed_size: 0
    .sgpr_count:     34
    .sgpr_spill_count: 0
    .symbol:         _ZL26rocblas_hemvn_kernel_lowerILb0ELi64ELi4ELi33ELi32ELi16ElPK19rocblas_complex_numIdEPKS3_PS1_EviT6_lT7_lT5_lS8_lS9_lS7_lT8_i.kd
    .uniform_work_group_size: 1
    .uses_dynamic_stack: false
    .vgpr_count:     211
    .vgpr_spill_count: 0
    .wavefront_size: 32
    .workgroup_processor_mode: 1
  - .args:
      - .offset:         0
        .size:           4
        .value_kind:     by_value
      - .address_space:  global
        .offset:         8
        .size:           8
        .value_kind:     global_buffer
      - .offset:         16
        .size:           8
        .value_kind:     by_value
      - .address_space:  global
        .offset:         24
        .size:           8
        .value_kind:     global_buffer
      - .offset:         32
        .size:           8
        .value_kind:     by_value
      - .offset:         40
        .size:           4
        .value_kind:     by_value
      - .offset:         48
        .size:           8
        .value_kind:     by_value
      - .address_space:  global
        .offset:         56
        .size:           8
        .value_kind:     global_buffer
      - .offset:         64
        .size:           8
        .value_kind:     by_value
      - .offset:         72
        .size:           4
        .value_kind:     by_value
      - .offset:         80
        .size:           8
        .value_kind:     by_value
      - .address_space:  global
        .offset:         88
        .size:           8
        .value_kind:     global_buffer
      - .offset:         96
        .size:           8
        .value_kind:     by_value
      - .address_space:  global
        .offset:         104
        .size:           8
        .value_kind:     global_buffer
      - .offset:         112
        .size:           4
        .value_kind:     by_value
      - .offset:         120
        .size:           4
        .value_kind:     hidden_block_count_x
      - .offset:         124
        .size:           4
        .value_kind:     hidden_block_count_y
      - .offset:         128
        .size:           4
        .value_kind:     hidden_block_count_z
      - .offset:         132
        .size:           2
        .value_kind:     hidden_group_size_x
      - .offset:         134
        .size:           2
        .value_kind:     hidden_group_size_y
      - .offset:         136
        .size:           2
        .value_kind:     hidden_group_size_z
      - .offset:         138
        .size:           2
        .value_kind:     hidden_remainder_x
      - .offset:         140
        .size:           2
        .value_kind:     hidden_remainder_y
      - .offset:         142
        .size:           2
        .value_kind:     hidden_remainder_z
      - .offset:         160
        .size:           8
        .value_kind:     hidden_global_offset_x
      - .offset:         168
        .size:           8
        .value_kind:     hidden_global_offset_y
      - .offset:         176
        .size:           8
        .value_kind:     hidden_global_offset_z
      - .offset:         184
        .size:           2
        .value_kind:     hidden_grid_dims
    .group_segment_fixed_size: 19200
    .kernarg_segment_align: 8
    .kernarg_segment_size: 376
    .language:       OpenCL C
    .language_version:
      - 2
      - 0
    .max_flat_workgroup_size: 256
    .name:           _ZL26rocblas_hemvn_kernel_lowerILb0ELi64ELi4ELi33ELi32ELi16EiPK19rocblas_complex_numIdEPKS3_PS1_EviT6_lT7_lT5_lS8_lS9_lS7_lT8_i
    .private_segment_fixed_size: 0
    .sgpr_count:     32
    .sgpr_spill_count: 0
    .symbol:         _ZL26rocblas_hemvn_kernel_lowerILb0ELi64ELi4ELi33ELi32ELi16EiPK19rocblas_complex_numIdEPKS3_PS1_EviT6_lT7_lT5_lS8_lS9_lS7_lT8_i.kd
    .uniform_work_group_size: 1
    .uses_dynamic_stack: false
    .vgpr_count:     209
    .vgpr_spill_count: 0
    .wavefront_size: 32
    .workgroup_processor_mode: 1
  - .args:
      - .offset:         0
        .size:           4
        .value_kind:     by_value
      - .offset:         8
        .size:           16
        .value_kind:     by_value
      - .offset:         24
        .size:           8
        .value_kind:     by_value
      - .address_space:  global
        .offset:         32
        .size:           8
        .value_kind:     global_buffer
      - .offset:         40
        .size:           8
        .value_kind:     by_value
      - .offset:         48
        .size:           8
        .value_kind:     by_value
      - .offset:         56
        .size:           8
        .value_kind:     by_value
      - .address_space:  global
        .offset:         64
        .size:           8
        .value_kind:     global_buffer
      - .offset:         72
        .size:           8
        .value_kind:     by_value
      - .offset:         80
        .size:           8
        .value_kind:     by_value
      - .offset:         88
        .size:           8
        .value_kind:     by_value
      - .offset:         96
        .size:           16
        .value_kind:     by_value
      - .offset:         112
        .size:           8
        .value_kind:     by_value
      - .address_space:  global
        .offset:         120
        .size:           8
        .value_kind:     global_buffer
      - .offset:         128
        .size:           4
        .value_kind:     by_value
      - .offset:         136
        .size:           4
        .value_kind:     hidden_block_count_x
      - .offset:         140
        .size:           4
        .value_kind:     hidden_block_count_y
      - .offset:         144
        .size:           4
        .value_kind:     hidden_block_count_z
      - .offset:         148
        .size:           2
        .value_kind:     hidden_group_size_x
      - .offset:         150
        .size:           2
        .value_kind:     hidden_group_size_y
      - .offset:         152
        .size:           2
        .value_kind:     hidden_group_size_z
      - .offset:         154
        .size:           2
        .value_kind:     hidden_remainder_x
      - .offset:         156
        .size:           2
        .value_kind:     hidden_remainder_y
      - .offset:         158
        .size:           2
        .value_kind:     hidden_remainder_z
      - .offset:         176
        .size:           8
        .value_kind:     hidden_global_offset_x
      - .offset:         184
        .size:           8
        .value_kind:     hidden_global_offset_y
      - .offset:         192
        .size:           8
        .value_kind:     hidden_global_offset_z
      - .offset:         200
        .size:           2
        .value_kind:     hidden_grid_dims
    .group_segment_fixed_size: 19200
    .kernarg_segment_align: 8
    .kernarg_segment_size: 392
    .language:       OpenCL C
    .language_version:
      - 2
      - 0
    .max_flat_workgroup_size: 256
    .name:           _ZL26rocblas_hemvn_kernel_lowerILb0ELi64ELi4ELi33ELi32ELi16El19rocblas_complex_numIdEPKPKS1_PS1_EviT6_lT7_lT5_lS8_lS9_lS7_lT8_i
    .private_segment_fixed_size: 0
    .sgpr_count:     34
    .sgpr_spill_count: 0
    .symbol:         _ZL26rocblas_hemvn_kernel_lowerILb0ELi64ELi4ELi33ELi32ELi16El19rocblas_complex_numIdEPKPKS1_PS1_EviT6_lT7_lT5_lS8_lS9_lS7_lT8_i.kd
    .uniform_work_group_size: 1
    .uses_dynamic_stack: false
    .vgpr_count:     183
    .vgpr_spill_count: 0
    .wavefront_size: 32
    .workgroup_processor_mode: 1
  - .args:
      - .offset:         0
        .size:           4
        .value_kind:     by_value
      - .offset:         8
        .size:           16
        .value_kind:     by_value
      - .offset:         24
        .size:           8
        .value_kind:     by_value
      - .address_space:  global
        .offset:         32
        .size:           8
        .value_kind:     global_buffer
      - .offset:         40
        .size:           8
        .value_kind:     by_value
      - .offset:         48
        .size:           4
        .value_kind:     by_value
      - .offset:         56
        .size:           8
        .value_kind:     by_value
      - .address_space:  global
        .offset:         64
        .size:           8
        .value_kind:     global_buffer
      - .offset:         72
        .size:           8
        .value_kind:     by_value
      - .offset:         80
        .size:           4
        .value_kind:     by_value
      - .offset:         88
        .size:           8
        .value_kind:     by_value
      - .offset:         96
        .size:           16
        .value_kind:     by_value
      - .offset:         112
        .size:           8
        .value_kind:     by_value
      - .address_space:  global
        .offset:         120
        .size:           8
        .value_kind:     global_buffer
      - .offset:         128
        .size:           4
        .value_kind:     by_value
      - .offset:         136
        .size:           4
        .value_kind:     hidden_block_count_x
      - .offset:         140
        .size:           4
        .value_kind:     hidden_block_count_y
      - .offset:         144
        .size:           4
        .value_kind:     hidden_block_count_z
      - .offset:         148
        .size:           2
        .value_kind:     hidden_group_size_x
      - .offset:         150
        .size:           2
        .value_kind:     hidden_group_size_y
      - .offset:         152
        .size:           2
        .value_kind:     hidden_group_size_z
      - .offset:         154
        .size:           2
        .value_kind:     hidden_remainder_x
      - .offset:         156
        .size:           2
        .value_kind:     hidden_remainder_y
      - .offset:         158
        .size:           2
        .value_kind:     hidden_remainder_z
      - .offset:         176
        .size:           8
        .value_kind:     hidden_global_offset_x
      - .offset:         184
        .size:           8
        .value_kind:     hidden_global_offset_y
      - .offset:         192
        .size:           8
        .value_kind:     hidden_global_offset_z
      - .offset:         200
        .size:           2
        .value_kind:     hidden_grid_dims
    .group_segment_fixed_size: 19200
    .kernarg_segment_align: 8
    .kernarg_segment_size: 392
    .language:       OpenCL C
    .language_version:
      - 2
      - 0
    .max_flat_workgroup_size: 256
    .name:           _ZL26rocblas_hemvn_kernel_lowerILb0ELi64ELi4ELi33ELi32ELi16Ei19rocblas_complex_numIdEPKPKS1_PS1_EviT6_lT7_lT5_lS8_lS9_lS7_lT8_i
    .private_segment_fixed_size: 0
    .sgpr_count:     32
    .sgpr_spill_count: 0
    .symbol:         _ZL26rocblas_hemvn_kernel_lowerILb0ELi64ELi4ELi33ELi32ELi16Ei19rocblas_complex_numIdEPKPKS1_PS1_EviT6_lT7_lT5_lS8_lS9_lS7_lT8_i.kd
    .uniform_work_group_size: 1
    .uses_dynamic_stack: false
    .vgpr_count:     209
    .vgpr_spill_count: 0
    .wavefront_size: 32
    .workgroup_processor_mode: 1
amdhsa.target:   amdgcn-amd-amdhsa--gfx1100
amdhsa.version:
  - 1
  - 2
...

	.end_amdgpu_metadata
